;; amdgpu-corpus repo=ROCm/rocSPARSE kind=compiled arch=gfx1030 opt=O3
	.amdgcn_target "amdgcn-amd-amdhsa--gfx1030"
	.amdhsa_code_object_version 6
	.section	.text._ZN9rocsparseL14kernel_freerunILi1024ELi1EfiiEEvT3_S1_T2_PKS2_S4_PKS1_PKT1_21rocsparse_index_base_S4_S4_S6_PS7_SB_SA_S4_S4_S6_SB_SB_SA_SB_SB_,"axG",@progbits,_ZN9rocsparseL14kernel_freerunILi1024ELi1EfiiEEvT3_S1_T2_PKS2_S4_PKS1_PKT1_21rocsparse_index_base_S4_S4_S6_PS7_SB_SA_S4_S4_S6_SB_SB_SA_SB_SB_,comdat
	.globl	_ZN9rocsparseL14kernel_freerunILi1024ELi1EfiiEEvT3_S1_T2_PKS2_S4_PKS1_PKT1_21rocsparse_index_base_S4_S4_S6_PS7_SB_SA_S4_S4_S6_SB_SB_SA_SB_SB_ ; -- Begin function _ZN9rocsparseL14kernel_freerunILi1024ELi1EfiiEEvT3_S1_T2_PKS2_S4_PKS1_PKT1_21rocsparse_index_base_S4_S4_S6_PS7_SB_SA_S4_S4_S6_SB_SB_SA_SB_SB_
	.p2align	8
	.type	_ZN9rocsparseL14kernel_freerunILi1024ELi1EfiiEEvT3_S1_T2_PKS2_S4_PKS1_PKT1_21rocsparse_index_base_S4_S4_S6_PS7_SB_SA_S4_S4_S6_SB_SB_SA_SB_SB_,@function
_ZN9rocsparseL14kernel_freerunILi1024ELi1EfiiEEvT3_S1_T2_PKS2_S4_PKS1_PKT1_21rocsparse_index_base_S4_S4_S6_PS7_SB_SA_S4_S4_S6_SB_SB_SA_SB_SB_: ; @_ZN9rocsparseL14kernel_freerunILi1024ELi1EfiiEEvT3_S1_T2_PKS2_S4_PKS1_PKT1_21rocsparse_index_base_S4_S4_S6_PS7_SB_SA_S4_S4_S6_SB_SB_SA_SB_SB_
; %bb.0:
	s_load_dwordx2 s[34:35], s[4:5], 0x0
	s_lshl_b32 s40, s6, 10
	s_mov_b32 s33, 0
	v_or_b32_e32 v0, s40, v0
	s_waitcnt lgkmcnt(0)
	v_cmp_gt_i32_e32 vcc_lo, s35, v0
	s_cmp_gt_i32 s34, 0
	s_cselect_b32 s0, -1, 0
	s_and_b32 s0, vcc_lo, s0
	s_and_saveexec_b32 s1, s0
	s_cbranch_execz .LBB0_51
; %bb.1:
	s_clause 0x1
	s_load_dwordx8 s[8:15], s[4:5], 0x38
	s_load_dwordx8 s[16:23], s[4:5], 0x10
	v_ashrrev_i32_e32 v1, 31, v0
	s_addk_i32 s40, 0x400
	v_cmp_gt_u32_e64 s0, s40, v0
	v_lshlrev_b64 v[1:2], 2, v[0:1]
	s_waitcnt lgkmcnt(0)
	v_add_co_u32 v3, vcc_lo, s8, v1
	v_add_co_ci_u32_e64 v4, null, s9, v2, vcc_lo
	v_add_co_u32 v5, vcc_lo, s10, v1
	v_add_co_ci_u32_e64 v6, null, s11, v2, vcc_lo
	global_load_dword v7, v[3:4], off
	v_add_co_u32 v3, vcc_lo, s16, v1
	v_add_co_ci_u32_e64 v4, null, s17, v2, vcc_lo
	v_add_co_u32 v1, vcc_lo, s18, v1
	v_add_co_ci_u32_e64 v2, null, s19, v2, vcc_lo
	global_load_dword v5, v[5:6], off
	global_load_dword v4, v[3:4], off
	;; [unrolled: 1-line block ×3, first 2 shown]
	s_clause 0x6
	s_load_dword s38, s[4:5], 0x60
	s_load_dword s39, s[4:5], 0x30
	s_load_dwordx2 s[6:7], s[4:5], 0x58
	s_load_dwordx4 s[16:19], s[4:5], 0x98
	s_load_dwordx8 s[24:31], s[4:5], 0x68
	s_load_dwordx2 s[36:37], s[4:5], 0x88
	s_load_dword s4, s[4:5], 0x90
	s_waitcnt vmcnt(3) lgkmcnt(0)
	v_subrev_nc_u32_e32 v1, s38, v7
	v_ashrrev_i32_e32 v2, 31, v1
	s_waitcnt vmcnt(2)
	v_sub_nc_u32_e32 v17, v5, v7
	s_waitcnt vmcnt(1)
	v_subrev_nc_u32_e32 v18, s39, v4
	v_lshlrev_b64 v[2:3], 2, v[1:2]
	s_waitcnt vmcnt(0)
	v_subrev_nc_u32_e32 v19, s39, v6
	v_cmp_lt_i32_e64 s1, v4, v6
	v_cmp_lt_i32_e64 s2, 0, v17
	v_add_co_u32 v20, vcc_lo, s12, v2
	v_add_co_ci_u32_e64 v21, null, s13, v3, vcc_lo
	v_add_co_u32 v22, vcc_lo, s14, v2
	v_add_co_ci_u32_e64 v23, null, s15, v3, vcc_lo
	v_mov_b32_e32 v3, 0
	s_branch .LBB0_3
.LBB0_2:                                ;   in Loop: Header=BB0_3 Depth=1
	s_or_b32 exec_lo, exec_lo, s5
	s_add_i32 s33, s33, 1
	s_cmp_eq_u32 s33, s34
	s_cbranch_scc1 .LBB0_51
.LBB0_3:                                ; =>This Loop Header: Depth=1
                                        ;     Child Loop BB0_6 Depth 2
                                        ;       Child Loop BB0_10 Depth 3
                                        ;       Child Loop BB0_26 Depth 3
	;; [unrolled: 1-line block ×3, first 2 shown]
                                        ;     Child Loop BB0_44 Depth 2
                                        ;       Child Loop BB0_47 Depth 3
                                        ;       Child Loop BB0_50 Depth 3
	s_and_saveexec_b32 s5, s1
	s_cbranch_execz .LBB0_40
; %bb.4:                                ;   in Loop: Header=BB0_3 Depth=1
	v_mov_b32_e32 v4, v18
	s_mov_b32 s41, 0
	s_branch .LBB0_6
.LBB0_5:                                ;   in Loop: Header=BB0_6 Depth=2
	s_or_b32 exec_lo, exec_lo, s42
	v_add_nc_u32_e32 v4, 1, v4
	v_cmp_ge_i32_e32 vcc_lo, v4, v19
	s_or_b32 s41, vcc_lo, s41
	s_andn2_b32 exec_lo, exec_lo, s41
	s_cbranch_execz .LBB0_40
.LBB0_6:                                ;   Parent Loop BB0_3 Depth=1
                                        ; =>  This Loop Header: Depth=2
                                        ;       Child Loop BB0_10 Depth 3
                                        ;       Child Loop BB0_26 Depth 3
	;; [unrolled: 1-line block ×3, first 2 shown]
	v_ashrrev_i32_e32 v5, 31, v4
	v_mov_b32_e32 v25, 0
	v_lshlrev_b64 v[11:12], 2, v[4:5]
	v_add_co_u32 v5, vcc_lo, s20, v11
	v_add_co_ci_u32_e64 v6, null, s21, v12, vcc_lo
	global_load_dword v2, v[5:6], off
	s_waitcnt vmcnt(0)
	v_subrev_nc_u32_e32 v5, s39, v2
	v_ashrrev_i32_e32 v6, 31, v5
	v_lshlrev_b64 v[9:10], 2, v[5:6]
	v_add_co_u32 v6, vcc_lo, s24, v9
	v_add_co_ci_u32_e64 v7, null, s25, v10, vcc_lo
	v_add_co_u32 v13, vcc_lo, s26, v9
	v_add_co_ci_u32_e64 v14, null, s27, v10, vcc_lo
	global_load_dword v2, v[6:7], off
	global_load_dword v8, v[13:14], off
	v_mov_b32_e32 v7, 0
	s_waitcnt vmcnt(1)
	v_subrev_nc_u32_e32 v6, s4, v2
	s_waitcnt vmcnt(0)
	v_sub_nc_u32_e32 v24, v8, v2
	v_mov_b32_e32 v2, v7
	s_and_saveexec_b32 s42, s2
	s_cbranch_execz .LBB0_14
; %bb.7:                                ;   in Loop: Header=BB0_6 Depth=2
	v_ashrrev_i32_e32 v7, 31, v6
	v_mov_b32_e32 v25, 0
	v_mov_b32_e32 v2, 0
	s_mov_b32 s43, 0
                                        ; implicit-def: $sgpr44
	v_lshlrev_b64 v[7:8], 2, v[6:7]
	v_add_co_u32 v26, vcc_lo, s28, v7
	v_add_co_ci_u32_e64 v27, null, s29, v8, vcc_lo
	v_add_co_u32 v28, vcc_lo, s30, v7
	v_add_co_ci_u32_e64 v29, null, s31, v8, vcc_lo
	v_mov_b32_e32 v7, 0
	s_branch .LBB0_10
.LBB0_8:                                ;   in Loop: Header=BB0_10 Depth=3
	s_or_b32 exec_lo, exec_lo, s3
	v_cmp_le_i32_e32 vcc_lo, v8, v30
	v_cmp_ge_i32_e64 s3, v8, v30
	v_add_co_ci_u32_e64 v2, null, 0, v2, vcc_lo
	v_add_co_ci_u32_e64 v7, null, 0, v7, s3
	s_andn2_b32 s3, s44, exec_lo
	v_cmp_ge_i32_e32 vcc_lo, v2, v17
	s_and_b32 s44, vcc_lo, exec_lo
	s_or_b32 s44, s3, s44
.LBB0_9:                                ;   in Loop: Header=BB0_10 Depth=3
	s_or_b32 exec_lo, exec_lo, s45
	s_and_b32 s3, exec_lo, s44
	s_or_b32 s43, s3, s43
	s_andn2_b32 exec_lo, exec_lo, s43
	s_cbranch_execz .LBB0_13
.LBB0_10:                               ;   Parent Loop BB0_3 Depth=1
                                        ;     Parent Loop BB0_6 Depth=2
                                        ; =>    This Inner Loop Header: Depth=3
	s_or_b32 s44, s44, exec_lo
	s_mov_b32 s45, exec_lo
	v_cmpx_lt_i32_e64 v7, v24
	s_cbranch_execz .LBB0_9
; %bb.11:                               ;   in Loop: Header=BB0_10 Depth=3
	v_mov_b32_e32 v8, v3
	v_lshlrev_b64 v[15:16], 2, v[2:3]
	s_mov_b32 s3, exec_lo
	v_lshlrev_b64 v[13:14], 2, v[7:8]
	v_add_co_u32 v30, vcc_lo, v20, v15
	v_add_co_ci_u32_e64 v31, null, v21, v16, vcc_lo
	v_add_co_u32 v32, vcc_lo, v26, v13
	v_add_co_ci_u32_e64 v33, null, v27, v14, vcc_lo
	global_load_dword v8, v[30:31], off
	global_load_dword v30, v[32:33], off
	s_waitcnt vmcnt(1)
	v_subrev_nc_u32_e32 v8, s38, v8
	s_waitcnt vmcnt(0)
	v_subrev_nc_u32_e32 v30, s4, v30
	v_cmpx_eq_u32_e64 v8, v30
	s_cbranch_execz .LBB0_8
; %bb.12:                               ;   in Loop: Header=BB0_10 Depth=3
	v_add_co_u32 v15, vcc_lo, v22, v15
	v_add_co_ci_u32_e64 v16, null, v23, v16, vcc_lo
	v_add_co_u32 v13, vcc_lo, v28, v13
	v_add_co_ci_u32_e64 v14, null, v29, v14, vcc_lo
	global_load_dword v15, v[15:16], off
	global_load_dword v13, v[13:14], off
	s_waitcnt vmcnt(0)
	v_fmac_f32_e32 v25, v15, v13
	s_branch .LBB0_8
.LBB0_13:                               ;   in Loop: Header=BB0_6 Depth=2
	s_or_b32 exec_lo, exec_lo, s43
.LBB0_14:                               ;   in Loop: Header=BB0_6 Depth=2
	s_or_b32 exec_lo, exec_lo, s42
	v_add_co_u32 v11, vcc_lo, s22, v11
	v_add_co_ci_u32_e64 v12, null, s23, v12, vcc_lo
	v_cmp_le_i32_e64 s3, v0, v5
	s_mov_b32 s42, exec_lo
	global_load_dword v8, v[11:12], off
	s_waitcnt vmcnt(0)
	v_sub_f32_e32 v11, v8, v25
	v_cmpx_gt_i32_e64 v0, v5
	s_cbranch_execz .LBB0_18
; %bb.15:                               ;   in Loop: Header=BB0_6 Depth=2
	v_add_co_u32 v12, vcc_lo, s16, v9
	v_add_co_ci_u32_e64 v13, null, s17, v10, vcc_lo
	s_mov_b32 s43, exec_lo
	global_load_dword v8, v[12:13], off
	v_mov_b32_e32 v12, 0
	s_waitcnt vmcnt(0)
	v_cmpx_lg_f32_e32 0, v8
	s_cbranch_execz .LBB0_17
; %bb.16:                               ;   in Loop: Header=BB0_6 Depth=2
	v_div_scale_f32 v12, null, v8, v8, v11
	v_rcp_f32_e32 v13, v12
	v_fma_f32 v14, -v12, v13, 1.0
	v_fmac_f32_e32 v13, v14, v13
	v_div_scale_f32 v14, vcc_lo, v11, v8, v11
	v_mul_f32_e32 v15, v14, v13
	v_fma_f32 v16, -v12, v15, v14
	v_fmac_f32_e32 v15, v16, v13
	v_fma_f32 v12, -v12, v15, v14
	v_div_fmas_f32 v12, v12, v13, v15
	v_div_fixup_f32 v12, v12, v8, v11
.LBB0_17:                               ;   in Loop: Header=BB0_6 Depth=2
	s_or_b32 exec_lo, exec_lo, s43
	v_mov_b32_e32 v11, v12
.LBB0_18:                               ;   in Loop: Header=BB0_6 Depth=2
	s_or_b32 exec_lo, exec_lo, s42
	v_cmp_class_f32_e64 s43, v11, 0x1f8
	s_and_saveexec_b32 s42, s43
	s_cbranch_execz .LBB0_5
; %bb.19:                               ;   in Loop: Header=BB0_6 Depth=2
	s_and_saveexec_b32 s43, s3
	s_xor_b32 s3, exec_lo, s43
	s_cbranch_execz .LBB0_32
; %bb.20:                               ;   in Loop: Header=BB0_6 Depth=2
	s_mov_b32 s43, exec_lo
	v_cmpx_ge_i32_e64 v0, v5
	s_xor_b32 s43, exec_lo, s43
	s_cbranch_execz .LBB0_22
; %bb.21:                               ;   in Loop: Header=BB0_6 Depth=2
	v_add_co_u32 v5, vcc_lo, s18, v9
	v_add_co_ci_u32_e64 v6, null, s19, v10, vcc_lo
                                        ; implicit-def: $vgpr7
                                        ; implicit-def: $vgpr24
	global_store_dword v[5:6], v11, off
                                        ; implicit-def: $vgpr11
                                        ; implicit-def: $vgpr6
.LBB0_22:                               ;   in Loop: Header=BB0_6 Depth=2
	s_andn2_saveexec_b32 s43, s43
	s_cbranch_execz .LBB0_31
; %bb.23:                               ;   in Loop: Header=BB0_6 Depth=2
	s_mov_b32 s44, exec_lo
	v_cmpx_lt_i32_e64 v7, v24
	s_cbranch_execz .LBB0_30
; %bb.24:                               ;   in Loop: Header=BB0_6 Depth=2
	s_mov_b32 s45, 0
                                        ; implicit-def: $sgpr46
                                        ; implicit-def: $sgpr48
                                        ; implicit-def: $sgpr47
	s_inst_prefetch 0x1
	s_branch .LBB0_26
	.p2align	6
.LBB0_25:                               ;   in Loop: Header=BB0_26 Depth=3
	s_or_b32 exec_lo, exec_lo, s49
	s_and_b32 s49, exec_lo, s48
	s_or_b32 s45, s49, s45
	s_andn2_b32 s46, s46, exec_lo
	s_and_b32 s49, s47, exec_lo
	s_or_b32 s46, s46, s49
	s_andn2_b32 exec_lo, exec_lo, s45
	s_cbranch_execz .LBB0_28
.LBB0_26:                               ;   Parent Loop BB0_3 Depth=1
                                        ;     Parent Loop BB0_6 Depth=2
                                        ; =>    This Inner Loop Header: Depth=3
	v_add_nc_u32_e32 v8, v6, v7
	s_or_b32 s47, s47, exec_lo
	s_or_b32 s48, s48, exec_lo
	s_mov_b32 s49, exec_lo
	v_ashrrev_i32_e32 v9, 31, v8
	v_lshlrev_b64 v[8:9], 2, v[8:9]
	v_add_co_u32 v12, vcc_lo, s28, v8
	v_add_co_ci_u32_e64 v13, null, s29, v9, vcc_lo
	global_load_dword v2, v[12:13], off
	s_waitcnt vmcnt(0)
	v_subrev_nc_u32_e32 v2, s4, v2
	v_cmpx_ne_u32_e64 v2, v0
	s_cbranch_execz .LBB0_25
; %bb.27:                               ;   in Loop: Header=BB0_26 Depth=3
	v_add_nc_u32_e32 v7, 1, v7
	s_andn2_b32 s48, s48, exec_lo
	s_andn2_b32 s47, s47, exec_lo
	v_cmp_ge_i32_e32 vcc_lo, v7, v24
	s_and_b32 s50, vcc_lo, exec_lo
	s_or_b32 s48, s48, s50
	s_branch .LBB0_25
.LBB0_28:                               ;   in Loop: Header=BB0_6 Depth=2
	s_inst_prefetch 0x2
	s_or_b32 exec_lo, exec_lo, s45
	s_and_saveexec_b32 s45, s46
	s_xor_b32 s45, exec_lo, s45
	s_cbranch_execz .LBB0_30
; %bb.29:                               ;   in Loop: Header=BB0_6 Depth=2
	v_add_co_u32 v5, vcc_lo, s36, v8
	v_add_co_ci_u32_e64 v6, null, s37, v9, vcc_lo
	global_store_dword v[5:6], v11, off
.LBB0_30:                               ;   in Loop: Header=BB0_6 Depth=2
	s_or_b32 exec_lo, exec_lo, s44
.LBB0_31:                               ;   in Loop: Header=BB0_6 Depth=2
	s_or_b32 exec_lo, exec_lo, s43
                                        ; implicit-def: $vgpr11
                                        ; implicit-def: $vgpr5_vgpr6
.LBB0_32:                               ;   in Loop: Header=BB0_6 Depth=2
	s_andn2_saveexec_b32 s3, s3
	s_cbranch_execz .LBB0_5
; %bb.33:                               ;   in Loop: Header=BB0_6 Depth=2
	v_cmp_lt_i32_e32 vcc_lo, v2, v17
	s_and_b32 exec_lo, exec_lo, vcc_lo
	s_cbranch_execz .LBB0_5
; %bb.34:                               ;   in Loop: Header=BB0_6 Depth=2
	s_mov_b32 s3, 0
                                        ; implicit-def: $sgpr43
                                        ; implicit-def: $sgpr45
                                        ; implicit-def: $sgpr44
	s_inst_prefetch 0x1
	s_branch .LBB0_36
	.p2align	6
.LBB0_35:                               ;   in Loop: Header=BB0_36 Depth=3
	s_or_b32 exec_lo, exec_lo, s46
	s_and_b32 s46, exec_lo, s45
	s_or_b32 s3, s46, s3
	s_andn2_b32 s43, s43, exec_lo
	s_and_b32 s46, s44, exec_lo
	s_or_b32 s43, s43, s46
	s_andn2_b32 exec_lo, exec_lo, s3
	s_cbranch_execz .LBB0_38
.LBB0_36:                               ;   Parent Loop BB0_3 Depth=1
                                        ;     Parent Loop BB0_6 Depth=2
                                        ; =>    This Inner Loop Header: Depth=3
	v_add_nc_u32_e32 v6, v1, v2
	s_or_b32 s44, s44, exec_lo
	s_or_b32 s45, s45, exec_lo
	s_mov_b32 s46, exec_lo
	v_ashrrev_i32_e32 v7, 31, v6
	v_lshlrev_b64 v[6:7], 2, v[6:7]
	v_add_co_u32 v8, vcc_lo, s12, v6
	v_add_co_ci_u32_e64 v9, null, s13, v7, vcc_lo
	global_load_dword v8, v[8:9], off
	s_waitcnt vmcnt(0)
	v_subrev_nc_u32_e32 v8, s38, v8
	v_cmpx_ne_u32_e64 v8, v5
	s_cbranch_execz .LBB0_35
; %bb.37:                               ;   in Loop: Header=BB0_36 Depth=3
	v_add_nc_u32_e32 v2, 1, v2
	s_andn2_b32 s45, s45, exec_lo
	s_andn2_b32 s44, s44, exec_lo
	v_cmp_ge_i32_e32 vcc_lo, v2, v17
	s_and_b32 s47, vcc_lo, exec_lo
	s_or_b32 s45, s45, s47
	s_branch .LBB0_35
.LBB0_38:                               ;   in Loop: Header=BB0_6 Depth=2
	s_inst_prefetch 0x2
	s_or_b32 exec_lo, exec_lo, s3
	s_and_saveexec_b32 s3, s43
	s_xor_b32 s3, exec_lo, s3
	s_cbranch_execz .LBB0_5
; %bb.39:                               ;   in Loop: Header=BB0_6 Depth=2
	v_add_co_u32 v5, vcc_lo, s6, v6
	v_add_co_ci_u32_e64 v6, null, s7, v7, vcc_lo
	global_store_dword v[5:6], v11, off
	s_branch .LBB0_5
.LBB0_40:                               ;   in Loop: Header=BB0_3 Depth=1
	s_or_b32 exec_lo, exec_lo, s5
	s_and_saveexec_b32 s5, s0
	s_cbranch_execz .LBB0_2
; %bb.41:                               ;   in Loop: Header=BB0_3 Depth=1
	v_mov_b32_e32 v4, v0
	s_mov_b32 s41, 0
	s_branch .LBB0_44
.LBB0_42:                               ;   in Loop: Header=BB0_44 Depth=2
	s_or_b32 exec_lo, exec_lo, s43
	v_add_co_u32 v7, vcc_lo, s18, v5
	v_add_co_ci_u32_e64 v8, null, s19, v6, vcc_lo
	v_add_co_u32 v5, vcc_lo, s16, v5
	v_add_co_ci_u32_e64 v6, null, s17, v6, vcc_lo
	global_load_dword v2, v[7:8], off
	s_waitcnt vmcnt(0)
	global_store_dword v[5:6], v2, off
.LBB0_43:                               ;   in Loop: Header=BB0_44 Depth=2
	s_or_b32 exec_lo, exec_lo, s42
	v_add_nc_u32_e32 v4, 0x400, v4
	v_cmp_le_u32_e32 vcc_lo, s40, v4
	s_or_b32 s41, vcc_lo, s41
	s_andn2_b32 exec_lo, exec_lo, s41
	s_cbranch_execz .LBB0_2
.LBB0_44:                               ;   Parent Loop BB0_3 Depth=1
                                        ; =>  This Loop Header: Depth=2
                                        ;       Child Loop BB0_47 Depth 3
                                        ;       Child Loop BB0_50 Depth 3
	s_mov_b32 s42, exec_lo
	v_cmpx_gt_i32_e64 s35, v4
	s_cbranch_execz .LBB0_43
; %bb.45:                               ;   in Loop: Header=BB0_44 Depth=2
	v_ashrrev_i32_e32 v5, 31, v4
	s_mov_b32 s43, exec_lo
	v_lshlrev_b64 v[5:6], 2, v[4:5]
	v_add_co_u32 v7, vcc_lo, s8, v5
	v_add_co_ci_u32_e64 v8, null, s9, v6, vcc_lo
	v_add_co_u32 v9, vcc_lo, s10, v5
	v_add_co_ci_u32_e64 v10, null, s11, v6, vcc_lo
	global_load_dword v7, v[7:8], off
	global_load_dword v2, v[9:10], off
	s_waitcnt vmcnt(0)
	v_cmpx_lt_i32_e64 v7, v2
	s_cbranch_execz .LBB0_48
; %bb.46:                               ;   in Loop: Header=BB0_44 Depth=2
	v_subrev_nc_u32_e32 v7, s38, v7
	v_subrev_nc_u32_e32 v2, s38, v2
	s_mov_b32 s44, 0
	v_ashrrev_i32_e32 v8, 31, v7
	v_lshlrev_b64 v[10:11], 2, v[7:8]
	v_add_co_u32 v8, vcc_lo, s6, v10
	v_add_co_ci_u32_e64 v9, null, s7, v11, vcc_lo
	v_add_co_u32 v10, vcc_lo, s14, v10
	v_add_co_ci_u32_e64 v11, null, s15, v11, vcc_lo
	.p2align	6
.LBB0_47:                               ;   Parent Loop BB0_3 Depth=1
                                        ;     Parent Loop BB0_44 Depth=2
                                        ; =>    This Inner Loop Header: Depth=3
	global_load_dword v12, v[8:9], off
	v_add_nc_u32_e32 v7, 1, v7
	v_add_co_u32 v8, vcc_lo, v8, 4
	v_add_co_ci_u32_e64 v9, null, 0, v9, vcc_lo
	v_cmp_ge_i32_e32 vcc_lo, v7, v2
	s_or_b32 s44, vcc_lo, s44
	s_waitcnt vmcnt(0)
	global_store_dword v[10:11], v12, off
	v_add_co_u32 v10, s3, v10, 4
	v_add_co_ci_u32_e64 v11, null, 0, v11, s3
	s_andn2_b32 exec_lo, exec_lo, s44
	s_cbranch_execnz .LBB0_47
.LBB0_48:                               ;   in Loop: Header=BB0_44 Depth=2
	s_or_b32 exec_lo, exec_lo, s43
	v_add_co_u32 v7, vcc_lo, s24, v5
	v_add_co_ci_u32_e64 v8, null, s25, v6, vcc_lo
	v_add_co_u32 v9, vcc_lo, s26, v5
	v_add_co_ci_u32_e64 v10, null, s27, v6, vcc_lo
	global_load_dword v7, v[7:8], off
	global_load_dword v2, v[9:10], off
	s_mov_b32 s43, exec_lo
	s_waitcnt vmcnt(0)
	v_cmpx_lt_i32_e64 v7, v2
	s_cbranch_execz .LBB0_42
; %bb.49:                               ;   in Loop: Header=BB0_44 Depth=2
	v_subrev_nc_u32_e32 v7, s4, v7
	v_subrev_nc_u32_e32 v2, s4, v2
	s_mov_b32 s44, 0
	v_ashrrev_i32_e32 v8, 31, v7
	v_lshlrev_b64 v[10:11], 2, v[7:8]
	v_add_co_u32 v8, vcc_lo, s36, v10
	v_add_co_ci_u32_e64 v9, null, s37, v11, vcc_lo
	v_add_co_u32 v10, vcc_lo, s30, v10
	v_add_co_ci_u32_e64 v11, null, s31, v11, vcc_lo
	.p2align	6
.LBB0_50:                               ;   Parent Loop BB0_3 Depth=1
                                        ;     Parent Loop BB0_44 Depth=2
                                        ; =>    This Inner Loop Header: Depth=3
	global_load_dword v12, v[8:9], off
	v_add_nc_u32_e32 v7, 1, v7
	v_add_co_u32 v8, vcc_lo, v8, 4
	v_add_co_ci_u32_e64 v9, null, 0, v9, vcc_lo
	v_cmp_ge_i32_e32 vcc_lo, v7, v2
	s_or_b32 s44, vcc_lo, s44
	s_waitcnt vmcnt(0)
	global_store_dword v[10:11], v12, off
	v_add_co_u32 v10, s3, v10, 4
	v_add_co_ci_u32_e64 v11, null, 0, v11, s3
	s_andn2_b32 exec_lo, exec_lo, s44
	s_cbranch_execnz .LBB0_50
	s_branch .LBB0_42
.LBB0_51:
	s_endpgm
	.section	.rodata,"a",@progbits
	.p2align	6, 0x0
	.amdhsa_kernel _ZN9rocsparseL14kernel_freerunILi1024ELi1EfiiEEvT3_S1_T2_PKS2_S4_PKS1_PKT1_21rocsparse_index_base_S4_S4_S6_PS7_SB_SA_S4_S4_S6_SB_SB_SA_SB_SB_
		.amdhsa_group_segment_fixed_size 0
		.amdhsa_private_segment_fixed_size 0
		.amdhsa_kernarg_size 168
		.amdhsa_user_sgpr_count 6
		.amdhsa_user_sgpr_private_segment_buffer 1
		.amdhsa_user_sgpr_dispatch_ptr 0
		.amdhsa_user_sgpr_queue_ptr 0
		.amdhsa_user_sgpr_kernarg_segment_ptr 1
		.amdhsa_user_sgpr_dispatch_id 0
		.amdhsa_user_sgpr_flat_scratch_init 0
		.amdhsa_user_sgpr_private_segment_size 0
		.amdhsa_wavefront_size32 1
		.amdhsa_uses_dynamic_stack 0
		.amdhsa_system_sgpr_private_segment_wavefront_offset 0
		.amdhsa_system_sgpr_workgroup_id_x 1
		.amdhsa_system_sgpr_workgroup_id_y 0
		.amdhsa_system_sgpr_workgroup_id_z 0
		.amdhsa_system_sgpr_workgroup_info 0
		.amdhsa_system_vgpr_workitem_id 0
		.amdhsa_next_free_vgpr 34
		.amdhsa_next_free_sgpr 51
		.amdhsa_reserve_vcc 1
		.amdhsa_reserve_flat_scratch 0
		.amdhsa_float_round_mode_32 0
		.amdhsa_float_round_mode_16_64 0
		.amdhsa_float_denorm_mode_32 3
		.amdhsa_float_denorm_mode_16_64 3
		.amdhsa_dx10_clamp 1
		.amdhsa_ieee_mode 1
		.amdhsa_fp16_overflow 0
		.amdhsa_workgroup_processor_mode 1
		.amdhsa_memory_ordered 1
		.amdhsa_forward_progress 1
		.amdhsa_shared_vgpr_count 0
		.amdhsa_exception_fp_ieee_invalid_op 0
		.amdhsa_exception_fp_denorm_src 0
		.amdhsa_exception_fp_ieee_div_zero 0
		.amdhsa_exception_fp_ieee_overflow 0
		.amdhsa_exception_fp_ieee_underflow 0
		.amdhsa_exception_fp_ieee_inexact 0
		.amdhsa_exception_int_div_zero 0
	.end_amdhsa_kernel
	.section	.text._ZN9rocsparseL14kernel_freerunILi1024ELi1EfiiEEvT3_S1_T2_PKS2_S4_PKS1_PKT1_21rocsparse_index_base_S4_S4_S6_PS7_SB_SA_S4_S4_S6_SB_SB_SA_SB_SB_,"axG",@progbits,_ZN9rocsparseL14kernel_freerunILi1024ELi1EfiiEEvT3_S1_T2_PKS2_S4_PKS1_PKT1_21rocsparse_index_base_S4_S4_S6_PS7_SB_SA_S4_S4_S6_SB_SB_SA_SB_SB_,comdat
.Lfunc_end0:
	.size	_ZN9rocsparseL14kernel_freerunILi1024ELi1EfiiEEvT3_S1_T2_PKS2_S4_PKS1_PKT1_21rocsparse_index_base_S4_S4_S6_PS7_SB_SA_S4_S4_S6_SB_SB_SA_SB_SB_, .Lfunc_end0-_ZN9rocsparseL14kernel_freerunILi1024ELi1EfiiEEvT3_S1_T2_PKS2_S4_PKS1_PKT1_21rocsparse_index_base_S4_S4_S6_PS7_SB_SA_S4_S4_S6_SB_SB_SA_SB_SB_
                                        ; -- End function
	.set _ZN9rocsparseL14kernel_freerunILi1024ELi1EfiiEEvT3_S1_T2_PKS2_S4_PKS1_PKT1_21rocsparse_index_base_S4_S4_S6_PS7_SB_SA_S4_S4_S6_SB_SB_SA_SB_SB_.num_vgpr, 34
	.set _ZN9rocsparseL14kernel_freerunILi1024ELi1EfiiEEvT3_S1_T2_PKS2_S4_PKS1_PKT1_21rocsparse_index_base_S4_S4_S6_PS7_SB_SA_S4_S4_S6_SB_SB_SA_SB_SB_.num_agpr, 0
	.set _ZN9rocsparseL14kernel_freerunILi1024ELi1EfiiEEvT3_S1_T2_PKS2_S4_PKS1_PKT1_21rocsparse_index_base_S4_S4_S6_PS7_SB_SA_S4_S4_S6_SB_SB_SA_SB_SB_.numbered_sgpr, 51
	.set _ZN9rocsparseL14kernel_freerunILi1024ELi1EfiiEEvT3_S1_T2_PKS2_S4_PKS1_PKT1_21rocsparse_index_base_S4_S4_S6_PS7_SB_SA_S4_S4_S6_SB_SB_SA_SB_SB_.num_named_barrier, 0
	.set _ZN9rocsparseL14kernel_freerunILi1024ELi1EfiiEEvT3_S1_T2_PKS2_S4_PKS1_PKT1_21rocsparse_index_base_S4_S4_S6_PS7_SB_SA_S4_S4_S6_SB_SB_SA_SB_SB_.private_seg_size, 0
	.set _ZN9rocsparseL14kernel_freerunILi1024ELi1EfiiEEvT3_S1_T2_PKS2_S4_PKS1_PKT1_21rocsparse_index_base_S4_S4_S6_PS7_SB_SA_S4_S4_S6_SB_SB_SA_SB_SB_.uses_vcc, 1
	.set _ZN9rocsparseL14kernel_freerunILi1024ELi1EfiiEEvT3_S1_T2_PKS2_S4_PKS1_PKT1_21rocsparse_index_base_S4_S4_S6_PS7_SB_SA_S4_S4_S6_SB_SB_SA_SB_SB_.uses_flat_scratch, 0
	.set _ZN9rocsparseL14kernel_freerunILi1024ELi1EfiiEEvT3_S1_T2_PKS2_S4_PKS1_PKT1_21rocsparse_index_base_S4_S4_S6_PS7_SB_SA_S4_S4_S6_SB_SB_SA_SB_SB_.has_dyn_sized_stack, 0
	.set _ZN9rocsparseL14kernel_freerunILi1024ELi1EfiiEEvT3_S1_T2_PKS2_S4_PKS1_PKT1_21rocsparse_index_base_S4_S4_S6_PS7_SB_SA_S4_S4_S6_SB_SB_SA_SB_SB_.has_recursion, 0
	.set _ZN9rocsparseL14kernel_freerunILi1024ELi1EfiiEEvT3_S1_T2_PKS2_S4_PKS1_PKT1_21rocsparse_index_base_S4_S4_S6_PS7_SB_SA_S4_S4_S6_SB_SB_SA_SB_SB_.has_indirect_call, 0
	.section	.AMDGPU.csdata,"",@progbits
; Kernel info:
; codeLenInByte = 2256
; TotalNumSgprs: 53
; NumVgprs: 34
; ScratchSize: 0
; MemoryBound: 0
; FloatMode: 240
; IeeeMode: 1
; LDSByteSize: 0 bytes/workgroup (compile time only)
; SGPRBlocks: 0
; VGPRBlocks: 4
; NumSGPRsForWavesPerEU: 53
; NumVGPRsForWavesPerEU: 34
; Occupancy: 16
; WaveLimiterHint : 1
; COMPUTE_PGM_RSRC2:SCRATCH_EN: 0
; COMPUTE_PGM_RSRC2:USER_SGPR: 6
; COMPUTE_PGM_RSRC2:TRAP_HANDLER: 0
; COMPUTE_PGM_RSRC2:TGID_X_EN: 1
; COMPUTE_PGM_RSRC2:TGID_Y_EN: 0
; COMPUTE_PGM_RSRC2:TGID_Z_EN: 0
; COMPUTE_PGM_RSRC2:TIDIG_COMP_CNT: 0
	.section	.text._ZN9rocsparseL14kernel_freerunILi1024ELi2EfiiEEvT3_S1_T2_PKS2_S4_PKS1_PKT1_21rocsparse_index_base_S4_S4_S6_PS7_SB_SA_S4_S4_S6_SB_SB_SA_SB_SB_,"axG",@progbits,_ZN9rocsparseL14kernel_freerunILi1024ELi2EfiiEEvT3_S1_T2_PKS2_S4_PKS1_PKT1_21rocsparse_index_base_S4_S4_S6_PS7_SB_SA_S4_S4_S6_SB_SB_SA_SB_SB_,comdat
	.globl	_ZN9rocsparseL14kernel_freerunILi1024ELi2EfiiEEvT3_S1_T2_PKS2_S4_PKS1_PKT1_21rocsparse_index_base_S4_S4_S6_PS7_SB_SA_S4_S4_S6_SB_SB_SA_SB_SB_ ; -- Begin function _ZN9rocsparseL14kernel_freerunILi1024ELi2EfiiEEvT3_S1_T2_PKS2_S4_PKS1_PKT1_21rocsparse_index_base_S4_S4_S6_PS7_SB_SA_S4_S4_S6_SB_SB_SA_SB_SB_
	.p2align	8
	.type	_ZN9rocsparseL14kernel_freerunILi1024ELi2EfiiEEvT3_S1_T2_PKS2_S4_PKS1_PKT1_21rocsparse_index_base_S4_S4_S6_PS7_SB_SA_S4_S4_S6_SB_SB_SA_SB_SB_,@function
_ZN9rocsparseL14kernel_freerunILi1024ELi2EfiiEEvT3_S1_T2_PKS2_S4_PKS1_PKT1_21rocsparse_index_base_S4_S4_S6_PS7_SB_SA_S4_S4_S6_SB_SB_SA_SB_SB_: ; @_ZN9rocsparseL14kernel_freerunILi1024ELi2EfiiEEvT3_S1_T2_PKS2_S4_PKS1_PKT1_21rocsparse_index_base_S4_S4_S6_PS7_SB_SA_S4_S4_S6_SB_SB_SA_SB_SB_
; %bb.0:
	s_load_dwordx2 s[34:35], s[4:5], 0x0
	v_lshrrev_b32_e32 v1, 1, v0
	s_lshl_b32 s46, s6, 10
	s_mov_b32 s7, 0
	v_or_b32_e32 v1, s46, v1
	s_waitcnt lgkmcnt(0)
	v_cmp_gt_i32_e32 vcc_lo, s35, v1
	s_cmp_gt_i32 s34, 0
	s_cselect_b32 s0, -1, 0
	s_and_b32 s0, vcc_lo, s0
	s_and_saveexec_b32 s1, s0
	s_cbranch_execz .LBB1_90
; %bb.1:
	s_clause 0x1
	s_load_dwordx8 s[8:15], s[4:5], 0x38
	s_load_dwordx8 s[16:23], s[4:5], 0x10
	v_ashrrev_i32_e32 v2, 31, v1
	s_load_dwordx8 s[24:31], s[4:5], 0x68
	s_addk_i32 s46, 0x400
	v_cmp_gt_u32_e64 s0, s46, v1
	v_lshlrev_b64 v[2:3], 2, v[1:2]
	s_waitcnt lgkmcnt(0)
	v_add_co_u32 v4, vcc_lo, s8, v2
	v_add_co_ci_u32_e64 v5, null, s9, v3, vcc_lo
	v_add_co_u32 v6, vcc_lo, s10, v2
	v_add_co_ci_u32_e64 v7, null, s11, v3, vcc_lo
	global_load_dword v13, v[4:5], off
	v_add_co_u32 v4, vcc_lo, s16, v2
	v_add_co_ci_u32_e64 v5, null, s17, v3, vcc_lo
	v_add_co_u32 v2, vcc_lo, s18, v2
	v_add_co_ci_u32_e64 v3, null, s19, v3, vcc_lo
	global_load_dword v14, v[6:7], off
	global_load_dword v15, v[4:5], off
	;; [unrolled: 1-line block ×3, first 2 shown]
	s_clause 0x2
	s_load_dword s33, s[4:5], 0x30
	s_load_dword s44, s[4:5], 0x60
	;; [unrolled: 1-line block ×3, first 2 shown]
	v_or_b32_e32 v2, 0x200, v1
	s_clause 0x2
	s_load_dwordx2 s[40:41], s[4:5], 0x88
	s_load_dwordx2 s[42:43], s[4:5], 0x58
	s_load_dwordx4 s[36:39], s[4:5], 0x98
	v_and_b32_e32 v4, 1, v0
	v_ashrrev_i32_e32 v3, 31, v2
	v_cmp_gt_i32_e64 s2, s35, v2
	v_cmp_eq_u32_e64 s1, 0, v4
	v_lshlrev_b64 v[11:12], 2, v[2:3]
	v_add_co_u32 v3, vcc_lo, s10, v11
	s_waitcnt lgkmcnt(0)
	v_subrev_nc_u32_e32 v0, s33, v4
	v_subrev_nc_u32_e32 v30, s44, v4
	;; [unrolled: 1-line block ×3, first 2 shown]
	v_add_co_ci_u32_e64 v4, null, s11, v12, vcc_lo
	v_add_co_u32 v7, vcc_lo, s8, v11
	v_add_co_ci_u32_e64 v8, null, s9, v12, vcc_lo
	v_add_co_u32 v9, vcc_lo, s16, v11
	;; [unrolled: 2-line block ×3, first 2 shown]
	v_add_co_ci_u32_e64 v12, null, s19, v12, vcc_lo
	s_waitcnt vmcnt(3)
	v_subrev_nc_u32_e32 v5, s44, v13
	v_ashrrev_i32_e32 v6, 31, v5
	s_waitcnt vmcnt(2)
	v_sub_nc_u32_e32 v32, v14, v13
	s_waitcnt vmcnt(1)
	v_add_nc_u32_e32 v33, v0, v15
	v_lshlrev_b64 v[13:14], 2, v[5:6]
	s_waitcnt vmcnt(0)
	v_subrev_nc_u32_e32 v34, s33, v16
	v_cmp_lt_i32_e64 s4, 0, v32
	v_cmp_lt_i32_e64 s3, v33, v34
	v_add_co_u32 v6, vcc_lo, s12, v13
	v_add_co_ci_u32_e64 v35, null, s13, v14, vcc_lo
	v_add_co_u32 v36, vcc_lo, s14, v13
	v_add_co_ci_u32_e64 v37, null, s15, v14, vcc_lo
	v_mov_b32_e32 v14, 0
	s_branch .LBB1_3
.LBB1_2:                                ;   in Loop: Header=BB1_3 Depth=1
	s_or_b32 exec_lo, exec_lo, s6
	s_add_i32 s7, s7, 1
	s_cmp_eq_u32 s7, s34
	s_cbranch_scc1 .LBB1_90
.LBB1_3:                                ; =>This Loop Header: Depth=1
                                        ;     Child Loop BB1_6 Depth 2
                                        ;       Child Loop BB1_10 Depth 3
                                        ;       Child Loop BB1_26 Depth 3
	;; [unrolled: 1-line block ×3, first 2 shown]
                                        ;     Child Loop BB1_44 Depth 2
                                        ;       Child Loop BB1_48 Depth 3
                                        ;       Child Loop BB1_64 Depth 3
	;; [unrolled: 1-line block ×3, first 2 shown]
                                        ;     Child Loop BB1_81 Depth 2
                                        ;       Child Loop BB1_84 Depth 3
                                        ;       Child Loop BB1_87 Depth 3
	s_and_saveexec_b32 s6, s3
	s_cbranch_execz .LBB1_40
; %bb.4:                                ;   in Loop: Header=BB1_3 Depth=1
	v_mov_b32_e32 v15, v33
	s_mov_b32 s16, 0
	s_branch .LBB1_6
.LBB1_5:                                ;   in Loop: Header=BB1_6 Depth=2
	s_or_b32 exec_lo, exec_lo, s17
	v_add_nc_u32_e32 v15, 2, v15
	v_cmp_ge_i32_e32 vcc_lo, v15, v34
	s_or_b32 s16, vcc_lo, s16
	s_andn2_b32 exec_lo, exec_lo, s16
	s_cbranch_execz .LBB1_40
.LBB1_6:                                ;   Parent Loop BB1_3 Depth=1
                                        ; =>  This Loop Header: Depth=2
                                        ;       Child Loop BB1_10 Depth 3
                                        ;       Child Loop BB1_26 Depth 3
	;; [unrolled: 1-line block ×3, first 2 shown]
	v_ashrrev_i32_e32 v16, 31, v15
	v_mov_b32_e32 v29, 0
	v_lshlrev_b64 v[22:23], 2, v[15:16]
	v_add_co_u32 v16, vcc_lo, s20, v22
	v_add_co_ci_u32_e64 v17, null, s21, v23, vcc_lo
	global_load_dword v13, v[16:17], off
	s_waitcnt vmcnt(0)
	v_subrev_nc_u32_e32 v16, s33, v13
	v_ashrrev_i32_e32 v17, 31, v16
	v_lshlrev_b64 v[20:21], 2, v[16:17]
	v_add_co_u32 v17, vcc_lo, s24, v20
	v_add_co_ci_u32_e64 v18, null, s25, v21, vcc_lo
	v_add_co_u32 v24, vcc_lo, s26, v20
	v_add_co_ci_u32_e64 v25, null, s27, v21, vcc_lo
	global_load_dword v13, v[17:18], off
	global_load_dword v19, v[24:25], off
	v_mov_b32_e32 v18, 0
	s_waitcnt vmcnt(1)
	v_subrev_nc_u32_e32 v17, s45, v13
	s_waitcnt vmcnt(0)
	v_sub_nc_u32_e32 v28, v19, v13
	v_mov_b32_e32 v13, v18
	s_and_saveexec_b32 s17, s4
	s_cbranch_execz .LBB1_14
; %bb.7:                                ;   in Loop: Header=BB1_6 Depth=2
	v_ashrrev_i32_e32 v18, 31, v17
	v_mov_b32_e32 v29, 0
	v_mov_b32_e32 v13, 0
	s_mov_b32 s18, 0
                                        ; implicit-def: $sgpr19
	v_lshlrev_b64 v[18:19], 2, v[17:18]
	v_add_co_u32 v38, vcc_lo, s28, v18
	v_add_co_ci_u32_e64 v39, null, s29, v19, vcc_lo
	v_add_co_u32 v40, vcc_lo, s30, v18
	v_add_co_ci_u32_e64 v41, null, s31, v19, vcc_lo
	v_mov_b32_e32 v18, 0
	s_branch .LBB1_10
.LBB1_8:                                ;   in Loop: Header=BB1_10 Depth=3
	s_or_b32 exec_lo, exec_lo, s5
	v_cmp_le_i32_e32 vcc_lo, v19, v42
	v_cmp_ge_i32_e64 s5, v19, v42
	v_add_co_ci_u32_e64 v13, null, 0, v13, vcc_lo
	v_add_co_ci_u32_e64 v18, null, 0, v18, s5
	s_andn2_b32 s5, s19, exec_lo
	v_cmp_ge_i32_e32 vcc_lo, v13, v32
	s_and_b32 s19, vcc_lo, exec_lo
	s_or_b32 s19, s5, s19
.LBB1_9:                                ;   in Loop: Header=BB1_10 Depth=3
	s_or_b32 exec_lo, exec_lo, s47
	s_and_b32 s5, exec_lo, s19
	s_or_b32 s18, s5, s18
	s_andn2_b32 exec_lo, exec_lo, s18
	s_cbranch_execz .LBB1_13
.LBB1_10:                               ;   Parent Loop BB1_3 Depth=1
                                        ;     Parent Loop BB1_6 Depth=2
                                        ; =>    This Inner Loop Header: Depth=3
	s_or_b32 s19, s19, exec_lo
	s_mov_b32 s47, exec_lo
	v_cmpx_lt_i32_e64 v18, v28
	s_cbranch_execz .LBB1_9
; %bb.11:                               ;   in Loop: Header=BB1_10 Depth=3
	v_mov_b32_e32 v19, v14
	v_lshlrev_b64 v[26:27], 2, v[13:14]
	s_mov_b32 s5, exec_lo
	v_lshlrev_b64 v[24:25], 2, v[18:19]
	v_add_co_u32 v42, vcc_lo, v6, v26
	v_add_co_ci_u32_e64 v43, null, v35, v27, vcc_lo
	v_add_co_u32 v44, vcc_lo, v38, v24
	v_add_co_ci_u32_e64 v45, null, v39, v25, vcc_lo
	global_load_dword v19, v[42:43], off
	global_load_dword v42, v[44:45], off
	s_waitcnt vmcnt(1)
	v_subrev_nc_u32_e32 v19, s44, v19
	s_waitcnt vmcnt(0)
	v_subrev_nc_u32_e32 v42, s45, v42
	v_cmpx_eq_u32_e64 v19, v42
	s_cbranch_execz .LBB1_8
; %bb.12:                               ;   in Loop: Header=BB1_10 Depth=3
	v_add_co_u32 v26, vcc_lo, v36, v26
	v_add_co_ci_u32_e64 v27, null, v37, v27, vcc_lo
	v_add_co_u32 v24, vcc_lo, v40, v24
	v_add_co_ci_u32_e64 v25, null, v41, v25, vcc_lo
	global_load_dword v26, v[26:27], off
	global_load_dword v24, v[24:25], off
	s_waitcnt vmcnt(0)
	v_fmac_f32_e32 v29, v26, v24
	s_branch .LBB1_8
.LBB1_13:                               ;   in Loop: Header=BB1_6 Depth=2
	s_or_b32 exec_lo, exec_lo, s18
.LBB1_14:                               ;   in Loop: Header=BB1_6 Depth=2
	s_or_b32 exec_lo, exec_lo, s17
	v_add_co_u32 v22, vcc_lo, s22, v22
	v_add_co_ci_u32_e64 v23, null, s23, v23, vcc_lo
	v_cmp_le_i32_e64 s5, v1, v16
	s_mov_b32 s17, exec_lo
	global_load_dword v19, v[22:23], off
	s_waitcnt vmcnt(0)
	v_sub_f32_e32 v22, v19, v29
	v_cmpx_gt_i32_e64 v1, v16
	s_cbranch_execz .LBB1_18
; %bb.15:                               ;   in Loop: Header=BB1_6 Depth=2
	v_add_co_u32 v23, vcc_lo, s36, v20
	v_add_co_ci_u32_e64 v24, null, s37, v21, vcc_lo
	s_mov_b32 s18, exec_lo
	global_load_dword v19, v[23:24], off
	v_mov_b32_e32 v23, 0
	s_waitcnt vmcnt(0)
	v_cmpx_lg_f32_e32 0, v19
	s_cbranch_execz .LBB1_17
; %bb.16:                               ;   in Loop: Header=BB1_6 Depth=2
	v_div_scale_f32 v23, null, v19, v19, v22
	v_rcp_f32_e32 v24, v23
	v_fma_f32 v25, -v23, v24, 1.0
	v_fmac_f32_e32 v24, v25, v24
	v_div_scale_f32 v25, vcc_lo, v22, v19, v22
	v_mul_f32_e32 v26, v25, v24
	v_fma_f32 v27, -v23, v26, v25
	v_fmac_f32_e32 v26, v27, v24
	v_fma_f32 v23, -v23, v26, v25
	v_div_fmas_f32 v23, v23, v24, v26
	v_div_fixup_f32 v23, v23, v19, v22
.LBB1_17:                               ;   in Loop: Header=BB1_6 Depth=2
	s_or_b32 exec_lo, exec_lo, s18
	v_mov_b32_e32 v22, v23
.LBB1_18:                               ;   in Loop: Header=BB1_6 Depth=2
	s_or_b32 exec_lo, exec_lo, s17
	v_cmp_class_f32_e64 s18, v22, 0x1f8
	s_and_saveexec_b32 s17, s18
	s_cbranch_execz .LBB1_5
; %bb.19:                               ;   in Loop: Header=BB1_6 Depth=2
	s_and_saveexec_b32 s18, s5
	s_xor_b32 s5, exec_lo, s18
	s_cbranch_execz .LBB1_32
; %bb.20:                               ;   in Loop: Header=BB1_6 Depth=2
	s_mov_b32 s18, exec_lo
	v_cmpx_ge_i32_e64 v1, v16
	s_xor_b32 s18, exec_lo, s18
	s_cbranch_execz .LBB1_22
; %bb.21:                               ;   in Loop: Header=BB1_6 Depth=2
	v_add_co_u32 v16, vcc_lo, s38, v20
	v_add_co_ci_u32_e64 v17, null, s39, v21, vcc_lo
                                        ; implicit-def: $vgpr18
                                        ; implicit-def: $vgpr28
	global_store_dword v[16:17], v22, off
                                        ; implicit-def: $vgpr22
                                        ; implicit-def: $vgpr17
.LBB1_22:                               ;   in Loop: Header=BB1_6 Depth=2
	s_andn2_saveexec_b32 s18, s18
	s_cbranch_execz .LBB1_31
; %bb.23:                               ;   in Loop: Header=BB1_6 Depth=2
	s_mov_b32 s19, exec_lo
	v_cmpx_lt_i32_e64 v18, v28
	s_cbranch_execz .LBB1_30
; %bb.24:                               ;   in Loop: Header=BB1_6 Depth=2
	s_mov_b32 s47, 0
                                        ; implicit-def: $sgpr48
                                        ; implicit-def: $sgpr50
                                        ; implicit-def: $sgpr49
	s_inst_prefetch 0x1
	s_branch .LBB1_26
	.p2align	6
.LBB1_25:                               ;   in Loop: Header=BB1_26 Depth=3
	s_or_b32 exec_lo, exec_lo, s51
	s_and_b32 s51, exec_lo, s50
	s_or_b32 s47, s51, s47
	s_andn2_b32 s48, s48, exec_lo
	s_and_b32 s51, s49, exec_lo
	s_or_b32 s48, s48, s51
	s_andn2_b32 exec_lo, exec_lo, s47
	s_cbranch_execz .LBB1_28
.LBB1_26:                               ;   Parent Loop BB1_3 Depth=1
                                        ;     Parent Loop BB1_6 Depth=2
                                        ; =>    This Inner Loop Header: Depth=3
	v_add_nc_u32_e32 v19, v17, v18
	s_or_b32 s49, s49, exec_lo
	s_or_b32 s50, s50, exec_lo
	s_mov_b32 s51, exec_lo
	v_ashrrev_i32_e32 v20, 31, v19
	v_lshlrev_b64 v[19:20], 2, v[19:20]
	v_add_co_u32 v23, vcc_lo, s28, v19
	v_add_co_ci_u32_e64 v24, null, s29, v20, vcc_lo
	global_load_dword v13, v[23:24], off
	s_waitcnt vmcnt(0)
	v_subrev_nc_u32_e32 v13, s45, v13
	v_cmpx_ne_u32_e64 v13, v1
	s_cbranch_execz .LBB1_25
; %bb.27:                               ;   in Loop: Header=BB1_26 Depth=3
	v_add_nc_u32_e32 v18, 1, v18
	s_andn2_b32 s50, s50, exec_lo
	s_andn2_b32 s49, s49, exec_lo
	v_cmp_ge_i32_e32 vcc_lo, v18, v28
	s_and_b32 s52, vcc_lo, exec_lo
	s_or_b32 s50, s50, s52
	s_branch .LBB1_25
.LBB1_28:                               ;   in Loop: Header=BB1_6 Depth=2
	s_inst_prefetch 0x2
	s_or_b32 exec_lo, exec_lo, s47
	s_and_saveexec_b32 s47, s48
	s_xor_b32 s47, exec_lo, s47
	s_cbranch_execz .LBB1_30
; %bb.29:                               ;   in Loop: Header=BB1_6 Depth=2
	v_add_co_u32 v16, vcc_lo, s40, v19
	v_add_co_ci_u32_e64 v17, null, s41, v20, vcc_lo
	global_store_dword v[16:17], v22, off
.LBB1_30:                               ;   in Loop: Header=BB1_6 Depth=2
	s_or_b32 exec_lo, exec_lo, s19
.LBB1_31:                               ;   in Loop: Header=BB1_6 Depth=2
	s_or_b32 exec_lo, exec_lo, s18
                                        ; implicit-def: $vgpr22
                                        ; implicit-def: $vgpr16_vgpr17
.LBB1_32:                               ;   in Loop: Header=BB1_6 Depth=2
	s_andn2_saveexec_b32 s5, s5
	s_cbranch_execz .LBB1_5
; %bb.33:                               ;   in Loop: Header=BB1_6 Depth=2
	v_cmp_lt_i32_e32 vcc_lo, v13, v32
	s_and_b32 exec_lo, exec_lo, vcc_lo
	s_cbranch_execz .LBB1_5
; %bb.34:                               ;   in Loop: Header=BB1_6 Depth=2
	s_mov_b32 s5, 0
                                        ; implicit-def: $sgpr18
                                        ; implicit-def: $sgpr47
                                        ; implicit-def: $sgpr19
	s_inst_prefetch 0x1
	s_branch .LBB1_36
	.p2align	6
.LBB1_35:                               ;   in Loop: Header=BB1_36 Depth=3
	s_or_b32 exec_lo, exec_lo, s48
	s_and_b32 s48, exec_lo, s47
	s_or_b32 s5, s48, s5
	s_andn2_b32 s18, s18, exec_lo
	s_and_b32 s48, s19, exec_lo
	s_or_b32 s18, s18, s48
	s_andn2_b32 exec_lo, exec_lo, s5
	s_cbranch_execz .LBB1_38
.LBB1_36:                               ;   Parent Loop BB1_3 Depth=1
                                        ;     Parent Loop BB1_6 Depth=2
                                        ; =>    This Inner Loop Header: Depth=3
	v_add_nc_u32_e32 v17, v5, v13
	s_or_b32 s19, s19, exec_lo
	s_or_b32 s47, s47, exec_lo
	s_mov_b32 s48, exec_lo
	v_ashrrev_i32_e32 v18, 31, v17
	v_lshlrev_b64 v[17:18], 2, v[17:18]
	v_add_co_u32 v19, vcc_lo, s12, v17
	v_add_co_ci_u32_e64 v20, null, s13, v18, vcc_lo
	global_load_dword v19, v[19:20], off
	s_waitcnt vmcnt(0)
	v_subrev_nc_u32_e32 v19, s44, v19
	v_cmpx_ne_u32_e64 v19, v16
	s_cbranch_execz .LBB1_35
; %bb.37:                               ;   in Loop: Header=BB1_36 Depth=3
	v_add_nc_u32_e32 v13, 1, v13
	s_andn2_b32 s47, s47, exec_lo
	s_andn2_b32 s19, s19, exec_lo
	v_cmp_ge_i32_e32 vcc_lo, v13, v32
	s_and_b32 s49, vcc_lo, exec_lo
	s_or_b32 s47, s47, s49
	s_branch .LBB1_35
.LBB1_38:                               ;   in Loop: Header=BB1_6 Depth=2
	s_inst_prefetch 0x2
	s_or_b32 exec_lo, exec_lo, s5
	s_and_saveexec_b32 s5, s18
	s_xor_b32 s5, exec_lo, s5
	s_cbranch_execz .LBB1_5
; %bb.39:                               ;   in Loop: Header=BB1_6 Depth=2
	v_add_co_u32 v16, vcc_lo, s42, v17
	v_add_co_ci_u32_e64 v17, null, s43, v18, vcc_lo
	global_store_dword v[16:17], v22, off
	s_branch .LBB1_5
.LBB1_40:                               ;   in Loop: Header=BB1_3 Depth=1
	s_or_b32 exec_lo, exec_lo, s6
	s_and_saveexec_b32 s16, s2
	s_cbranch_execz .LBB1_78
; %bb.41:                               ;   in Loop: Header=BB1_3 Depth=1
	global_load_dword v13, v[9:10], off
	global_load_dword v16, v[11:12], off
	s_waitcnt vmcnt(1)
	v_add_nc_u32_e32 v15, v0, v13
	s_waitcnt vmcnt(0)
	v_subrev_nc_u32_e32 v38, s33, v16
	v_cmp_lt_i32_e32 vcc_lo, v15, v38
	s_and_b32 exec_lo, exec_lo, vcc_lo
	s_cbranch_execz .LBB1_78
; %bb.42:                               ;   in Loop: Header=BB1_3 Depth=1
	global_load_dword v13, v[7:8], off
	global_load_dword v16, v[3:4], off
	s_mov_b32 s17, 0
	s_waitcnt vmcnt(1)
	v_subrev_nc_u32_e32 v17, s44, v13
	s_waitcnt vmcnt(0)
	v_sub_nc_u32_e32 v39, v16, v13
	v_ashrrev_i32_e32 v18, 31, v17
	v_cmp_lt_i32_e64 s5, 0, v39
	v_lshlrev_b64 v[18:19], 2, v[17:18]
	v_add_co_u32 v40, vcc_lo, s12, v18
	v_add_co_ci_u32_e64 v41, null, s13, v19, vcc_lo
	v_add_co_u32 v42, vcc_lo, s14, v18
	v_add_co_ci_u32_e64 v43, null, s15, v19, vcc_lo
	s_branch .LBB1_44
.LBB1_43:                               ;   in Loop: Header=BB1_44 Depth=2
	s_or_b32 exec_lo, exec_lo, s18
	v_add_nc_u32_e32 v15, 2, v15
	v_cmp_ge_i32_e32 vcc_lo, v15, v38
	s_or_b32 s17, vcc_lo, s17
	s_andn2_b32 exec_lo, exec_lo, s17
	s_cbranch_execz .LBB1_78
.LBB1_44:                               ;   Parent Loop BB1_3 Depth=1
                                        ; =>  This Loop Header: Depth=2
                                        ;       Child Loop BB1_48 Depth 3
                                        ;       Child Loop BB1_64 Depth 3
	;; [unrolled: 1-line block ×3, first 2 shown]
	v_ashrrev_i32_e32 v16, 31, v15
	v_mov_b32_e32 v44, 0
	v_lshlrev_b64 v[24:25], 2, v[15:16]
	v_add_co_u32 v18, vcc_lo, s20, v24
	v_add_co_ci_u32_e64 v19, null, s21, v25, vcc_lo
	global_load_dword v13, v[18:19], off
	s_waitcnt vmcnt(0)
	v_subrev_nc_u32_e32 v18, s33, v13
	v_ashrrev_i32_e32 v19, 31, v18
	v_lshlrev_b64 v[22:23], 2, v[18:19]
	v_add_co_u32 v19, vcc_lo, s24, v22
	v_add_co_ci_u32_e64 v20, null, s25, v23, vcc_lo
	v_add_co_u32 v26, vcc_lo, s26, v22
	v_add_co_ci_u32_e64 v27, null, s27, v23, vcc_lo
	global_load_dword v13, v[19:20], off
	global_load_dword v16, v[26:27], off
	v_mov_b32_e32 v20, 0
	s_waitcnt vmcnt(1)
	v_subrev_nc_u32_e32 v19, s45, v13
	s_waitcnt vmcnt(0)
	v_sub_nc_u32_e32 v16, v16, v13
	v_mov_b32_e32 v13, v20
	s_and_saveexec_b32 s18, s5
	s_cbranch_execz .LBB1_52
; %bb.45:                               ;   in Loop: Header=BB1_44 Depth=2
	v_ashrrev_i32_e32 v20, 31, v19
	v_mov_b32_e32 v44, 0
	v_mov_b32_e32 v13, 0
	s_mov_b32 s19, 0
                                        ; implicit-def: $sgpr47
	v_lshlrev_b64 v[20:21], 2, v[19:20]
	v_add_co_u32 v45, vcc_lo, s28, v20
	v_add_co_ci_u32_e64 v46, null, s29, v21, vcc_lo
	v_add_co_u32 v47, vcc_lo, s30, v20
	v_add_co_ci_u32_e64 v48, null, s31, v21, vcc_lo
	v_mov_b32_e32 v20, 0
	s_branch .LBB1_48
.LBB1_46:                               ;   in Loop: Header=BB1_48 Depth=3
	s_or_b32 exec_lo, exec_lo, s6
	v_cmp_le_i32_e32 vcc_lo, v21, v49
	v_cmp_ge_i32_e64 s6, v21, v49
	v_add_co_ci_u32_e64 v13, null, 0, v13, vcc_lo
	v_add_co_ci_u32_e64 v20, null, 0, v20, s6
	s_andn2_b32 s6, s47, exec_lo
	v_cmp_ge_i32_e32 vcc_lo, v13, v39
	s_and_b32 s47, vcc_lo, exec_lo
	s_or_b32 s47, s6, s47
.LBB1_47:                               ;   in Loop: Header=BB1_48 Depth=3
	s_or_b32 exec_lo, exec_lo, s48
	s_and_b32 s6, exec_lo, s47
	s_or_b32 s19, s6, s19
	s_andn2_b32 exec_lo, exec_lo, s19
	s_cbranch_execz .LBB1_51
.LBB1_48:                               ;   Parent Loop BB1_3 Depth=1
                                        ;     Parent Loop BB1_44 Depth=2
                                        ; =>    This Inner Loop Header: Depth=3
	s_or_b32 s47, s47, exec_lo
	s_mov_b32 s48, exec_lo
	v_cmpx_lt_i32_e64 v20, v16
	s_cbranch_execz .LBB1_47
; %bb.49:                               ;   in Loop: Header=BB1_48 Depth=3
	v_mov_b32_e32 v21, v14
	v_lshlrev_b64 v[28:29], 2, v[13:14]
	s_mov_b32 s6, exec_lo
	v_lshlrev_b64 v[26:27], 2, v[20:21]
	v_add_co_u32 v49, vcc_lo, v40, v28
	v_add_co_ci_u32_e64 v50, null, v41, v29, vcc_lo
	v_add_co_u32 v51, vcc_lo, v45, v26
	v_add_co_ci_u32_e64 v52, null, v46, v27, vcc_lo
	global_load_dword v21, v[49:50], off
	global_load_dword v49, v[51:52], off
	s_waitcnt vmcnt(1)
	v_subrev_nc_u32_e32 v21, s44, v21
	s_waitcnt vmcnt(0)
	v_subrev_nc_u32_e32 v49, s45, v49
	v_cmpx_eq_u32_e64 v21, v49
	s_cbranch_execz .LBB1_46
; %bb.50:                               ;   in Loop: Header=BB1_48 Depth=3
	v_add_co_u32 v28, vcc_lo, v42, v28
	v_add_co_ci_u32_e64 v29, null, v43, v29, vcc_lo
	v_add_co_u32 v26, vcc_lo, v47, v26
	v_add_co_ci_u32_e64 v27, null, v48, v27, vcc_lo
	global_load_dword v28, v[28:29], off
	global_load_dword v26, v[26:27], off
	s_waitcnt vmcnt(0)
	v_fmac_f32_e32 v44, v28, v26
	s_branch .LBB1_46
.LBB1_51:                               ;   in Loop: Header=BB1_44 Depth=2
	s_or_b32 exec_lo, exec_lo, s19
.LBB1_52:                               ;   in Loop: Header=BB1_44 Depth=2
	s_or_b32 exec_lo, exec_lo, s18
	v_add_co_u32 v24, vcc_lo, s22, v24
	v_add_co_ci_u32_e64 v25, null, s23, v25, vcc_lo
	v_cmp_le_i32_e64 s6, v2, v18
	s_mov_b32 s18, exec_lo
	global_load_dword v21, v[24:25], off
	s_waitcnt vmcnt(0)
	v_sub_f32_e32 v24, v21, v44
	v_cmpx_gt_i32_e64 v2, v18
	s_cbranch_execz .LBB1_56
; %bb.53:                               ;   in Loop: Header=BB1_44 Depth=2
	v_add_co_u32 v25, vcc_lo, s36, v22
	v_add_co_ci_u32_e64 v26, null, s37, v23, vcc_lo
	s_mov_b32 s19, exec_lo
	global_load_dword v21, v[25:26], off
	v_mov_b32_e32 v25, 0
	s_waitcnt vmcnt(0)
	v_cmpx_lg_f32_e32 0, v21
	s_cbranch_execz .LBB1_55
; %bb.54:                               ;   in Loop: Header=BB1_44 Depth=2
	v_div_scale_f32 v25, null, v21, v21, v24
	v_rcp_f32_e32 v26, v25
	v_fma_f32 v27, -v25, v26, 1.0
	v_fmac_f32_e32 v26, v27, v26
	v_div_scale_f32 v27, vcc_lo, v24, v21, v24
	v_mul_f32_e32 v28, v27, v26
	v_fma_f32 v29, -v25, v28, v27
	v_fmac_f32_e32 v28, v29, v26
	v_fma_f32 v25, -v25, v28, v27
	v_div_fmas_f32 v25, v25, v26, v28
	v_div_fixup_f32 v25, v25, v21, v24
.LBB1_55:                               ;   in Loop: Header=BB1_44 Depth=2
	s_or_b32 exec_lo, exec_lo, s19
	v_mov_b32_e32 v24, v25
.LBB1_56:                               ;   in Loop: Header=BB1_44 Depth=2
	s_or_b32 exec_lo, exec_lo, s18
	v_cmp_class_f32_e64 s19, v24, 0x1f8
	s_and_saveexec_b32 s18, s19
	s_cbranch_execz .LBB1_43
; %bb.57:                               ;   in Loop: Header=BB1_44 Depth=2
	s_and_saveexec_b32 s19, s6
	s_xor_b32 s6, exec_lo, s19
	s_cbranch_execz .LBB1_70
; %bb.58:                               ;   in Loop: Header=BB1_44 Depth=2
	s_mov_b32 s19, exec_lo
	v_cmpx_ge_i32_e64 v2, v18
	s_xor_b32 s19, exec_lo, s19
	s_cbranch_execz .LBB1_60
; %bb.59:                               ;   in Loop: Header=BB1_44 Depth=2
	v_add_co_u32 v18, vcc_lo, s38, v22
	v_add_co_ci_u32_e64 v19, null, s39, v23, vcc_lo
                                        ; implicit-def: $vgpr20
                                        ; implicit-def: $vgpr16
	global_store_dword v[18:19], v24, off
                                        ; implicit-def: $vgpr24
                                        ; implicit-def: $vgpr19
.LBB1_60:                               ;   in Loop: Header=BB1_44 Depth=2
	s_andn2_saveexec_b32 s19, s19
	s_cbranch_execz .LBB1_69
; %bb.61:                               ;   in Loop: Header=BB1_44 Depth=2
	s_mov_b32 s47, exec_lo
	v_cmpx_lt_i32_e64 v20, v16
	s_cbranch_execz .LBB1_68
; %bb.62:                               ;   in Loop: Header=BB1_44 Depth=2
	s_mov_b32 s48, 0
                                        ; implicit-def: $sgpr49
                                        ; implicit-def: $sgpr51
                                        ; implicit-def: $sgpr50
	s_inst_prefetch 0x1
	s_branch .LBB1_64
	.p2align	6
.LBB1_63:                               ;   in Loop: Header=BB1_64 Depth=3
	s_or_b32 exec_lo, exec_lo, s52
	s_and_b32 s52, exec_lo, s51
	s_or_b32 s48, s52, s48
	s_andn2_b32 s49, s49, exec_lo
	s_and_b32 s52, s50, exec_lo
	s_or_b32 s49, s49, s52
	s_andn2_b32 exec_lo, exec_lo, s48
	s_cbranch_execz .LBB1_66
.LBB1_64:                               ;   Parent Loop BB1_3 Depth=1
                                        ;     Parent Loop BB1_44 Depth=2
                                        ; =>    This Inner Loop Header: Depth=3
	v_add_nc_u32_e32 v21, v19, v20
	s_or_b32 s50, s50, exec_lo
	s_or_b32 s51, s51, exec_lo
	s_mov_b32 s52, exec_lo
	v_ashrrev_i32_e32 v22, 31, v21
	v_lshlrev_b64 v[21:22], 2, v[21:22]
	v_add_co_u32 v25, vcc_lo, s28, v21
	v_add_co_ci_u32_e64 v26, null, s29, v22, vcc_lo
	global_load_dword v13, v[25:26], off
	s_waitcnt vmcnt(0)
	v_subrev_nc_u32_e32 v13, s45, v13
	v_cmpx_ne_u32_e64 v13, v2
	s_cbranch_execz .LBB1_63
; %bb.65:                               ;   in Loop: Header=BB1_64 Depth=3
	v_add_nc_u32_e32 v20, 1, v20
	s_andn2_b32 s51, s51, exec_lo
	s_andn2_b32 s50, s50, exec_lo
	v_cmp_ge_i32_e32 vcc_lo, v20, v16
	s_and_b32 s53, vcc_lo, exec_lo
	s_or_b32 s51, s51, s53
	s_branch .LBB1_63
.LBB1_66:                               ;   in Loop: Header=BB1_44 Depth=2
	s_inst_prefetch 0x2
	s_or_b32 exec_lo, exec_lo, s48
	s_and_saveexec_b32 s48, s49
	s_xor_b32 s48, exec_lo, s48
	s_cbranch_execz .LBB1_68
; %bb.67:                               ;   in Loop: Header=BB1_44 Depth=2
	v_add_co_u32 v18, vcc_lo, s40, v21
	v_add_co_ci_u32_e64 v19, null, s41, v22, vcc_lo
	global_store_dword v[18:19], v24, off
.LBB1_68:                               ;   in Loop: Header=BB1_44 Depth=2
	s_or_b32 exec_lo, exec_lo, s47
.LBB1_69:                               ;   in Loop: Header=BB1_44 Depth=2
	s_or_b32 exec_lo, exec_lo, s19
                                        ; implicit-def: $vgpr24
                                        ; implicit-def: $vgpr18_vgpr19
.LBB1_70:                               ;   in Loop: Header=BB1_44 Depth=2
	s_andn2_saveexec_b32 s6, s6
	s_cbranch_execz .LBB1_43
; %bb.71:                               ;   in Loop: Header=BB1_44 Depth=2
	v_cmp_lt_i32_e32 vcc_lo, v13, v39
	s_and_b32 exec_lo, exec_lo, vcc_lo
	s_cbranch_execz .LBB1_43
; %bb.72:                               ;   in Loop: Header=BB1_44 Depth=2
	s_mov_b32 s6, 0
                                        ; implicit-def: $sgpr19
                                        ; implicit-def: $sgpr48
                                        ; implicit-def: $sgpr47
	s_inst_prefetch 0x1
	s_branch .LBB1_74
	.p2align	6
.LBB1_73:                               ;   in Loop: Header=BB1_74 Depth=3
	s_or_b32 exec_lo, exec_lo, s49
	s_and_b32 s49, exec_lo, s48
	s_or_b32 s6, s49, s6
	s_andn2_b32 s19, s19, exec_lo
	s_and_b32 s49, s47, exec_lo
	s_or_b32 s19, s19, s49
	s_andn2_b32 exec_lo, exec_lo, s6
	s_cbranch_execz .LBB1_76
.LBB1_74:                               ;   Parent Loop BB1_3 Depth=1
                                        ;     Parent Loop BB1_44 Depth=2
                                        ; =>    This Inner Loop Header: Depth=3
	v_add_nc_u32_e32 v19, v17, v13
	s_or_b32 s47, s47, exec_lo
	s_or_b32 s48, s48, exec_lo
	s_mov_b32 s49, exec_lo
	v_ashrrev_i32_e32 v20, 31, v19
	v_lshlrev_b64 v[19:20], 2, v[19:20]
	v_add_co_u32 v21, vcc_lo, s12, v19
	v_add_co_ci_u32_e64 v22, null, s13, v20, vcc_lo
	global_load_dword v16, v[21:22], off
	s_waitcnt vmcnt(0)
	v_subrev_nc_u32_e32 v16, s44, v16
	v_cmpx_ne_u32_e64 v16, v18
	s_cbranch_execz .LBB1_73
; %bb.75:                               ;   in Loop: Header=BB1_74 Depth=3
	v_add_nc_u32_e32 v13, 1, v13
	s_andn2_b32 s48, s48, exec_lo
	s_andn2_b32 s47, s47, exec_lo
	v_cmp_ge_i32_e32 vcc_lo, v13, v39
	s_and_b32 s50, vcc_lo, exec_lo
	s_or_b32 s48, s48, s50
	s_branch .LBB1_73
.LBB1_76:                               ;   in Loop: Header=BB1_44 Depth=2
	s_inst_prefetch 0x2
	s_or_b32 exec_lo, exec_lo, s6
	s_and_saveexec_b32 s6, s19
	s_xor_b32 s6, exec_lo, s6
	s_cbranch_execz .LBB1_43
; %bb.77:                               ;   in Loop: Header=BB1_44 Depth=2
	v_add_co_u32 v18, vcc_lo, s42, v19
	v_add_co_ci_u32_e64 v19, null, s43, v20, vcc_lo
	global_store_dword v[18:19], v24, off
	s_branch .LBB1_43
.LBB1_78:                               ;   in Loop: Header=BB1_3 Depth=1
	s_or_b32 exec_lo, exec_lo, s16
	s_and_saveexec_b32 s6, s0
	s_cbranch_execz .LBB1_2
; %bb.79:                               ;   in Loop: Header=BB1_3 Depth=1
	v_mov_b32_e32 v15, v1
	s_mov_b32 s16, 0
	s_branch .LBB1_81
.LBB1_80:                               ;   in Loop: Header=BB1_81 Depth=2
	s_or_b32 exec_lo, exec_lo, s17
	v_add_nc_u32_e32 v15, 0x200, v15
	v_cmp_le_u32_e32 vcc_lo, s46, v15
	s_or_b32 s16, vcc_lo, s16
	s_andn2_b32 exec_lo, exec_lo, s16
	s_cbranch_execz .LBB1_2
.LBB1_81:                               ;   Parent Loop BB1_3 Depth=1
                                        ; =>  This Loop Header: Depth=2
                                        ;       Child Loop BB1_84 Depth 3
                                        ;       Child Loop BB1_87 Depth 3
	s_mov_b32 s17, exec_lo
	v_cmpx_gt_i32_e64 s35, v15
	s_cbranch_execz .LBB1_80
; %bb.82:                               ;   in Loop: Header=BB1_81 Depth=2
	v_ashrrev_i32_e32 v16, 31, v15
	s_mov_b32 s18, exec_lo
	v_lshlrev_b64 v[16:17], 2, v[15:16]
	v_add_co_u32 v18, vcc_lo, s8, v16
	v_add_co_ci_u32_e64 v19, null, s9, v17, vcc_lo
	v_add_co_u32 v20, vcc_lo, s10, v16
	v_add_co_ci_u32_e64 v21, null, s11, v17, vcc_lo
	global_load_dword v13, v[18:19], off
	global_load_dword v19, v[20:21], off
	s_waitcnt vmcnt(1)
	v_add_nc_u32_e32 v18, v30, v13
	s_waitcnt vmcnt(0)
	v_subrev_nc_u32_e32 v13, s44, v19
	v_cmpx_lt_i32_e64 v18, v13
	s_cbranch_execz .LBB1_85
; %bb.83:                               ;   in Loop: Header=BB1_81 Depth=2
	v_ashrrev_i32_e32 v19, 31, v18
	s_mov_b32 s19, 0
	v_lshlrev_b64 v[21:22], 2, v[18:19]
	v_add_co_u32 v19, vcc_lo, s42, v21
	v_add_co_ci_u32_e64 v20, null, s43, v22, vcc_lo
	v_add_co_u32 v21, vcc_lo, s14, v21
	v_add_co_ci_u32_e64 v22, null, s15, v22, vcc_lo
	.p2align	6
.LBB1_84:                               ;   Parent Loop BB1_3 Depth=1
                                        ;     Parent Loop BB1_81 Depth=2
                                        ; =>    This Inner Loop Header: Depth=3
	global_load_dword v23, v[19:20], off
	v_add_nc_u32_e32 v18, 2, v18
	v_add_co_u32 v19, vcc_lo, v19, 8
	v_add_co_ci_u32_e64 v20, null, 0, v20, vcc_lo
	v_cmp_ge_i32_e32 vcc_lo, v18, v13
	s_or_b32 s19, vcc_lo, s19
	s_waitcnt vmcnt(0)
	global_store_dword v[21:22], v23, off
	v_add_co_u32 v21, s5, v21, 8
	v_add_co_ci_u32_e64 v22, null, 0, v22, s5
	s_andn2_b32 exec_lo, exec_lo, s19
	s_cbranch_execnz .LBB1_84
.LBB1_85:                               ;   in Loop: Header=BB1_81 Depth=2
	s_or_b32 exec_lo, exec_lo, s18
	v_add_co_u32 v18, vcc_lo, s24, v16
	v_add_co_ci_u32_e64 v19, null, s25, v17, vcc_lo
	v_add_co_u32 v20, vcc_lo, s26, v16
	v_add_co_ci_u32_e64 v21, null, s27, v17, vcc_lo
	global_load_dword v13, v[18:19], off
	global_load_dword v19, v[20:21], off
	s_mov_b32 s18, exec_lo
	s_waitcnt vmcnt(1)
	v_add_nc_u32_e32 v18, v31, v13
	s_waitcnt vmcnt(0)
	v_subrev_nc_u32_e32 v13, s45, v19
	v_cmpx_lt_i32_e64 v18, v13
	s_cbranch_execz .LBB1_88
; %bb.86:                               ;   in Loop: Header=BB1_81 Depth=2
	v_ashrrev_i32_e32 v19, 31, v18
	s_mov_b32 s19, 0
	v_lshlrev_b64 v[21:22], 2, v[18:19]
	v_add_co_u32 v19, vcc_lo, s40, v21
	v_add_co_ci_u32_e64 v20, null, s41, v22, vcc_lo
	v_add_co_u32 v21, vcc_lo, s30, v21
	v_add_co_ci_u32_e64 v22, null, s31, v22, vcc_lo
	.p2align	6
.LBB1_87:                               ;   Parent Loop BB1_3 Depth=1
                                        ;     Parent Loop BB1_81 Depth=2
                                        ; =>    This Inner Loop Header: Depth=3
	global_load_dword v23, v[19:20], off
	v_add_nc_u32_e32 v18, 2, v18
	v_add_co_u32 v19, vcc_lo, v19, 8
	v_add_co_ci_u32_e64 v20, null, 0, v20, vcc_lo
	v_cmp_ge_i32_e32 vcc_lo, v18, v13
	s_or_b32 s19, vcc_lo, s19
	s_waitcnt vmcnt(0)
	global_store_dword v[21:22], v23, off
	v_add_co_u32 v21, s5, v21, 8
	v_add_co_ci_u32_e64 v22, null, 0, v22, s5
	s_andn2_b32 exec_lo, exec_lo, s19
	s_cbranch_execnz .LBB1_87
.LBB1_88:                               ;   in Loop: Header=BB1_81 Depth=2
	s_or_b32 exec_lo, exec_lo, s18
	s_and_b32 exec_lo, exec_lo, s1
	s_cbranch_execz .LBB1_80
; %bb.89:                               ;   in Loop: Header=BB1_81 Depth=2
	v_add_co_u32 v18, vcc_lo, s38, v16
	v_add_co_ci_u32_e64 v19, null, s39, v17, vcc_lo
	v_add_co_u32 v16, vcc_lo, s36, v16
	v_add_co_ci_u32_e64 v17, null, s37, v17, vcc_lo
	global_load_dword v13, v[18:19], off
	s_waitcnt vmcnt(0)
	global_store_dword v[16:17], v13, off
	s_branch .LBB1_80
.LBB1_90:
	s_endpgm
	.section	.rodata,"a",@progbits
	.p2align	6, 0x0
	.amdhsa_kernel _ZN9rocsparseL14kernel_freerunILi1024ELi2EfiiEEvT3_S1_T2_PKS2_S4_PKS1_PKT1_21rocsparse_index_base_S4_S4_S6_PS7_SB_SA_S4_S4_S6_SB_SB_SA_SB_SB_
		.amdhsa_group_segment_fixed_size 0
		.amdhsa_private_segment_fixed_size 0
		.amdhsa_kernarg_size 168
		.amdhsa_user_sgpr_count 6
		.amdhsa_user_sgpr_private_segment_buffer 1
		.amdhsa_user_sgpr_dispatch_ptr 0
		.amdhsa_user_sgpr_queue_ptr 0
		.amdhsa_user_sgpr_kernarg_segment_ptr 1
		.amdhsa_user_sgpr_dispatch_id 0
		.amdhsa_user_sgpr_flat_scratch_init 0
		.amdhsa_user_sgpr_private_segment_size 0
		.amdhsa_wavefront_size32 1
		.amdhsa_uses_dynamic_stack 0
		.amdhsa_system_sgpr_private_segment_wavefront_offset 0
		.amdhsa_system_sgpr_workgroup_id_x 1
		.amdhsa_system_sgpr_workgroup_id_y 0
		.amdhsa_system_sgpr_workgroup_id_z 0
		.amdhsa_system_sgpr_workgroup_info 0
		.amdhsa_system_vgpr_workitem_id 0
		.amdhsa_next_free_vgpr 53
		.amdhsa_next_free_sgpr 54
		.amdhsa_reserve_vcc 1
		.amdhsa_reserve_flat_scratch 0
		.amdhsa_float_round_mode_32 0
		.amdhsa_float_round_mode_16_64 0
		.amdhsa_float_denorm_mode_32 3
		.amdhsa_float_denorm_mode_16_64 3
		.amdhsa_dx10_clamp 1
		.amdhsa_ieee_mode 1
		.amdhsa_fp16_overflow 0
		.amdhsa_workgroup_processor_mode 1
		.amdhsa_memory_ordered 1
		.amdhsa_forward_progress 1
		.amdhsa_shared_vgpr_count 0
		.amdhsa_exception_fp_ieee_invalid_op 0
		.amdhsa_exception_fp_denorm_src 0
		.amdhsa_exception_fp_ieee_div_zero 0
		.amdhsa_exception_fp_ieee_overflow 0
		.amdhsa_exception_fp_ieee_underflow 0
		.amdhsa_exception_fp_ieee_inexact 0
		.amdhsa_exception_int_div_zero 0
	.end_amdhsa_kernel
	.section	.text._ZN9rocsparseL14kernel_freerunILi1024ELi2EfiiEEvT3_S1_T2_PKS2_S4_PKS1_PKT1_21rocsparse_index_base_S4_S4_S6_PS7_SB_SA_S4_S4_S6_SB_SB_SA_SB_SB_,"axG",@progbits,_ZN9rocsparseL14kernel_freerunILi1024ELi2EfiiEEvT3_S1_T2_PKS2_S4_PKS1_PKT1_21rocsparse_index_base_S4_S4_S6_PS7_SB_SA_S4_S4_S6_SB_SB_SA_SB_SB_,comdat
.Lfunc_end1:
	.size	_ZN9rocsparseL14kernel_freerunILi1024ELi2EfiiEEvT3_S1_T2_PKS2_S4_PKS1_PKT1_21rocsparse_index_base_S4_S4_S6_PS7_SB_SA_S4_S4_S6_SB_SB_SA_SB_SB_, .Lfunc_end1-_ZN9rocsparseL14kernel_freerunILi1024ELi2EfiiEEvT3_S1_T2_PKS2_S4_PKS1_PKT1_21rocsparse_index_base_S4_S4_S6_PS7_SB_SA_S4_S4_S6_SB_SB_SA_SB_SB_
                                        ; -- End function
	.set _ZN9rocsparseL14kernel_freerunILi1024ELi2EfiiEEvT3_S1_T2_PKS2_S4_PKS1_PKT1_21rocsparse_index_base_S4_S4_S6_PS7_SB_SA_S4_S4_S6_SB_SB_SA_SB_SB_.num_vgpr, 53
	.set _ZN9rocsparseL14kernel_freerunILi1024ELi2EfiiEEvT3_S1_T2_PKS2_S4_PKS1_PKT1_21rocsparse_index_base_S4_S4_S6_PS7_SB_SA_S4_S4_S6_SB_SB_SA_SB_SB_.num_agpr, 0
	.set _ZN9rocsparseL14kernel_freerunILi1024ELi2EfiiEEvT3_S1_T2_PKS2_S4_PKS1_PKT1_21rocsparse_index_base_S4_S4_S6_PS7_SB_SA_S4_S4_S6_SB_SB_SA_SB_SB_.numbered_sgpr, 54
	.set _ZN9rocsparseL14kernel_freerunILi1024ELi2EfiiEEvT3_S1_T2_PKS2_S4_PKS1_PKT1_21rocsparse_index_base_S4_S4_S6_PS7_SB_SA_S4_S4_S6_SB_SB_SA_SB_SB_.num_named_barrier, 0
	.set _ZN9rocsparseL14kernel_freerunILi1024ELi2EfiiEEvT3_S1_T2_PKS2_S4_PKS1_PKT1_21rocsparse_index_base_S4_S4_S6_PS7_SB_SA_S4_S4_S6_SB_SB_SA_SB_SB_.private_seg_size, 0
	.set _ZN9rocsparseL14kernel_freerunILi1024ELi2EfiiEEvT3_S1_T2_PKS2_S4_PKS1_PKT1_21rocsparse_index_base_S4_S4_S6_PS7_SB_SA_S4_S4_S6_SB_SB_SA_SB_SB_.uses_vcc, 1
	.set _ZN9rocsparseL14kernel_freerunILi1024ELi2EfiiEEvT3_S1_T2_PKS2_S4_PKS1_PKT1_21rocsparse_index_base_S4_S4_S6_PS7_SB_SA_S4_S4_S6_SB_SB_SA_SB_SB_.uses_flat_scratch, 0
	.set _ZN9rocsparseL14kernel_freerunILi1024ELi2EfiiEEvT3_S1_T2_PKS2_S4_PKS1_PKT1_21rocsparse_index_base_S4_S4_S6_PS7_SB_SA_S4_S4_S6_SB_SB_SA_SB_SB_.has_dyn_sized_stack, 0
	.set _ZN9rocsparseL14kernel_freerunILi1024ELi2EfiiEEvT3_S1_T2_PKS2_S4_PKS1_PKT1_21rocsparse_index_base_S4_S4_S6_PS7_SB_SA_S4_S4_S6_SB_SB_SA_SB_SB_.has_recursion, 0
	.set _ZN9rocsparseL14kernel_freerunILi1024ELi2EfiiEEvT3_S1_T2_PKS2_S4_PKS1_PKT1_21rocsparse_index_base_S4_S4_S6_PS7_SB_SA_S4_S4_S6_SB_SB_SA_SB_SB_.has_indirect_call, 0
	.section	.AMDGPU.csdata,"",@progbits
; Kernel info:
; codeLenInByte = 3856
; TotalNumSgprs: 56
; NumVgprs: 53
; ScratchSize: 0
; MemoryBound: 0
; FloatMode: 240
; IeeeMode: 1
; LDSByteSize: 0 bytes/workgroup (compile time only)
; SGPRBlocks: 0
; VGPRBlocks: 6
; NumSGPRsForWavesPerEU: 56
; NumVGPRsForWavesPerEU: 53
; Occupancy: 16
; WaveLimiterHint : 1
; COMPUTE_PGM_RSRC2:SCRATCH_EN: 0
; COMPUTE_PGM_RSRC2:USER_SGPR: 6
; COMPUTE_PGM_RSRC2:TRAP_HANDLER: 0
; COMPUTE_PGM_RSRC2:TGID_X_EN: 1
; COMPUTE_PGM_RSRC2:TGID_Y_EN: 0
; COMPUTE_PGM_RSRC2:TGID_Z_EN: 0
; COMPUTE_PGM_RSRC2:TIDIG_COMP_CNT: 0
	.section	.text._ZN9rocsparseL14kernel_freerunILi1024ELi4EfiiEEvT3_S1_T2_PKS2_S4_PKS1_PKT1_21rocsparse_index_base_S4_S4_S6_PS7_SB_SA_S4_S4_S6_SB_SB_SA_SB_SB_,"axG",@progbits,_ZN9rocsparseL14kernel_freerunILi1024ELi4EfiiEEvT3_S1_T2_PKS2_S4_PKS1_PKT1_21rocsparse_index_base_S4_S4_S6_PS7_SB_SA_S4_S4_S6_SB_SB_SA_SB_SB_,comdat
	.globl	_ZN9rocsparseL14kernel_freerunILi1024ELi4EfiiEEvT3_S1_T2_PKS2_S4_PKS1_PKT1_21rocsparse_index_base_S4_S4_S6_PS7_SB_SA_S4_S4_S6_SB_SB_SA_SB_SB_ ; -- Begin function _ZN9rocsparseL14kernel_freerunILi1024ELi4EfiiEEvT3_S1_T2_PKS2_S4_PKS1_PKT1_21rocsparse_index_base_S4_S4_S6_PS7_SB_SA_S4_S4_S6_SB_SB_SA_SB_SB_
	.p2align	8
	.type	_ZN9rocsparseL14kernel_freerunILi1024ELi4EfiiEEvT3_S1_T2_PKS2_S4_PKS1_PKT1_21rocsparse_index_base_S4_S4_S6_PS7_SB_SA_S4_S4_S6_SB_SB_SA_SB_SB_,@function
_ZN9rocsparseL14kernel_freerunILi1024ELi4EfiiEEvT3_S1_T2_PKS2_S4_PKS1_PKT1_21rocsparse_index_base_S4_S4_S6_PS7_SB_SA_S4_S4_S6_SB_SB_SA_SB_SB_: ; @_ZN9rocsparseL14kernel_freerunILi1024ELi4EfiiEEvT3_S1_T2_PKS2_S4_PKS1_PKT1_21rocsparse_index_base_S4_S4_S6_PS7_SB_SA_S4_S4_S6_SB_SB_SA_SB_SB_
; %bb.0:
	s_load_dwordx2 s[34:35], s[4:5], 0x0
	v_lshrrev_b32_e32 v1, 2, v0
	s_lshl_b32 s0, s6, 10
	s_mov_b32 s33, 0
	v_or_b32_e32 v18, s0, v1
	s_waitcnt lgkmcnt(0)
	v_cmp_gt_i32_e32 vcc_lo, s35, v18
	s_cmp_gt_i32 s34, 0
	s_cselect_b32 s1, -1, 0
	s_and_b32 s1, vcc_lo, s1
	s_and_saveexec_b32 s2, s1
	s_cbranch_execz .LBB2_55
; %bb.1:
	s_clause 0x8
	s_load_dword s42, s[4:5], 0x30
	s_load_dword s43, s[4:5], 0x60
	;; [unrolled: 1-line block ×3, first 2 shown]
	s_load_dwordx2 s[6:7], s[4:5], 0x88
	s_load_dwordx2 s[40:41], s[4:5], 0x58
	s_load_dwordx4 s[36:39], s[4:5], 0x98
	s_load_dwordx8 s[8:15], s[4:5], 0x68
	s_load_dwordx8 s[16:23], s[4:5], 0x38
	;; [unrolled: 1-line block ×3, first 2 shown]
	v_and_b32_e32 v0, 3, v0
	s_add_i32 s4, s0, 0x400
	v_mov_b32_e32 v1, 0
	v_cmp_gt_u32_e64 s0, s4, v18
	v_cmp_eq_u32_e64 s1, 0, v0
	s_waitcnt lgkmcnt(0)
	v_subrev_nc_u32_e32 v19, s42, v0
	v_subrev_nc_u32_e32 v20, s43, v0
	;; [unrolled: 1-line block ×3, first 2 shown]
	s_branch .LBB2_3
.LBB2_2:                                ;   in Loop: Header=BB2_3 Depth=1
	s_or_b32 exec_lo, exec_lo, s3
	s_add_i32 s33, s33, 1
	s_cmp_eq_u32 s33, s34
	s_cbranch_scc1 .LBB2_55
.LBB2_3:                                ; =>This Loop Header: Depth=1
                                        ;     Child Loop BB2_5 Depth 2
                                        ;       Child Loop BB2_9 Depth 3
                                        ;         Child Loop BB2_13 Depth 4
                                        ;         Child Loop BB2_29 Depth 4
	;; [unrolled: 1-line block ×3, first 2 shown]
                                        ;     Child Loop BB2_46 Depth 2
                                        ;       Child Loop BB2_49 Depth 3
                                        ;       Child Loop BB2_52 Depth 3
	s_mov_b32 s5, 0
	s_branch .LBB2_5
.LBB2_4:                                ;   in Loop: Header=BB2_5 Depth=2
	s_or_b32 exec_lo, exec_lo, s45
	s_add_i32 s5, s5, 1
	s_cmp_eq_u32 s5, 4
	s_cbranch_scc1 .LBB2_43
.LBB2_5:                                ;   Parent Loop BB2_3 Depth=1
                                        ; =>  This Loop Header: Depth=2
                                        ;       Child Loop BB2_9 Depth 3
                                        ;         Child Loop BB2_13 Depth 4
                                        ;         Child Loop BB2_29 Depth 4
	;; [unrolled: 1-line block ×3, first 2 shown]
	v_lshl_add_u32 v2, s5, 8, v18
	s_mov_b32 s45, exec_lo
	v_cmpx_gt_i32_e64 s35, v2
	s_cbranch_execz .LBB2_4
; %bb.6:                                ;   in Loop: Header=BB2_5 Depth=2
	v_ashrrev_i32_e32 v3, 31, v2
	v_lshlrev_b64 v[4:5], 2, v[2:3]
	v_add_co_u32 v6, vcc_lo, s24, v4
	v_add_co_ci_u32_e64 v7, null, s25, v5, vcc_lo
	v_add_co_u32 v8, vcc_lo, s26, v4
	v_add_co_ci_u32_e64 v9, null, s27, v5, vcc_lo
	global_load_dword v0, v[6:7], off
	global_load_dword v6, v[8:9], off
	s_waitcnt vmcnt(1)
	v_add_nc_u32_e32 v3, v19, v0
	s_waitcnt vmcnt(0)
	v_subrev_nc_u32_e32 v22, s42, v6
	v_cmp_lt_i32_e32 vcc_lo, v3, v22
	s_and_b32 exec_lo, exec_lo, vcc_lo
	s_cbranch_execz .LBB2_4
; %bb.7:                                ;   in Loop: Header=BB2_5 Depth=2
	v_add_co_u32 v6, vcc_lo, s16, v4
	v_add_co_ci_u32_e64 v7, null, s17, v5, vcc_lo
	v_add_co_u32 v4, vcc_lo, s18, v4
	v_add_co_ci_u32_e64 v5, null, s19, v5, vcc_lo
	global_load_dword v0, v[6:7], off
	s_mov_b32 s46, 0
	global_load_dword v4, v[4:5], off
	s_waitcnt vmcnt(1)
	v_subrev_nc_u32_e32 v5, s43, v0
	s_waitcnt vmcnt(0)
	v_sub_nc_u32_e32 v23, v4, v0
	v_ashrrev_i32_e32 v6, 31, v5
	v_cmp_lt_i32_e64 s2, 0, v23
	v_lshlrev_b64 v[6:7], 2, v[5:6]
	v_add_co_u32 v24, vcc_lo, s20, v6
	v_add_co_ci_u32_e64 v25, null, s21, v7, vcc_lo
	v_add_co_u32 v26, vcc_lo, s22, v6
	v_add_co_ci_u32_e64 v27, null, s23, v7, vcc_lo
	s_branch .LBB2_9
.LBB2_8:                                ;   in Loop: Header=BB2_9 Depth=3
	s_or_b32 exec_lo, exec_lo, s47
	v_add_nc_u32_e32 v3, 4, v3
	v_cmp_ge_i32_e32 vcc_lo, v3, v22
	s_or_b32 s46, vcc_lo, s46
	s_andn2_b32 exec_lo, exec_lo, s46
	s_cbranch_execz .LBB2_4
.LBB2_9:                                ;   Parent Loop BB2_3 Depth=1
                                        ;     Parent Loop BB2_5 Depth=2
                                        ; =>    This Loop Header: Depth=3
                                        ;         Child Loop BB2_13 Depth 4
                                        ;         Child Loop BB2_29 Depth 4
                                        ;         Child Loop BB2_39 Depth 4
	v_ashrrev_i32_e32 v4, 31, v3
	v_mov_b32_e32 v28, 0
	v_lshlrev_b64 v[12:13], 2, v[3:4]
	v_add_co_u32 v6, vcc_lo, s28, v12
	v_add_co_ci_u32_e64 v7, null, s29, v13, vcc_lo
	global_load_dword v0, v[6:7], off
	s_waitcnt vmcnt(0)
	v_subrev_nc_u32_e32 v6, s42, v0
	v_ashrrev_i32_e32 v7, 31, v6
	v_lshlrev_b64 v[10:11], 2, v[6:7]
	v_add_co_u32 v7, vcc_lo, s8, v10
	v_add_co_ci_u32_e64 v8, null, s9, v11, vcc_lo
	v_add_co_u32 v14, vcc_lo, s10, v10
	v_add_co_ci_u32_e64 v15, null, s11, v11, vcc_lo
	global_load_dword v0, v[7:8], off
	global_load_dword v4, v[14:15], off
	v_mov_b32_e32 v8, 0
	s_waitcnt vmcnt(1)
	v_subrev_nc_u32_e32 v7, s44, v0
	s_waitcnt vmcnt(0)
	v_sub_nc_u32_e32 v4, v4, v0
	v_mov_b32_e32 v0, v8
	s_and_saveexec_b32 s47, s2
	s_cbranch_execz .LBB2_17
; %bb.10:                               ;   in Loop: Header=BB2_9 Depth=3
	v_ashrrev_i32_e32 v8, 31, v7
	v_mov_b32_e32 v28, 0
	v_mov_b32_e32 v0, 0
	s_mov_b32 s48, 0
                                        ; implicit-def: $sgpr49
	v_lshlrev_b64 v[8:9], 2, v[7:8]
	v_add_co_u32 v29, vcc_lo, s12, v8
	v_add_co_ci_u32_e64 v30, null, s13, v9, vcc_lo
	v_add_co_u32 v31, vcc_lo, s14, v8
	v_add_co_ci_u32_e64 v32, null, s15, v9, vcc_lo
	v_mov_b32_e32 v8, 0
	s_branch .LBB2_13
.LBB2_11:                               ;   in Loop: Header=BB2_13 Depth=4
	s_or_b32 exec_lo, exec_lo, s3
	v_cmp_le_i32_e32 vcc_lo, v9, v33
	v_cmp_ge_i32_e64 s3, v9, v33
	v_add_co_ci_u32_e64 v0, null, 0, v0, vcc_lo
	v_add_co_ci_u32_e64 v8, null, 0, v8, s3
	s_andn2_b32 s3, s49, exec_lo
	v_cmp_ge_i32_e32 vcc_lo, v0, v23
	s_and_b32 s49, vcc_lo, exec_lo
	s_or_b32 s49, s3, s49
.LBB2_12:                               ;   in Loop: Header=BB2_13 Depth=4
	s_or_b32 exec_lo, exec_lo, s50
	s_and_b32 s3, exec_lo, s49
	s_or_b32 s48, s3, s48
	s_andn2_b32 exec_lo, exec_lo, s48
	s_cbranch_execz .LBB2_16
.LBB2_13:                               ;   Parent Loop BB2_3 Depth=1
                                        ;     Parent Loop BB2_5 Depth=2
                                        ;       Parent Loop BB2_9 Depth=3
                                        ; =>      This Inner Loop Header: Depth=4
	s_or_b32 s49, s49, exec_lo
	s_mov_b32 s50, exec_lo
	v_cmpx_lt_i32_e64 v8, v4
	s_cbranch_execz .LBB2_12
; %bb.14:                               ;   in Loop: Header=BB2_13 Depth=4
	v_mov_b32_e32 v9, v1
	v_lshlrev_b64 v[16:17], 2, v[0:1]
	s_mov_b32 s3, exec_lo
	v_lshlrev_b64 v[14:15], 2, v[8:9]
	v_add_co_u32 v33, vcc_lo, v24, v16
	v_add_co_ci_u32_e64 v34, null, v25, v17, vcc_lo
	v_add_co_u32 v35, vcc_lo, v29, v14
	v_add_co_ci_u32_e64 v36, null, v30, v15, vcc_lo
	global_load_dword v9, v[33:34], off
	global_load_dword v33, v[35:36], off
	s_waitcnt vmcnt(1)
	v_subrev_nc_u32_e32 v9, s43, v9
	s_waitcnt vmcnt(0)
	v_subrev_nc_u32_e32 v33, s44, v33
	v_cmpx_eq_u32_e64 v9, v33
	s_cbranch_execz .LBB2_11
; %bb.15:                               ;   in Loop: Header=BB2_13 Depth=4
	v_add_co_u32 v16, vcc_lo, v26, v16
	v_add_co_ci_u32_e64 v17, null, v27, v17, vcc_lo
	v_add_co_u32 v14, vcc_lo, v31, v14
	v_add_co_ci_u32_e64 v15, null, v32, v15, vcc_lo
	global_load_dword v16, v[16:17], off
	global_load_dword v14, v[14:15], off
	s_waitcnt vmcnt(0)
	v_fmac_f32_e32 v28, v16, v14
	s_branch .LBB2_11
.LBB2_16:                               ;   in Loop: Header=BB2_9 Depth=3
	s_or_b32 exec_lo, exec_lo, s48
.LBB2_17:                               ;   in Loop: Header=BB2_9 Depth=3
	s_or_b32 exec_lo, exec_lo, s47
	v_add_co_u32 v12, vcc_lo, s30, v12
	v_add_co_ci_u32_e64 v13, null, s31, v13, vcc_lo
	v_cmp_le_i32_e64 s3, v2, v6
	s_mov_b32 s47, exec_lo
	global_load_dword v9, v[12:13], off
	s_waitcnt vmcnt(0)
	v_sub_f32_e32 v12, v9, v28
	v_cmpx_gt_i32_e64 v2, v6
	s_cbranch_execz .LBB2_21
; %bb.18:                               ;   in Loop: Header=BB2_9 Depth=3
	v_add_co_u32 v13, vcc_lo, s36, v10
	v_add_co_ci_u32_e64 v14, null, s37, v11, vcc_lo
	s_mov_b32 s48, exec_lo
	global_load_dword v9, v[13:14], off
	v_mov_b32_e32 v13, 0
	s_waitcnt vmcnt(0)
	v_cmpx_lg_f32_e32 0, v9
	s_cbranch_execz .LBB2_20
; %bb.19:                               ;   in Loop: Header=BB2_9 Depth=3
	v_div_scale_f32 v13, null, v9, v9, v12
	v_rcp_f32_e32 v14, v13
	v_fma_f32 v15, -v13, v14, 1.0
	v_fmac_f32_e32 v14, v15, v14
	v_div_scale_f32 v15, vcc_lo, v12, v9, v12
	v_mul_f32_e32 v16, v15, v14
	v_fma_f32 v17, -v13, v16, v15
	v_fmac_f32_e32 v16, v17, v14
	v_fma_f32 v13, -v13, v16, v15
	v_div_fmas_f32 v13, v13, v14, v16
	v_div_fixup_f32 v13, v13, v9, v12
.LBB2_20:                               ;   in Loop: Header=BB2_9 Depth=3
	s_or_b32 exec_lo, exec_lo, s48
	v_mov_b32_e32 v12, v13
.LBB2_21:                               ;   in Loop: Header=BB2_9 Depth=3
	s_or_b32 exec_lo, exec_lo, s47
	v_cmp_class_f32_e64 s48, v12, 0x1f8
	s_and_saveexec_b32 s47, s48
	s_cbranch_execz .LBB2_8
; %bb.22:                               ;   in Loop: Header=BB2_9 Depth=3
	s_and_saveexec_b32 s48, s3
	s_xor_b32 s3, exec_lo, s48
	s_cbranch_execz .LBB2_35
; %bb.23:                               ;   in Loop: Header=BB2_9 Depth=3
	s_mov_b32 s48, exec_lo
	v_cmpx_ge_i32_e64 v2, v6
	s_xor_b32 s48, exec_lo, s48
	s_cbranch_execz .LBB2_25
; %bb.24:                               ;   in Loop: Header=BB2_9 Depth=3
	v_add_co_u32 v6, vcc_lo, s38, v10
	v_add_co_ci_u32_e64 v7, null, s39, v11, vcc_lo
                                        ; implicit-def: $vgpr8
                                        ; implicit-def: $vgpr4
	global_store_dword v[6:7], v12, off
                                        ; implicit-def: $vgpr12
                                        ; implicit-def: $vgpr7
.LBB2_25:                               ;   in Loop: Header=BB2_9 Depth=3
	s_andn2_saveexec_b32 s48, s48
	s_cbranch_execz .LBB2_34
; %bb.26:                               ;   in Loop: Header=BB2_9 Depth=3
	s_mov_b32 s49, exec_lo
	v_cmpx_lt_i32_e64 v8, v4
	s_cbranch_execz .LBB2_33
; %bb.27:                               ;   in Loop: Header=BB2_9 Depth=3
	s_mov_b32 s50, 0
                                        ; implicit-def: $sgpr51
                                        ; implicit-def: $sgpr53
                                        ; implicit-def: $sgpr52
	s_inst_prefetch 0x1
	s_branch .LBB2_29
	.p2align	6
.LBB2_28:                               ;   in Loop: Header=BB2_29 Depth=4
	s_or_b32 exec_lo, exec_lo, s54
	s_and_b32 s54, exec_lo, s53
	s_or_b32 s50, s54, s50
	s_andn2_b32 s51, s51, exec_lo
	s_and_b32 s54, s52, exec_lo
	s_or_b32 s51, s51, s54
	s_andn2_b32 exec_lo, exec_lo, s50
	s_cbranch_execz .LBB2_31
.LBB2_29:                               ;   Parent Loop BB2_3 Depth=1
                                        ;     Parent Loop BB2_5 Depth=2
                                        ;       Parent Loop BB2_9 Depth=3
                                        ; =>      This Inner Loop Header: Depth=4
	v_add_nc_u32_e32 v9, v7, v8
	s_or_b32 s52, s52, exec_lo
	s_or_b32 s53, s53, exec_lo
	s_mov_b32 s54, exec_lo
	v_ashrrev_i32_e32 v10, 31, v9
	v_lshlrev_b64 v[9:10], 2, v[9:10]
	v_add_co_u32 v13, vcc_lo, s12, v9
	v_add_co_ci_u32_e64 v14, null, s13, v10, vcc_lo
	global_load_dword v0, v[13:14], off
	s_waitcnt vmcnt(0)
	v_subrev_nc_u32_e32 v0, s44, v0
	v_cmpx_ne_u32_e64 v0, v2
	s_cbranch_execz .LBB2_28
; %bb.30:                               ;   in Loop: Header=BB2_29 Depth=4
	v_add_nc_u32_e32 v8, 1, v8
	s_andn2_b32 s53, s53, exec_lo
	s_andn2_b32 s52, s52, exec_lo
	v_cmp_ge_i32_e32 vcc_lo, v8, v4
	s_and_b32 s55, vcc_lo, exec_lo
	s_or_b32 s53, s53, s55
	s_branch .LBB2_28
.LBB2_31:                               ;   in Loop: Header=BB2_9 Depth=3
	s_inst_prefetch 0x2
	s_or_b32 exec_lo, exec_lo, s50
	s_and_saveexec_b32 s50, s51
	s_xor_b32 s50, exec_lo, s50
	s_cbranch_execz .LBB2_33
; %bb.32:                               ;   in Loop: Header=BB2_9 Depth=3
	v_add_co_u32 v6, vcc_lo, s6, v9
	v_add_co_ci_u32_e64 v7, null, s7, v10, vcc_lo
	global_store_dword v[6:7], v12, off
.LBB2_33:                               ;   in Loop: Header=BB2_9 Depth=3
	s_or_b32 exec_lo, exec_lo, s49
.LBB2_34:                               ;   in Loop: Header=BB2_9 Depth=3
	s_or_b32 exec_lo, exec_lo, s48
                                        ; implicit-def: $vgpr12
                                        ; implicit-def: $vgpr6_vgpr7
.LBB2_35:                               ;   in Loop: Header=BB2_9 Depth=3
	s_andn2_saveexec_b32 s3, s3
	s_cbranch_execz .LBB2_8
; %bb.36:                               ;   in Loop: Header=BB2_9 Depth=3
	v_cmp_lt_i32_e32 vcc_lo, v0, v23
	s_and_b32 exec_lo, exec_lo, vcc_lo
	s_cbranch_execz .LBB2_8
; %bb.37:                               ;   in Loop: Header=BB2_9 Depth=3
	s_mov_b32 s3, 0
                                        ; implicit-def: $sgpr48
                                        ; implicit-def: $sgpr50
                                        ; implicit-def: $sgpr49
	s_inst_prefetch 0x1
	s_branch .LBB2_39
	.p2align	6
.LBB2_38:                               ;   in Loop: Header=BB2_39 Depth=4
	s_or_b32 exec_lo, exec_lo, s51
	s_and_b32 s51, exec_lo, s50
	s_or_b32 s3, s51, s3
	s_andn2_b32 s48, s48, exec_lo
	s_and_b32 s51, s49, exec_lo
	s_or_b32 s48, s48, s51
	s_andn2_b32 exec_lo, exec_lo, s3
	s_cbranch_execz .LBB2_41
.LBB2_39:                               ;   Parent Loop BB2_3 Depth=1
                                        ;     Parent Loop BB2_5 Depth=2
                                        ;       Parent Loop BB2_9 Depth=3
                                        ; =>      This Inner Loop Header: Depth=4
	v_add_nc_u32_e32 v7, v5, v0
	s_or_b32 s49, s49, exec_lo
	s_or_b32 s50, s50, exec_lo
	s_mov_b32 s51, exec_lo
	v_ashrrev_i32_e32 v8, 31, v7
	v_lshlrev_b64 v[7:8], 2, v[7:8]
	v_add_co_u32 v9, vcc_lo, s20, v7
	v_add_co_ci_u32_e64 v10, null, s21, v8, vcc_lo
	global_load_dword v4, v[9:10], off
	s_waitcnt vmcnt(0)
	v_subrev_nc_u32_e32 v4, s43, v4
	v_cmpx_ne_u32_e64 v4, v6
	s_cbranch_execz .LBB2_38
; %bb.40:                               ;   in Loop: Header=BB2_39 Depth=4
	v_add_nc_u32_e32 v0, 1, v0
	s_andn2_b32 s50, s50, exec_lo
	s_andn2_b32 s49, s49, exec_lo
	v_cmp_ge_i32_e32 vcc_lo, v0, v23
	s_and_b32 s52, vcc_lo, exec_lo
	s_or_b32 s50, s50, s52
	s_branch .LBB2_38
.LBB2_41:                               ;   in Loop: Header=BB2_9 Depth=3
	s_inst_prefetch 0x2
	s_or_b32 exec_lo, exec_lo, s3
	s_and_saveexec_b32 s3, s48
	s_xor_b32 s3, exec_lo, s3
	s_cbranch_execz .LBB2_8
; %bb.42:                               ;   in Loop: Header=BB2_9 Depth=3
	v_add_co_u32 v6, vcc_lo, s40, v7
	v_add_co_ci_u32_e64 v7, null, s41, v8, vcc_lo
	global_store_dword v[6:7], v12, off
	s_branch .LBB2_8
.LBB2_43:                               ;   in Loop: Header=BB2_3 Depth=1
	s_and_saveexec_b32 s3, s0
	s_cbranch_execz .LBB2_2
; %bb.44:                               ;   in Loop: Header=BB2_3 Depth=1
	v_mov_b32_e32 v2, v18
	s_mov_b32 s5, 0
	s_branch .LBB2_46
.LBB2_45:                               ;   in Loop: Header=BB2_46 Depth=2
	s_or_b32 exec_lo, exec_lo, s45
	v_add_nc_u32_e32 v2, 0x100, v2
	v_cmp_le_u32_e32 vcc_lo, s4, v2
	s_or_b32 s5, vcc_lo, s5
	s_andn2_b32 exec_lo, exec_lo, s5
	s_cbranch_execz .LBB2_2
.LBB2_46:                               ;   Parent Loop BB2_3 Depth=1
                                        ; =>  This Loop Header: Depth=2
                                        ;       Child Loop BB2_49 Depth 3
                                        ;       Child Loop BB2_52 Depth 3
	s_mov_b32 s45, exec_lo
	v_cmpx_gt_i32_e64 s35, v2
	s_cbranch_execz .LBB2_45
; %bb.47:                               ;   in Loop: Header=BB2_46 Depth=2
	v_ashrrev_i32_e32 v3, 31, v2
	s_mov_b32 s46, exec_lo
	v_lshlrev_b64 v[3:4], 2, v[2:3]
	v_add_co_u32 v5, vcc_lo, s16, v3
	v_add_co_ci_u32_e64 v6, null, s17, v4, vcc_lo
	v_add_co_u32 v7, vcc_lo, s18, v3
	v_add_co_ci_u32_e64 v8, null, s19, v4, vcc_lo
	global_load_dword v0, v[5:6], off
	global_load_dword v6, v[7:8], off
	s_waitcnt vmcnt(1)
	v_add_nc_u32_e32 v5, v20, v0
	s_waitcnt vmcnt(0)
	v_subrev_nc_u32_e32 v0, s43, v6
	v_cmpx_lt_i32_e64 v5, v0
	s_cbranch_execz .LBB2_50
; %bb.48:                               ;   in Loop: Header=BB2_46 Depth=2
	v_ashrrev_i32_e32 v6, 31, v5
	s_mov_b32 s47, 0
	v_lshlrev_b64 v[8:9], 2, v[5:6]
	v_add_co_u32 v6, vcc_lo, s40, v8
	v_add_co_ci_u32_e64 v7, null, s41, v9, vcc_lo
	v_add_co_u32 v8, vcc_lo, s22, v8
	v_add_co_ci_u32_e64 v9, null, s23, v9, vcc_lo
	.p2align	6
.LBB2_49:                               ;   Parent Loop BB2_3 Depth=1
                                        ;     Parent Loop BB2_46 Depth=2
                                        ; =>    This Inner Loop Header: Depth=3
	global_load_dword v10, v[6:7], off
	v_add_nc_u32_e32 v5, 4, v5
	v_add_co_u32 v6, vcc_lo, v6, 16
	v_add_co_ci_u32_e64 v7, null, 0, v7, vcc_lo
	v_cmp_ge_i32_e32 vcc_lo, v5, v0
	s_or_b32 s47, vcc_lo, s47
	s_waitcnt vmcnt(0)
	global_store_dword v[8:9], v10, off
	v_add_co_u32 v8, s2, v8, 16
	v_add_co_ci_u32_e64 v9, null, 0, v9, s2
	s_andn2_b32 exec_lo, exec_lo, s47
	s_cbranch_execnz .LBB2_49
.LBB2_50:                               ;   in Loop: Header=BB2_46 Depth=2
	s_or_b32 exec_lo, exec_lo, s46
	v_add_co_u32 v5, vcc_lo, s8, v3
	v_add_co_ci_u32_e64 v6, null, s9, v4, vcc_lo
	v_add_co_u32 v7, vcc_lo, s10, v3
	v_add_co_ci_u32_e64 v8, null, s11, v4, vcc_lo
	global_load_dword v0, v[5:6], off
	global_load_dword v6, v[7:8], off
	s_mov_b32 s46, exec_lo
	s_waitcnt vmcnt(1)
	v_add_nc_u32_e32 v5, v21, v0
	s_waitcnt vmcnt(0)
	v_subrev_nc_u32_e32 v0, s44, v6
	v_cmpx_lt_i32_e64 v5, v0
	s_cbranch_execz .LBB2_53
; %bb.51:                               ;   in Loop: Header=BB2_46 Depth=2
	v_ashrrev_i32_e32 v6, 31, v5
	s_mov_b32 s47, 0
	v_lshlrev_b64 v[8:9], 2, v[5:6]
	v_add_co_u32 v6, vcc_lo, s6, v8
	v_add_co_ci_u32_e64 v7, null, s7, v9, vcc_lo
	v_add_co_u32 v8, vcc_lo, s14, v8
	v_add_co_ci_u32_e64 v9, null, s15, v9, vcc_lo
	.p2align	6
.LBB2_52:                               ;   Parent Loop BB2_3 Depth=1
                                        ;     Parent Loop BB2_46 Depth=2
                                        ; =>    This Inner Loop Header: Depth=3
	global_load_dword v10, v[6:7], off
	v_add_nc_u32_e32 v5, 4, v5
	v_add_co_u32 v6, vcc_lo, v6, 16
	v_add_co_ci_u32_e64 v7, null, 0, v7, vcc_lo
	v_cmp_ge_i32_e32 vcc_lo, v5, v0
	s_or_b32 s47, vcc_lo, s47
	s_waitcnt vmcnt(0)
	global_store_dword v[8:9], v10, off
	v_add_co_u32 v8, s2, v8, 16
	v_add_co_ci_u32_e64 v9, null, 0, v9, s2
	s_andn2_b32 exec_lo, exec_lo, s47
	s_cbranch_execnz .LBB2_52
.LBB2_53:                               ;   in Loop: Header=BB2_46 Depth=2
	s_or_b32 exec_lo, exec_lo, s46
	s_and_b32 exec_lo, exec_lo, s1
	s_cbranch_execz .LBB2_45
; %bb.54:                               ;   in Loop: Header=BB2_46 Depth=2
	v_add_co_u32 v5, vcc_lo, s38, v3
	v_add_co_ci_u32_e64 v6, null, s39, v4, vcc_lo
	v_add_co_u32 v3, vcc_lo, s36, v3
	v_add_co_ci_u32_e64 v4, null, s37, v4, vcc_lo
	global_load_dword v0, v[5:6], off
	s_waitcnt vmcnt(0)
	global_store_dword v[3:4], v0, off
	s_branch .LBB2_45
.LBB2_55:
	s_endpgm
	.section	.rodata,"a",@progbits
	.p2align	6, 0x0
	.amdhsa_kernel _ZN9rocsparseL14kernel_freerunILi1024ELi4EfiiEEvT3_S1_T2_PKS2_S4_PKS1_PKT1_21rocsparse_index_base_S4_S4_S6_PS7_SB_SA_S4_S4_S6_SB_SB_SA_SB_SB_
		.amdhsa_group_segment_fixed_size 0
		.amdhsa_private_segment_fixed_size 0
		.amdhsa_kernarg_size 168
		.amdhsa_user_sgpr_count 6
		.amdhsa_user_sgpr_private_segment_buffer 1
		.amdhsa_user_sgpr_dispatch_ptr 0
		.amdhsa_user_sgpr_queue_ptr 0
		.amdhsa_user_sgpr_kernarg_segment_ptr 1
		.amdhsa_user_sgpr_dispatch_id 0
		.amdhsa_user_sgpr_flat_scratch_init 0
		.amdhsa_user_sgpr_private_segment_size 0
		.amdhsa_wavefront_size32 1
		.amdhsa_uses_dynamic_stack 0
		.amdhsa_system_sgpr_private_segment_wavefront_offset 0
		.amdhsa_system_sgpr_workgroup_id_x 1
		.amdhsa_system_sgpr_workgroup_id_y 0
		.amdhsa_system_sgpr_workgroup_id_z 0
		.amdhsa_system_sgpr_workgroup_info 0
		.amdhsa_system_vgpr_workitem_id 0
		.amdhsa_next_free_vgpr 37
		.amdhsa_next_free_sgpr 56
		.amdhsa_reserve_vcc 1
		.amdhsa_reserve_flat_scratch 0
		.amdhsa_float_round_mode_32 0
		.amdhsa_float_round_mode_16_64 0
		.amdhsa_float_denorm_mode_32 3
		.amdhsa_float_denorm_mode_16_64 3
		.amdhsa_dx10_clamp 1
		.amdhsa_ieee_mode 1
		.amdhsa_fp16_overflow 0
		.amdhsa_workgroup_processor_mode 1
		.amdhsa_memory_ordered 1
		.amdhsa_forward_progress 1
		.amdhsa_shared_vgpr_count 0
		.amdhsa_exception_fp_ieee_invalid_op 0
		.amdhsa_exception_fp_denorm_src 0
		.amdhsa_exception_fp_ieee_div_zero 0
		.amdhsa_exception_fp_ieee_overflow 0
		.amdhsa_exception_fp_ieee_underflow 0
		.amdhsa_exception_fp_ieee_inexact 0
		.amdhsa_exception_int_div_zero 0
	.end_amdhsa_kernel
	.section	.text._ZN9rocsparseL14kernel_freerunILi1024ELi4EfiiEEvT3_S1_T2_PKS2_S4_PKS1_PKT1_21rocsparse_index_base_S4_S4_S6_PS7_SB_SA_S4_S4_S6_SB_SB_SA_SB_SB_,"axG",@progbits,_ZN9rocsparseL14kernel_freerunILi1024ELi4EfiiEEvT3_S1_T2_PKS2_S4_PKS1_PKT1_21rocsparse_index_base_S4_S4_S6_PS7_SB_SA_S4_S4_S6_SB_SB_SA_SB_SB_,comdat
.Lfunc_end2:
	.size	_ZN9rocsparseL14kernel_freerunILi1024ELi4EfiiEEvT3_S1_T2_PKS2_S4_PKS1_PKT1_21rocsparse_index_base_S4_S4_S6_PS7_SB_SA_S4_S4_S6_SB_SB_SA_SB_SB_, .Lfunc_end2-_ZN9rocsparseL14kernel_freerunILi1024ELi4EfiiEEvT3_S1_T2_PKS2_S4_PKS1_PKT1_21rocsparse_index_base_S4_S4_S6_PS7_SB_SA_S4_S4_S6_SB_SB_SA_SB_SB_
                                        ; -- End function
	.set _ZN9rocsparseL14kernel_freerunILi1024ELi4EfiiEEvT3_S1_T2_PKS2_S4_PKS1_PKT1_21rocsparse_index_base_S4_S4_S6_PS7_SB_SA_S4_S4_S6_SB_SB_SA_SB_SB_.num_vgpr, 37
	.set _ZN9rocsparseL14kernel_freerunILi1024ELi4EfiiEEvT3_S1_T2_PKS2_S4_PKS1_PKT1_21rocsparse_index_base_S4_S4_S6_PS7_SB_SA_S4_S4_S6_SB_SB_SA_SB_SB_.num_agpr, 0
	.set _ZN9rocsparseL14kernel_freerunILi1024ELi4EfiiEEvT3_S1_T2_PKS2_S4_PKS1_PKT1_21rocsparse_index_base_S4_S4_S6_PS7_SB_SA_S4_S4_S6_SB_SB_SA_SB_SB_.numbered_sgpr, 56
	.set _ZN9rocsparseL14kernel_freerunILi1024ELi4EfiiEEvT3_S1_T2_PKS2_S4_PKS1_PKT1_21rocsparse_index_base_S4_S4_S6_PS7_SB_SA_S4_S4_S6_SB_SB_SA_SB_SB_.num_named_barrier, 0
	.set _ZN9rocsparseL14kernel_freerunILi1024ELi4EfiiEEvT3_S1_T2_PKS2_S4_PKS1_PKT1_21rocsparse_index_base_S4_S4_S6_PS7_SB_SA_S4_S4_S6_SB_SB_SA_SB_SB_.private_seg_size, 0
	.set _ZN9rocsparseL14kernel_freerunILi1024ELi4EfiiEEvT3_S1_T2_PKS2_S4_PKS1_PKT1_21rocsparse_index_base_S4_S4_S6_PS7_SB_SA_S4_S4_S6_SB_SB_SA_SB_SB_.uses_vcc, 1
	.set _ZN9rocsparseL14kernel_freerunILi1024ELi4EfiiEEvT3_S1_T2_PKS2_S4_PKS1_PKT1_21rocsparse_index_base_S4_S4_S6_PS7_SB_SA_S4_S4_S6_SB_SB_SA_SB_SB_.uses_flat_scratch, 0
	.set _ZN9rocsparseL14kernel_freerunILi1024ELi4EfiiEEvT3_S1_T2_PKS2_S4_PKS1_PKT1_21rocsparse_index_base_S4_S4_S6_PS7_SB_SA_S4_S4_S6_SB_SB_SA_SB_SB_.has_dyn_sized_stack, 0
	.set _ZN9rocsparseL14kernel_freerunILi1024ELi4EfiiEEvT3_S1_T2_PKS2_S4_PKS1_PKT1_21rocsparse_index_base_S4_S4_S6_PS7_SB_SA_S4_S4_S6_SB_SB_SA_SB_SB_.has_recursion, 0
	.set _ZN9rocsparseL14kernel_freerunILi1024ELi4EfiiEEvT3_S1_T2_PKS2_S4_PKS1_PKT1_21rocsparse_index_base_S4_S4_S6_PS7_SB_SA_S4_S4_S6_SB_SB_SA_SB_SB_.has_indirect_call, 0
	.section	.AMDGPU.csdata,"",@progbits
; Kernel info:
; codeLenInByte = 2320
; TotalNumSgprs: 58
; NumVgprs: 37
; ScratchSize: 0
; MemoryBound: 0
; FloatMode: 240
; IeeeMode: 1
; LDSByteSize: 0 bytes/workgroup (compile time only)
; SGPRBlocks: 0
; VGPRBlocks: 4
; NumSGPRsForWavesPerEU: 58
; NumVGPRsForWavesPerEU: 37
; Occupancy: 16
; WaveLimiterHint : 1
; COMPUTE_PGM_RSRC2:SCRATCH_EN: 0
; COMPUTE_PGM_RSRC2:USER_SGPR: 6
; COMPUTE_PGM_RSRC2:TRAP_HANDLER: 0
; COMPUTE_PGM_RSRC2:TGID_X_EN: 1
; COMPUTE_PGM_RSRC2:TGID_Y_EN: 0
; COMPUTE_PGM_RSRC2:TGID_Z_EN: 0
; COMPUTE_PGM_RSRC2:TIDIG_COMP_CNT: 0
	.section	.text._ZN9rocsparseL14kernel_freerunILi1024ELi8EfiiEEvT3_S1_T2_PKS2_S4_PKS1_PKT1_21rocsparse_index_base_S4_S4_S6_PS7_SB_SA_S4_S4_S6_SB_SB_SA_SB_SB_,"axG",@progbits,_ZN9rocsparseL14kernel_freerunILi1024ELi8EfiiEEvT3_S1_T2_PKS2_S4_PKS1_PKT1_21rocsparse_index_base_S4_S4_S6_PS7_SB_SA_S4_S4_S6_SB_SB_SA_SB_SB_,comdat
	.globl	_ZN9rocsparseL14kernel_freerunILi1024ELi8EfiiEEvT3_S1_T2_PKS2_S4_PKS1_PKT1_21rocsparse_index_base_S4_S4_S6_PS7_SB_SA_S4_S4_S6_SB_SB_SA_SB_SB_ ; -- Begin function _ZN9rocsparseL14kernel_freerunILi1024ELi8EfiiEEvT3_S1_T2_PKS2_S4_PKS1_PKT1_21rocsparse_index_base_S4_S4_S6_PS7_SB_SA_S4_S4_S6_SB_SB_SA_SB_SB_
	.p2align	8
	.type	_ZN9rocsparseL14kernel_freerunILi1024ELi8EfiiEEvT3_S1_T2_PKS2_S4_PKS1_PKT1_21rocsparse_index_base_S4_S4_S6_PS7_SB_SA_S4_S4_S6_SB_SB_SA_SB_SB_,@function
_ZN9rocsparseL14kernel_freerunILi1024ELi8EfiiEEvT3_S1_T2_PKS2_S4_PKS1_PKT1_21rocsparse_index_base_S4_S4_S6_PS7_SB_SA_S4_S4_S6_SB_SB_SA_SB_SB_: ; @_ZN9rocsparseL14kernel_freerunILi1024ELi8EfiiEEvT3_S1_T2_PKS2_S4_PKS1_PKT1_21rocsparse_index_base_S4_S4_S6_PS7_SB_SA_S4_S4_S6_SB_SB_SA_SB_SB_
; %bb.0:
	s_load_dwordx2 s[34:35], s[4:5], 0x0
	v_lshrrev_b32_e32 v1, 3, v0
	s_lshl_b32 s0, s6, 10
	s_mov_b32 s33, 0
	v_or_b32_e32 v18, s0, v1
	s_waitcnt lgkmcnt(0)
	v_cmp_gt_i32_e32 vcc_lo, s35, v18
	s_cmp_gt_i32 s34, 0
	s_cselect_b32 s1, -1, 0
	s_and_b32 s1, vcc_lo, s1
	s_and_saveexec_b32 s2, s1
	s_cbranch_execz .LBB3_55
; %bb.1:
	s_clause 0x8
	s_load_dword s42, s[4:5], 0x30
	s_load_dword s43, s[4:5], 0x60
	;; [unrolled: 1-line block ×3, first 2 shown]
	s_load_dwordx2 s[6:7], s[4:5], 0x88
	s_load_dwordx2 s[40:41], s[4:5], 0x58
	s_load_dwordx4 s[36:39], s[4:5], 0x98
	s_load_dwordx8 s[8:15], s[4:5], 0x68
	s_load_dwordx8 s[16:23], s[4:5], 0x38
	;; [unrolled: 1-line block ×3, first 2 shown]
	v_and_b32_e32 v0, 7, v0
	s_add_i32 s4, s0, 0x400
	v_mov_b32_e32 v1, 0
	v_cmp_gt_u32_e64 s0, s4, v18
	v_cmp_eq_u32_e64 s1, 0, v0
	s_waitcnt lgkmcnt(0)
	v_subrev_nc_u32_e32 v19, s42, v0
	v_subrev_nc_u32_e32 v20, s43, v0
	;; [unrolled: 1-line block ×3, first 2 shown]
	s_branch .LBB3_3
.LBB3_2:                                ;   in Loop: Header=BB3_3 Depth=1
	s_or_b32 exec_lo, exec_lo, s3
	s_add_i32 s33, s33, 1
	s_cmp_eq_u32 s33, s34
	s_cbranch_scc1 .LBB3_55
.LBB3_3:                                ; =>This Loop Header: Depth=1
                                        ;     Child Loop BB3_5 Depth 2
                                        ;       Child Loop BB3_9 Depth 3
                                        ;         Child Loop BB3_13 Depth 4
                                        ;         Child Loop BB3_29 Depth 4
	;; [unrolled: 1-line block ×3, first 2 shown]
                                        ;     Child Loop BB3_46 Depth 2
                                        ;       Child Loop BB3_49 Depth 3
                                        ;       Child Loop BB3_52 Depth 3
	s_mov_b32 s5, 0
	s_branch .LBB3_5
.LBB3_4:                                ;   in Loop: Header=BB3_5 Depth=2
	s_or_b32 exec_lo, exec_lo, s45
	s_add_i32 s5, s5, 1
	s_cmp_eq_u32 s5, 8
	s_cbranch_scc1 .LBB3_43
.LBB3_5:                                ;   Parent Loop BB3_3 Depth=1
                                        ; =>  This Loop Header: Depth=2
                                        ;       Child Loop BB3_9 Depth 3
                                        ;         Child Loop BB3_13 Depth 4
                                        ;         Child Loop BB3_29 Depth 4
	;; [unrolled: 1-line block ×3, first 2 shown]
	v_lshl_add_u32 v2, s5, 7, v18
	s_mov_b32 s45, exec_lo
	v_cmpx_gt_i32_e64 s35, v2
	s_cbranch_execz .LBB3_4
; %bb.6:                                ;   in Loop: Header=BB3_5 Depth=2
	v_ashrrev_i32_e32 v3, 31, v2
	v_lshlrev_b64 v[4:5], 2, v[2:3]
	v_add_co_u32 v6, vcc_lo, s24, v4
	v_add_co_ci_u32_e64 v7, null, s25, v5, vcc_lo
	v_add_co_u32 v8, vcc_lo, s26, v4
	v_add_co_ci_u32_e64 v9, null, s27, v5, vcc_lo
	global_load_dword v0, v[6:7], off
	global_load_dword v6, v[8:9], off
	s_waitcnt vmcnt(1)
	v_add_nc_u32_e32 v3, v19, v0
	s_waitcnt vmcnt(0)
	v_subrev_nc_u32_e32 v22, s42, v6
	v_cmp_lt_i32_e32 vcc_lo, v3, v22
	s_and_b32 exec_lo, exec_lo, vcc_lo
	s_cbranch_execz .LBB3_4
; %bb.7:                                ;   in Loop: Header=BB3_5 Depth=2
	v_add_co_u32 v6, vcc_lo, s16, v4
	v_add_co_ci_u32_e64 v7, null, s17, v5, vcc_lo
	v_add_co_u32 v4, vcc_lo, s18, v4
	v_add_co_ci_u32_e64 v5, null, s19, v5, vcc_lo
	global_load_dword v0, v[6:7], off
	s_mov_b32 s46, 0
	global_load_dword v4, v[4:5], off
	s_waitcnt vmcnt(1)
	v_subrev_nc_u32_e32 v5, s43, v0
	s_waitcnt vmcnt(0)
	v_sub_nc_u32_e32 v23, v4, v0
	v_ashrrev_i32_e32 v6, 31, v5
	v_cmp_lt_i32_e64 s2, 0, v23
	v_lshlrev_b64 v[6:7], 2, v[5:6]
	v_add_co_u32 v24, vcc_lo, s20, v6
	v_add_co_ci_u32_e64 v25, null, s21, v7, vcc_lo
	v_add_co_u32 v26, vcc_lo, s22, v6
	v_add_co_ci_u32_e64 v27, null, s23, v7, vcc_lo
	s_branch .LBB3_9
.LBB3_8:                                ;   in Loop: Header=BB3_9 Depth=3
	s_or_b32 exec_lo, exec_lo, s47
	v_add_nc_u32_e32 v3, 8, v3
	v_cmp_ge_i32_e32 vcc_lo, v3, v22
	s_or_b32 s46, vcc_lo, s46
	s_andn2_b32 exec_lo, exec_lo, s46
	s_cbranch_execz .LBB3_4
.LBB3_9:                                ;   Parent Loop BB3_3 Depth=1
                                        ;     Parent Loop BB3_5 Depth=2
                                        ; =>    This Loop Header: Depth=3
                                        ;         Child Loop BB3_13 Depth 4
                                        ;         Child Loop BB3_29 Depth 4
	;; [unrolled: 1-line block ×3, first 2 shown]
	v_ashrrev_i32_e32 v4, 31, v3
	v_mov_b32_e32 v28, 0
	v_lshlrev_b64 v[12:13], 2, v[3:4]
	v_add_co_u32 v6, vcc_lo, s28, v12
	v_add_co_ci_u32_e64 v7, null, s29, v13, vcc_lo
	global_load_dword v0, v[6:7], off
	s_waitcnt vmcnt(0)
	v_subrev_nc_u32_e32 v6, s42, v0
	v_ashrrev_i32_e32 v7, 31, v6
	v_lshlrev_b64 v[10:11], 2, v[6:7]
	v_add_co_u32 v7, vcc_lo, s8, v10
	v_add_co_ci_u32_e64 v8, null, s9, v11, vcc_lo
	v_add_co_u32 v14, vcc_lo, s10, v10
	v_add_co_ci_u32_e64 v15, null, s11, v11, vcc_lo
	global_load_dword v0, v[7:8], off
	global_load_dword v4, v[14:15], off
	v_mov_b32_e32 v8, 0
	s_waitcnt vmcnt(1)
	v_subrev_nc_u32_e32 v7, s44, v0
	s_waitcnt vmcnt(0)
	v_sub_nc_u32_e32 v4, v4, v0
	v_mov_b32_e32 v0, v8
	s_and_saveexec_b32 s47, s2
	s_cbranch_execz .LBB3_17
; %bb.10:                               ;   in Loop: Header=BB3_9 Depth=3
	v_ashrrev_i32_e32 v8, 31, v7
	v_mov_b32_e32 v28, 0
	v_mov_b32_e32 v0, 0
	s_mov_b32 s48, 0
                                        ; implicit-def: $sgpr49
	v_lshlrev_b64 v[8:9], 2, v[7:8]
	v_add_co_u32 v29, vcc_lo, s12, v8
	v_add_co_ci_u32_e64 v30, null, s13, v9, vcc_lo
	v_add_co_u32 v31, vcc_lo, s14, v8
	v_add_co_ci_u32_e64 v32, null, s15, v9, vcc_lo
	v_mov_b32_e32 v8, 0
	s_branch .LBB3_13
.LBB3_11:                               ;   in Loop: Header=BB3_13 Depth=4
	s_or_b32 exec_lo, exec_lo, s3
	v_cmp_le_i32_e32 vcc_lo, v9, v33
	v_cmp_ge_i32_e64 s3, v9, v33
	v_add_co_ci_u32_e64 v0, null, 0, v0, vcc_lo
	v_add_co_ci_u32_e64 v8, null, 0, v8, s3
	s_andn2_b32 s3, s49, exec_lo
	v_cmp_ge_i32_e32 vcc_lo, v0, v23
	s_and_b32 s49, vcc_lo, exec_lo
	s_or_b32 s49, s3, s49
.LBB3_12:                               ;   in Loop: Header=BB3_13 Depth=4
	s_or_b32 exec_lo, exec_lo, s50
	s_and_b32 s3, exec_lo, s49
	s_or_b32 s48, s3, s48
	s_andn2_b32 exec_lo, exec_lo, s48
	s_cbranch_execz .LBB3_16
.LBB3_13:                               ;   Parent Loop BB3_3 Depth=1
                                        ;     Parent Loop BB3_5 Depth=2
                                        ;       Parent Loop BB3_9 Depth=3
                                        ; =>      This Inner Loop Header: Depth=4
	s_or_b32 s49, s49, exec_lo
	s_mov_b32 s50, exec_lo
	v_cmpx_lt_i32_e64 v8, v4
	s_cbranch_execz .LBB3_12
; %bb.14:                               ;   in Loop: Header=BB3_13 Depth=4
	v_mov_b32_e32 v9, v1
	v_lshlrev_b64 v[16:17], 2, v[0:1]
	s_mov_b32 s3, exec_lo
	v_lshlrev_b64 v[14:15], 2, v[8:9]
	v_add_co_u32 v33, vcc_lo, v24, v16
	v_add_co_ci_u32_e64 v34, null, v25, v17, vcc_lo
	v_add_co_u32 v35, vcc_lo, v29, v14
	v_add_co_ci_u32_e64 v36, null, v30, v15, vcc_lo
	global_load_dword v9, v[33:34], off
	global_load_dword v33, v[35:36], off
	s_waitcnt vmcnt(1)
	v_subrev_nc_u32_e32 v9, s43, v9
	s_waitcnt vmcnt(0)
	v_subrev_nc_u32_e32 v33, s44, v33
	v_cmpx_eq_u32_e64 v9, v33
	s_cbranch_execz .LBB3_11
; %bb.15:                               ;   in Loop: Header=BB3_13 Depth=4
	v_add_co_u32 v16, vcc_lo, v26, v16
	v_add_co_ci_u32_e64 v17, null, v27, v17, vcc_lo
	v_add_co_u32 v14, vcc_lo, v31, v14
	v_add_co_ci_u32_e64 v15, null, v32, v15, vcc_lo
	global_load_dword v16, v[16:17], off
	global_load_dword v14, v[14:15], off
	s_waitcnt vmcnt(0)
	v_fmac_f32_e32 v28, v16, v14
	s_branch .LBB3_11
.LBB3_16:                               ;   in Loop: Header=BB3_9 Depth=3
	s_or_b32 exec_lo, exec_lo, s48
.LBB3_17:                               ;   in Loop: Header=BB3_9 Depth=3
	s_or_b32 exec_lo, exec_lo, s47
	v_add_co_u32 v12, vcc_lo, s30, v12
	v_add_co_ci_u32_e64 v13, null, s31, v13, vcc_lo
	v_cmp_le_i32_e64 s3, v2, v6
	s_mov_b32 s47, exec_lo
	global_load_dword v9, v[12:13], off
	s_waitcnt vmcnt(0)
	v_sub_f32_e32 v12, v9, v28
	v_cmpx_gt_i32_e64 v2, v6
	s_cbranch_execz .LBB3_21
; %bb.18:                               ;   in Loop: Header=BB3_9 Depth=3
	v_add_co_u32 v13, vcc_lo, s36, v10
	v_add_co_ci_u32_e64 v14, null, s37, v11, vcc_lo
	s_mov_b32 s48, exec_lo
	global_load_dword v9, v[13:14], off
	v_mov_b32_e32 v13, 0
	s_waitcnt vmcnt(0)
	v_cmpx_lg_f32_e32 0, v9
	s_cbranch_execz .LBB3_20
; %bb.19:                               ;   in Loop: Header=BB3_9 Depth=3
	v_div_scale_f32 v13, null, v9, v9, v12
	v_rcp_f32_e32 v14, v13
	v_fma_f32 v15, -v13, v14, 1.0
	v_fmac_f32_e32 v14, v15, v14
	v_div_scale_f32 v15, vcc_lo, v12, v9, v12
	v_mul_f32_e32 v16, v15, v14
	v_fma_f32 v17, -v13, v16, v15
	v_fmac_f32_e32 v16, v17, v14
	v_fma_f32 v13, -v13, v16, v15
	v_div_fmas_f32 v13, v13, v14, v16
	v_div_fixup_f32 v13, v13, v9, v12
.LBB3_20:                               ;   in Loop: Header=BB3_9 Depth=3
	s_or_b32 exec_lo, exec_lo, s48
	v_mov_b32_e32 v12, v13
.LBB3_21:                               ;   in Loop: Header=BB3_9 Depth=3
	s_or_b32 exec_lo, exec_lo, s47
	v_cmp_class_f32_e64 s48, v12, 0x1f8
	s_and_saveexec_b32 s47, s48
	s_cbranch_execz .LBB3_8
; %bb.22:                               ;   in Loop: Header=BB3_9 Depth=3
	s_and_saveexec_b32 s48, s3
	s_xor_b32 s3, exec_lo, s48
	s_cbranch_execz .LBB3_35
; %bb.23:                               ;   in Loop: Header=BB3_9 Depth=3
	s_mov_b32 s48, exec_lo
	v_cmpx_ge_i32_e64 v2, v6
	s_xor_b32 s48, exec_lo, s48
	s_cbranch_execz .LBB3_25
; %bb.24:                               ;   in Loop: Header=BB3_9 Depth=3
	v_add_co_u32 v6, vcc_lo, s38, v10
	v_add_co_ci_u32_e64 v7, null, s39, v11, vcc_lo
                                        ; implicit-def: $vgpr8
                                        ; implicit-def: $vgpr4
	global_store_dword v[6:7], v12, off
                                        ; implicit-def: $vgpr12
                                        ; implicit-def: $vgpr7
.LBB3_25:                               ;   in Loop: Header=BB3_9 Depth=3
	s_andn2_saveexec_b32 s48, s48
	s_cbranch_execz .LBB3_34
; %bb.26:                               ;   in Loop: Header=BB3_9 Depth=3
	s_mov_b32 s49, exec_lo
	v_cmpx_lt_i32_e64 v8, v4
	s_cbranch_execz .LBB3_33
; %bb.27:                               ;   in Loop: Header=BB3_9 Depth=3
	s_mov_b32 s50, 0
                                        ; implicit-def: $sgpr51
                                        ; implicit-def: $sgpr53
                                        ; implicit-def: $sgpr52
	s_inst_prefetch 0x1
	s_branch .LBB3_29
	.p2align	6
.LBB3_28:                               ;   in Loop: Header=BB3_29 Depth=4
	s_or_b32 exec_lo, exec_lo, s54
	s_and_b32 s54, exec_lo, s53
	s_or_b32 s50, s54, s50
	s_andn2_b32 s51, s51, exec_lo
	s_and_b32 s54, s52, exec_lo
	s_or_b32 s51, s51, s54
	s_andn2_b32 exec_lo, exec_lo, s50
	s_cbranch_execz .LBB3_31
.LBB3_29:                               ;   Parent Loop BB3_3 Depth=1
                                        ;     Parent Loop BB3_5 Depth=2
                                        ;       Parent Loop BB3_9 Depth=3
                                        ; =>      This Inner Loop Header: Depth=4
	v_add_nc_u32_e32 v9, v7, v8
	s_or_b32 s52, s52, exec_lo
	s_or_b32 s53, s53, exec_lo
	s_mov_b32 s54, exec_lo
	v_ashrrev_i32_e32 v10, 31, v9
	v_lshlrev_b64 v[9:10], 2, v[9:10]
	v_add_co_u32 v13, vcc_lo, s12, v9
	v_add_co_ci_u32_e64 v14, null, s13, v10, vcc_lo
	global_load_dword v0, v[13:14], off
	s_waitcnt vmcnt(0)
	v_subrev_nc_u32_e32 v0, s44, v0
	v_cmpx_ne_u32_e64 v0, v2
	s_cbranch_execz .LBB3_28
; %bb.30:                               ;   in Loop: Header=BB3_29 Depth=4
	v_add_nc_u32_e32 v8, 1, v8
	s_andn2_b32 s53, s53, exec_lo
	s_andn2_b32 s52, s52, exec_lo
	v_cmp_ge_i32_e32 vcc_lo, v8, v4
	s_and_b32 s55, vcc_lo, exec_lo
	s_or_b32 s53, s53, s55
	s_branch .LBB3_28
.LBB3_31:                               ;   in Loop: Header=BB3_9 Depth=3
	s_inst_prefetch 0x2
	s_or_b32 exec_lo, exec_lo, s50
	s_and_saveexec_b32 s50, s51
	s_xor_b32 s50, exec_lo, s50
	s_cbranch_execz .LBB3_33
; %bb.32:                               ;   in Loop: Header=BB3_9 Depth=3
	v_add_co_u32 v6, vcc_lo, s6, v9
	v_add_co_ci_u32_e64 v7, null, s7, v10, vcc_lo
	global_store_dword v[6:7], v12, off
.LBB3_33:                               ;   in Loop: Header=BB3_9 Depth=3
	s_or_b32 exec_lo, exec_lo, s49
.LBB3_34:                               ;   in Loop: Header=BB3_9 Depth=3
	s_or_b32 exec_lo, exec_lo, s48
                                        ; implicit-def: $vgpr12
                                        ; implicit-def: $vgpr6_vgpr7
.LBB3_35:                               ;   in Loop: Header=BB3_9 Depth=3
	s_andn2_saveexec_b32 s3, s3
	s_cbranch_execz .LBB3_8
; %bb.36:                               ;   in Loop: Header=BB3_9 Depth=3
	v_cmp_lt_i32_e32 vcc_lo, v0, v23
	s_and_b32 exec_lo, exec_lo, vcc_lo
	s_cbranch_execz .LBB3_8
; %bb.37:                               ;   in Loop: Header=BB3_9 Depth=3
	s_mov_b32 s3, 0
                                        ; implicit-def: $sgpr48
                                        ; implicit-def: $sgpr50
                                        ; implicit-def: $sgpr49
	s_inst_prefetch 0x1
	s_branch .LBB3_39
	.p2align	6
.LBB3_38:                               ;   in Loop: Header=BB3_39 Depth=4
	s_or_b32 exec_lo, exec_lo, s51
	s_and_b32 s51, exec_lo, s50
	s_or_b32 s3, s51, s3
	s_andn2_b32 s48, s48, exec_lo
	s_and_b32 s51, s49, exec_lo
	s_or_b32 s48, s48, s51
	s_andn2_b32 exec_lo, exec_lo, s3
	s_cbranch_execz .LBB3_41
.LBB3_39:                               ;   Parent Loop BB3_3 Depth=1
                                        ;     Parent Loop BB3_5 Depth=2
                                        ;       Parent Loop BB3_9 Depth=3
                                        ; =>      This Inner Loop Header: Depth=4
	v_add_nc_u32_e32 v7, v5, v0
	s_or_b32 s49, s49, exec_lo
	s_or_b32 s50, s50, exec_lo
	s_mov_b32 s51, exec_lo
	v_ashrrev_i32_e32 v8, 31, v7
	v_lshlrev_b64 v[7:8], 2, v[7:8]
	v_add_co_u32 v9, vcc_lo, s20, v7
	v_add_co_ci_u32_e64 v10, null, s21, v8, vcc_lo
	global_load_dword v4, v[9:10], off
	s_waitcnt vmcnt(0)
	v_subrev_nc_u32_e32 v4, s43, v4
	v_cmpx_ne_u32_e64 v4, v6
	s_cbranch_execz .LBB3_38
; %bb.40:                               ;   in Loop: Header=BB3_39 Depth=4
	v_add_nc_u32_e32 v0, 1, v0
	s_andn2_b32 s50, s50, exec_lo
	s_andn2_b32 s49, s49, exec_lo
	v_cmp_ge_i32_e32 vcc_lo, v0, v23
	s_and_b32 s52, vcc_lo, exec_lo
	s_or_b32 s50, s50, s52
	s_branch .LBB3_38
.LBB3_41:                               ;   in Loop: Header=BB3_9 Depth=3
	s_inst_prefetch 0x2
	s_or_b32 exec_lo, exec_lo, s3
	s_and_saveexec_b32 s3, s48
	s_xor_b32 s3, exec_lo, s3
	s_cbranch_execz .LBB3_8
; %bb.42:                               ;   in Loop: Header=BB3_9 Depth=3
	v_add_co_u32 v6, vcc_lo, s40, v7
	v_add_co_ci_u32_e64 v7, null, s41, v8, vcc_lo
	global_store_dword v[6:7], v12, off
	s_branch .LBB3_8
.LBB3_43:                               ;   in Loop: Header=BB3_3 Depth=1
	s_and_saveexec_b32 s3, s0
	s_cbranch_execz .LBB3_2
; %bb.44:                               ;   in Loop: Header=BB3_3 Depth=1
	v_mov_b32_e32 v2, v18
	s_mov_b32 s5, 0
	s_branch .LBB3_46
.LBB3_45:                               ;   in Loop: Header=BB3_46 Depth=2
	s_or_b32 exec_lo, exec_lo, s45
	v_add_nc_u32_e32 v2, 0x80, v2
	v_cmp_le_u32_e32 vcc_lo, s4, v2
	s_or_b32 s5, vcc_lo, s5
	s_andn2_b32 exec_lo, exec_lo, s5
	s_cbranch_execz .LBB3_2
.LBB3_46:                               ;   Parent Loop BB3_3 Depth=1
                                        ; =>  This Loop Header: Depth=2
                                        ;       Child Loop BB3_49 Depth 3
                                        ;       Child Loop BB3_52 Depth 3
	s_mov_b32 s45, exec_lo
	v_cmpx_gt_i32_e64 s35, v2
	s_cbranch_execz .LBB3_45
; %bb.47:                               ;   in Loop: Header=BB3_46 Depth=2
	v_ashrrev_i32_e32 v3, 31, v2
	s_mov_b32 s46, exec_lo
	v_lshlrev_b64 v[3:4], 2, v[2:3]
	v_add_co_u32 v5, vcc_lo, s16, v3
	v_add_co_ci_u32_e64 v6, null, s17, v4, vcc_lo
	v_add_co_u32 v7, vcc_lo, s18, v3
	v_add_co_ci_u32_e64 v8, null, s19, v4, vcc_lo
	global_load_dword v0, v[5:6], off
	global_load_dword v6, v[7:8], off
	s_waitcnt vmcnt(1)
	v_add_nc_u32_e32 v5, v20, v0
	s_waitcnt vmcnt(0)
	v_subrev_nc_u32_e32 v0, s43, v6
	v_cmpx_lt_i32_e64 v5, v0
	s_cbranch_execz .LBB3_50
; %bb.48:                               ;   in Loop: Header=BB3_46 Depth=2
	v_ashrrev_i32_e32 v6, 31, v5
	s_mov_b32 s47, 0
	v_lshlrev_b64 v[8:9], 2, v[5:6]
	v_add_co_u32 v6, vcc_lo, s40, v8
	v_add_co_ci_u32_e64 v7, null, s41, v9, vcc_lo
	v_add_co_u32 v8, vcc_lo, s22, v8
	v_add_co_ci_u32_e64 v9, null, s23, v9, vcc_lo
	.p2align	6
.LBB3_49:                               ;   Parent Loop BB3_3 Depth=1
                                        ;     Parent Loop BB3_46 Depth=2
                                        ; =>    This Inner Loop Header: Depth=3
	global_load_dword v10, v[6:7], off
	v_add_nc_u32_e32 v5, 8, v5
	v_add_co_u32 v6, vcc_lo, v6, 32
	v_add_co_ci_u32_e64 v7, null, 0, v7, vcc_lo
	v_cmp_ge_i32_e32 vcc_lo, v5, v0
	s_or_b32 s47, vcc_lo, s47
	s_waitcnt vmcnt(0)
	global_store_dword v[8:9], v10, off
	v_add_co_u32 v8, s2, v8, 32
	v_add_co_ci_u32_e64 v9, null, 0, v9, s2
	s_andn2_b32 exec_lo, exec_lo, s47
	s_cbranch_execnz .LBB3_49
.LBB3_50:                               ;   in Loop: Header=BB3_46 Depth=2
	s_or_b32 exec_lo, exec_lo, s46
	v_add_co_u32 v5, vcc_lo, s8, v3
	v_add_co_ci_u32_e64 v6, null, s9, v4, vcc_lo
	v_add_co_u32 v7, vcc_lo, s10, v3
	v_add_co_ci_u32_e64 v8, null, s11, v4, vcc_lo
	global_load_dword v0, v[5:6], off
	global_load_dword v6, v[7:8], off
	s_mov_b32 s46, exec_lo
	s_waitcnt vmcnt(1)
	v_add_nc_u32_e32 v5, v21, v0
	s_waitcnt vmcnt(0)
	v_subrev_nc_u32_e32 v0, s44, v6
	v_cmpx_lt_i32_e64 v5, v0
	s_cbranch_execz .LBB3_53
; %bb.51:                               ;   in Loop: Header=BB3_46 Depth=2
	v_ashrrev_i32_e32 v6, 31, v5
	s_mov_b32 s47, 0
	v_lshlrev_b64 v[8:9], 2, v[5:6]
	v_add_co_u32 v6, vcc_lo, s6, v8
	v_add_co_ci_u32_e64 v7, null, s7, v9, vcc_lo
	v_add_co_u32 v8, vcc_lo, s14, v8
	v_add_co_ci_u32_e64 v9, null, s15, v9, vcc_lo
	.p2align	6
.LBB3_52:                               ;   Parent Loop BB3_3 Depth=1
                                        ;     Parent Loop BB3_46 Depth=2
                                        ; =>    This Inner Loop Header: Depth=3
	global_load_dword v10, v[6:7], off
	v_add_nc_u32_e32 v5, 8, v5
	v_add_co_u32 v6, vcc_lo, v6, 32
	v_add_co_ci_u32_e64 v7, null, 0, v7, vcc_lo
	v_cmp_ge_i32_e32 vcc_lo, v5, v0
	s_or_b32 s47, vcc_lo, s47
	s_waitcnt vmcnt(0)
	global_store_dword v[8:9], v10, off
	v_add_co_u32 v8, s2, v8, 32
	v_add_co_ci_u32_e64 v9, null, 0, v9, s2
	s_andn2_b32 exec_lo, exec_lo, s47
	s_cbranch_execnz .LBB3_52
.LBB3_53:                               ;   in Loop: Header=BB3_46 Depth=2
	s_or_b32 exec_lo, exec_lo, s46
	s_and_b32 exec_lo, exec_lo, s1
	s_cbranch_execz .LBB3_45
; %bb.54:                               ;   in Loop: Header=BB3_46 Depth=2
	v_add_co_u32 v5, vcc_lo, s38, v3
	v_add_co_ci_u32_e64 v6, null, s39, v4, vcc_lo
	v_add_co_u32 v3, vcc_lo, s36, v3
	v_add_co_ci_u32_e64 v4, null, s37, v4, vcc_lo
	global_load_dword v0, v[5:6], off
	s_waitcnt vmcnt(0)
	global_store_dword v[3:4], v0, off
	s_branch .LBB3_45
.LBB3_55:
	s_endpgm
	.section	.rodata,"a",@progbits
	.p2align	6, 0x0
	.amdhsa_kernel _ZN9rocsparseL14kernel_freerunILi1024ELi8EfiiEEvT3_S1_T2_PKS2_S4_PKS1_PKT1_21rocsparse_index_base_S4_S4_S6_PS7_SB_SA_S4_S4_S6_SB_SB_SA_SB_SB_
		.amdhsa_group_segment_fixed_size 0
		.amdhsa_private_segment_fixed_size 0
		.amdhsa_kernarg_size 168
		.amdhsa_user_sgpr_count 6
		.amdhsa_user_sgpr_private_segment_buffer 1
		.amdhsa_user_sgpr_dispatch_ptr 0
		.amdhsa_user_sgpr_queue_ptr 0
		.amdhsa_user_sgpr_kernarg_segment_ptr 1
		.amdhsa_user_sgpr_dispatch_id 0
		.amdhsa_user_sgpr_flat_scratch_init 0
		.amdhsa_user_sgpr_private_segment_size 0
		.amdhsa_wavefront_size32 1
		.amdhsa_uses_dynamic_stack 0
		.amdhsa_system_sgpr_private_segment_wavefront_offset 0
		.amdhsa_system_sgpr_workgroup_id_x 1
		.amdhsa_system_sgpr_workgroup_id_y 0
		.amdhsa_system_sgpr_workgroup_id_z 0
		.amdhsa_system_sgpr_workgroup_info 0
		.amdhsa_system_vgpr_workitem_id 0
		.amdhsa_next_free_vgpr 37
		.amdhsa_next_free_sgpr 56
		.amdhsa_reserve_vcc 1
		.amdhsa_reserve_flat_scratch 0
		.amdhsa_float_round_mode_32 0
		.amdhsa_float_round_mode_16_64 0
		.amdhsa_float_denorm_mode_32 3
		.amdhsa_float_denorm_mode_16_64 3
		.amdhsa_dx10_clamp 1
		.amdhsa_ieee_mode 1
		.amdhsa_fp16_overflow 0
		.amdhsa_workgroup_processor_mode 1
		.amdhsa_memory_ordered 1
		.amdhsa_forward_progress 1
		.amdhsa_shared_vgpr_count 0
		.amdhsa_exception_fp_ieee_invalid_op 0
		.amdhsa_exception_fp_denorm_src 0
		.amdhsa_exception_fp_ieee_div_zero 0
		.amdhsa_exception_fp_ieee_overflow 0
		.amdhsa_exception_fp_ieee_underflow 0
		.amdhsa_exception_fp_ieee_inexact 0
		.amdhsa_exception_int_div_zero 0
	.end_amdhsa_kernel
	.section	.text._ZN9rocsparseL14kernel_freerunILi1024ELi8EfiiEEvT3_S1_T2_PKS2_S4_PKS1_PKT1_21rocsparse_index_base_S4_S4_S6_PS7_SB_SA_S4_S4_S6_SB_SB_SA_SB_SB_,"axG",@progbits,_ZN9rocsparseL14kernel_freerunILi1024ELi8EfiiEEvT3_S1_T2_PKS2_S4_PKS1_PKT1_21rocsparse_index_base_S4_S4_S6_PS7_SB_SA_S4_S4_S6_SB_SB_SA_SB_SB_,comdat
.Lfunc_end3:
	.size	_ZN9rocsparseL14kernel_freerunILi1024ELi8EfiiEEvT3_S1_T2_PKS2_S4_PKS1_PKT1_21rocsparse_index_base_S4_S4_S6_PS7_SB_SA_S4_S4_S6_SB_SB_SA_SB_SB_, .Lfunc_end3-_ZN9rocsparseL14kernel_freerunILi1024ELi8EfiiEEvT3_S1_T2_PKS2_S4_PKS1_PKT1_21rocsparse_index_base_S4_S4_S6_PS7_SB_SA_S4_S4_S6_SB_SB_SA_SB_SB_
                                        ; -- End function
	.set _ZN9rocsparseL14kernel_freerunILi1024ELi8EfiiEEvT3_S1_T2_PKS2_S4_PKS1_PKT1_21rocsparse_index_base_S4_S4_S6_PS7_SB_SA_S4_S4_S6_SB_SB_SA_SB_SB_.num_vgpr, 37
	.set _ZN9rocsparseL14kernel_freerunILi1024ELi8EfiiEEvT3_S1_T2_PKS2_S4_PKS1_PKT1_21rocsparse_index_base_S4_S4_S6_PS7_SB_SA_S4_S4_S6_SB_SB_SA_SB_SB_.num_agpr, 0
	.set _ZN9rocsparseL14kernel_freerunILi1024ELi8EfiiEEvT3_S1_T2_PKS2_S4_PKS1_PKT1_21rocsparse_index_base_S4_S4_S6_PS7_SB_SA_S4_S4_S6_SB_SB_SA_SB_SB_.numbered_sgpr, 56
	.set _ZN9rocsparseL14kernel_freerunILi1024ELi8EfiiEEvT3_S1_T2_PKS2_S4_PKS1_PKT1_21rocsparse_index_base_S4_S4_S6_PS7_SB_SA_S4_S4_S6_SB_SB_SA_SB_SB_.num_named_barrier, 0
	.set _ZN9rocsparseL14kernel_freerunILi1024ELi8EfiiEEvT3_S1_T2_PKS2_S4_PKS1_PKT1_21rocsparse_index_base_S4_S4_S6_PS7_SB_SA_S4_S4_S6_SB_SB_SA_SB_SB_.private_seg_size, 0
	.set _ZN9rocsparseL14kernel_freerunILi1024ELi8EfiiEEvT3_S1_T2_PKS2_S4_PKS1_PKT1_21rocsparse_index_base_S4_S4_S6_PS7_SB_SA_S4_S4_S6_SB_SB_SA_SB_SB_.uses_vcc, 1
	.set _ZN9rocsparseL14kernel_freerunILi1024ELi8EfiiEEvT3_S1_T2_PKS2_S4_PKS1_PKT1_21rocsparse_index_base_S4_S4_S6_PS7_SB_SA_S4_S4_S6_SB_SB_SA_SB_SB_.uses_flat_scratch, 0
	.set _ZN9rocsparseL14kernel_freerunILi1024ELi8EfiiEEvT3_S1_T2_PKS2_S4_PKS1_PKT1_21rocsparse_index_base_S4_S4_S6_PS7_SB_SA_S4_S4_S6_SB_SB_SA_SB_SB_.has_dyn_sized_stack, 0
	.set _ZN9rocsparseL14kernel_freerunILi1024ELi8EfiiEEvT3_S1_T2_PKS2_S4_PKS1_PKT1_21rocsparse_index_base_S4_S4_S6_PS7_SB_SA_S4_S4_S6_SB_SB_SA_SB_SB_.has_recursion, 0
	.set _ZN9rocsparseL14kernel_freerunILi1024ELi8EfiiEEvT3_S1_T2_PKS2_S4_PKS1_PKT1_21rocsparse_index_base_S4_S4_S6_PS7_SB_SA_S4_S4_S6_SB_SB_SA_SB_SB_.has_indirect_call, 0
	.section	.AMDGPU.csdata,"",@progbits
; Kernel info:
; codeLenInByte = 2320
; TotalNumSgprs: 58
; NumVgprs: 37
; ScratchSize: 0
; MemoryBound: 0
; FloatMode: 240
; IeeeMode: 1
; LDSByteSize: 0 bytes/workgroup (compile time only)
; SGPRBlocks: 0
; VGPRBlocks: 4
; NumSGPRsForWavesPerEU: 58
; NumVGPRsForWavesPerEU: 37
; Occupancy: 16
; WaveLimiterHint : 1
; COMPUTE_PGM_RSRC2:SCRATCH_EN: 0
; COMPUTE_PGM_RSRC2:USER_SGPR: 6
; COMPUTE_PGM_RSRC2:TRAP_HANDLER: 0
; COMPUTE_PGM_RSRC2:TGID_X_EN: 1
; COMPUTE_PGM_RSRC2:TGID_Y_EN: 0
; COMPUTE_PGM_RSRC2:TGID_Z_EN: 0
; COMPUTE_PGM_RSRC2:TIDIG_COMP_CNT: 0
	.section	.text._ZN9rocsparseL14kernel_freerunILi1024ELi16EfiiEEvT3_S1_T2_PKS2_S4_PKS1_PKT1_21rocsparse_index_base_S4_S4_S6_PS7_SB_SA_S4_S4_S6_SB_SB_SA_SB_SB_,"axG",@progbits,_ZN9rocsparseL14kernel_freerunILi1024ELi16EfiiEEvT3_S1_T2_PKS2_S4_PKS1_PKT1_21rocsparse_index_base_S4_S4_S6_PS7_SB_SA_S4_S4_S6_SB_SB_SA_SB_SB_,comdat
	.globl	_ZN9rocsparseL14kernel_freerunILi1024ELi16EfiiEEvT3_S1_T2_PKS2_S4_PKS1_PKT1_21rocsparse_index_base_S4_S4_S6_PS7_SB_SA_S4_S4_S6_SB_SB_SA_SB_SB_ ; -- Begin function _ZN9rocsparseL14kernel_freerunILi1024ELi16EfiiEEvT3_S1_T2_PKS2_S4_PKS1_PKT1_21rocsparse_index_base_S4_S4_S6_PS7_SB_SA_S4_S4_S6_SB_SB_SA_SB_SB_
	.p2align	8
	.type	_ZN9rocsparseL14kernel_freerunILi1024ELi16EfiiEEvT3_S1_T2_PKS2_S4_PKS1_PKT1_21rocsparse_index_base_S4_S4_S6_PS7_SB_SA_S4_S4_S6_SB_SB_SA_SB_SB_,@function
_ZN9rocsparseL14kernel_freerunILi1024ELi16EfiiEEvT3_S1_T2_PKS2_S4_PKS1_PKT1_21rocsparse_index_base_S4_S4_S6_PS7_SB_SA_S4_S4_S6_SB_SB_SA_SB_SB_: ; @_ZN9rocsparseL14kernel_freerunILi1024ELi16EfiiEEvT3_S1_T2_PKS2_S4_PKS1_PKT1_21rocsparse_index_base_S4_S4_S6_PS7_SB_SA_S4_S4_S6_SB_SB_SA_SB_SB_
; %bb.0:
	s_load_dwordx2 s[34:35], s[4:5], 0x0
	v_lshrrev_b32_e32 v1, 4, v0
	s_lshl_b32 s0, s6, 10
	s_mov_b32 s33, 0
	v_or_b32_e32 v18, s0, v1
	s_waitcnt lgkmcnt(0)
	v_cmp_gt_i32_e32 vcc_lo, s35, v18
	s_cmp_gt_i32 s34, 0
	s_cselect_b32 s1, -1, 0
	s_and_b32 s1, vcc_lo, s1
	s_and_saveexec_b32 s2, s1
	s_cbranch_execz .LBB4_55
; %bb.1:
	s_clause 0x8
	s_load_dword s42, s[4:5], 0x30
	s_load_dword s43, s[4:5], 0x60
	;; [unrolled: 1-line block ×3, first 2 shown]
	s_load_dwordx2 s[6:7], s[4:5], 0x88
	s_load_dwordx2 s[40:41], s[4:5], 0x58
	s_load_dwordx4 s[36:39], s[4:5], 0x98
	s_load_dwordx8 s[8:15], s[4:5], 0x68
	s_load_dwordx8 s[16:23], s[4:5], 0x38
	;; [unrolled: 1-line block ×3, first 2 shown]
	v_and_b32_e32 v0, 15, v0
	s_add_i32 s4, s0, 0x400
	v_mov_b32_e32 v1, 0
	v_cmp_gt_u32_e64 s0, s4, v18
	v_cmp_eq_u32_e64 s1, 0, v0
	s_waitcnt lgkmcnt(0)
	v_subrev_nc_u32_e32 v19, s42, v0
	v_subrev_nc_u32_e32 v20, s43, v0
	;; [unrolled: 1-line block ×3, first 2 shown]
	s_branch .LBB4_3
.LBB4_2:                                ;   in Loop: Header=BB4_3 Depth=1
	s_or_b32 exec_lo, exec_lo, s3
	s_add_i32 s33, s33, 1
	s_cmp_eq_u32 s33, s34
	s_cbranch_scc1 .LBB4_55
.LBB4_3:                                ; =>This Loop Header: Depth=1
                                        ;     Child Loop BB4_5 Depth 2
                                        ;       Child Loop BB4_9 Depth 3
                                        ;         Child Loop BB4_13 Depth 4
                                        ;         Child Loop BB4_29 Depth 4
	;; [unrolled: 1-line block ×3, first 2 shown]
                                        ;     Child Loop BB4_46 Depth 2
                                        ;       Child Loop BB4_49 Depth 3
                                        ;       Child Loop BB4_52 Depth 3
	s_mov_b32 s5, 0
	s_branch .LBB4_5
.LBB4_4:                                ;   in Loop: Header=BB4_5 Depth=2
	s_or_b32 exec_lo, exec_lo, s45
	s_add_i32 s5, s5, 1
	s_cmp_eq_u32 s5, 16
	s_cbranch_scc1 .LBB4_43
.LBB4_5:                                ;   Parent Loop BB4_3 Depth=1
                                        ; =>  This Loop Header: Depth=2
                                        ;       Child Loop BB4_9 Depth 3
                                        ;         Child Loop BB4_13 Depth 4
                                        ;         Child Loop BB4_29 Depth 4
                                        ;         Child Loop BB4_39 Depth 4
	v_lshl_add_u32 v2, s5, 6, v18
	s_mov_b32 s45, exec_lo
	v_cmpx_gt_i32_e64 s35, v2
	s_cbranch_execz .LBB4_4
; %bb.6:                                ;   in Loop: Header=BB4_5 Depth=2
	v_ashrrev_i32_e32 v3, 31, v2
	v_lshlrev_b64 v[4:5], 2, v[2:3]
	v_add_co_u32 v6, vcc_lo, s24, v4
	v_add_co_ci_u32_e64 v7, null, s25, v5, vcc_lo
	v_add_co_u32 v8, vcc_lo, s26, v4
	v_add_co_ci_u32_e64 v9, null, s27, v5, vcc_lo
	global_load_dword v0, v[6:7], off
	global_load_dword v6, v[8:9], off
	s_waitcnt vmcnt(1)
	v_add_nc_u32_e32 v3, v19, v0
	s_waitcnt vmcnt(0)
	v_subrev_nc_u32_e32 v22, s42, v6
	v_cmp_lt_i32_e32 vcc_lo, v3, v22
	s_and_b32 exec_lo, exec_lo, vcc_lo
	s_cbranch_execz .LBB4_4
; %bb.7:                                ;   in Loop: Header=BB4_5 Depth=2
	v_add_co_u32 v6, vcc_lo, s16, v4
	v_add_co_ci_u32_e64 v7, null, s17, v5, vcc_lo
	v_add_co_u32 v4, vcc_lo, s18, v4
	v_add_co_ci_u32_e64 v5, null, s19, v5, vcc_lo
	global_load_dword v0, v[6:7], off
	s_mov_b32 s46, 0
	global_load_dword v4, v[4:5], off
	s_waitcnt vmcnt(1)
	v_subrev_nc_u32_e32 v5, s43, v0
	s_waitcnt vmcnt(0)
	v_sub_nc_u32_e32 v23, v4, v0
	v_ashrrev_i32_e32 v6, 31, v5
	v_cmp_lt_i32_e64 s2, 0, v23
	v_lshlrev_b64 v[6:7], 2, v[5:6]
	v_add_co_u32 v24, vcc_lo, s20, v6
	v_add_co_ci_u32_e64 v25, null, s21, v7, vcc_lo
	v_add_co_u32 v26, vcc_lo, s22, v6
	v_add_co_ci_u32_e64 v27, null, s23, v7, vcc_lo
	s_branch .LBB4_9
.LBB4_8:                                ;   in Loop: Header=BB4_9 Depth=3
	s_or_b32 exec_lo, exec_lo, s47
	v_add_nc_u32_e32 v3, 16, v3
	v_cmp_ge_i32_e32 vcc_lo, v3, v22
	s_or_b32 s46, vcc_lo, s46
	s_andn2_b32 exec_lo, exec_lo, s46
	s_cbranch_execz .LBB4_4
.LBB4_9:                                ;   Parent Loop BB4_3 Depth=1
                                        ;     Parent Loop BB4_5 Depth=2
                                        ; =>    This Loop Header: Depth=3
                                        ;         Child Loop BB4_13 Depth 4
                                        ;         Child Loop BB4_29 Depth 4
                                        ;         Child Loop BB4_39 Depth 4
	v_ashrrev_i32_e32 v4, 31, v3
	v_mov_b32_e32 v28, 0
	v_lshlrev_b64 v[12:13], 2, v[3:4]
	v_add_co_u32 v6, vcc_lo, s28, v12
	v_add_co_ci_u32_e64 v7, null, s29, v13, vcc_lo
	global_load_dword v0, v[6:7], off
	s_waitcnt vmcnt(0)
	v_subrev_nc_u32_e32 v6, s42, v0
	v_ashrrev_i32_e32 v7, 31, v6
	v_lshlrev_b64 v[10:11], 2, v[6:7]
	v_add_co_u32 v7, vcc_lo, s8, v10
	v_add_co_ci_u32_e64 v8, null, s9, v11, vcc_lo
	v_add_co_u32 v14, vcc_lo, s10, v10
	v_add_co_ci_u32_e64 v15, null, s11, v11, vcc_lo
	global_load_dword v0, v[7:8], off
	global_load_dword v4, v[14:15], off
	v_mov_b32_e32 v8, 0
	s_waitcnt vmcnt(1)
	v_subrev_nc_u32_e32 v7, s44, v0
	s_waitcnt vmcnt(0)
	v_sub_nc_u32_e32 v4, v4, v0
	v_mov_b32_e32 v0, v8
	s_and_saveexec_b32 s47, s2
	s_cbranch_execz .LBB4_17
; %bb.10:                               ;   in Loop: Header=BB4_9 Depth=3
	v_ashrrev_i32_e32 v8, 31, v7
	v_mov_b32_e32 v28, 0
	v_mov_b32_e32 v0, 0
	s_mov_b32 s48, 0
                                        ; implicit-def: $sgpr49
	v_lshlrev_b64 v[8:9], 2, v[7:8]
	v_add_co_u32 v29, vcc_lo, s12, v8
	v_add_co_ci_u32_e64 v30, null, s13, v9, vcc_lo
	v_add_co_u32 v31, vcc_lo, s14, v8
	v_add_co_ci_u32_e64 v32, null, s15, v9, vcc_lo
	v_mov_b32_e32 v8, 0
	s_branch .LBB4_13
.LBB4_11:                               ;   in Loop: Header=BB4_13 Depth=4
	s_or_b32 exec_lo, exec_lo, s3
	v_cmp_le_i32_e32 vcc_lo, v9, v33
	v_cmp_ge_i32_e64 s3, v9, v33
	v_add_co_ci_u32_e64 v0, null, 0, v0, vcc_lo
	v_add_co_ci_u32_e64 v8, null, 0, v8, s3
	s_andn2_b32 s3, s49, exec_lo
	v_cmp_ge_i32_e32 vcc_lo, v0, v23
	s_and_b32 s49, vcc_lo, exec_lo
	s_or_b32 s49, s3, s49
.LBB4_12:                               ;   in Loop: Header=BB4_13 Depth=4
	s_or_b32 exec_lo, exec_lo, s50
	s_and_b32 s3, exec_lo, s49
	s_or_b32 s48, s3, s48
	s_andn2_b32 exec_lo, exec_lo, s48
	s_cbranch_execz .LBB4_16
.LBB4_13:                               ;   Parent Loop BB4_3 Depth=1
                                        ;     Parent Loop BB4_5 Depth=2
                                        ;       Parent Loop BB4_9 Depth=3
                                        ; =>      This Inner Loop Header: Depth=4
	s_or_b32 s49, s49, exec_lo
	s_mov_b32 s50, exec_lo
	v_cmpx_lt_i32_e64 v8, v4
	s_cbranch_execz .LBB4_12
; %bb.14:                               ;   in Loop: Header=BB4_13 Depth=4
	v_mov_b32_e32 v9, v1
	v_lshlrev_b64 v[16:17], 2, v[0:1]
	s_mov_b32 s3, exec_lo
	v_lshlrev_b64 v[14:15], 2, v[8:9]
	v_add_co_u32 v33, vcc_lo, v24, v16
	v_add_co_ci_u32_e64 v34, null, v25, v17, vcc_lo
	v_add_co_u32 v35, vcc_lo, v29, v14
	v_add_co_ci_u32_e64 v36, null, v30, v15, vcc_lo
	global_load_dword v9, v[33:34], off
	global_load_dword v33, v[35:36], off
	s_waitcnt vmcnt(1)
	v_subrev_nc_u32_e32 v9, s43, v9
	s_waitcnt vmcnt(0)
	v_subrev_nc_u32_e32 v33, s44, v33
	v_cmpx_eq_u32_e64 v9, v33
	s_cbranch_execz .LBB4_11
; %bb.15:                               ;   in Loop: Header=BB4_13 Depth=4
	v_add_co_u32 v16, vcc_lo, v26, v16
	v_add_co_ci_u32_e64 v17, null, v27, v17, vcc_lo
	v_add_co_u32 v14, vcc_lo, v31, v14
	v_add_co_ci_u32_e64 v15, null, v32, v15, vcc_lo
	global_load_dword v16, v[16:17], off
	global_load_dword v14, v[14:15], off
	s_waitcnt vmcnt(0)
	v_fmac_f32_e32 v28, v16, v14
	s_branch .LBB4_11
.LBB4_16:                               ;   in Loop: Header=BB4_9 Depth=3
	s_or_b32 exec_lo, exec_lo, s48
.LBB4_17:                               ;   in Loop: Header=BB4_9 Depth=3
	s_or_b32 exec_lo, exec_lo, s47
	v_add_co_u32 v12, vcc_lo, s30, v12
	v_add_co_ci_u32_e64 v13, null, s31, v13, vcc_lo
	v_cmp_le_i32_e64 s3, v2, v6
	s_mov_b32 s47, exec_lo
	global_load_dword v9, v[12:13], off
	s_waitcnt vmcnt(0)
	v_sub_f32_e32 v12, v9, v28
	v_cmpx_gt_i32_e64 v2, v6
	s_cbranch_execz .LBB4_21
; %bb.18:                               ;   in Loop: Header=BB4_9 Depth=3
	v_add_co_u32 v13, vcc_lo, s36, v10
	v_add_co_ci_u32_e64 v14, null, s37, v11, vcc_lo
	s_mov_b32 s48, exec_lo
	global_load_dword v9, v[13:14], off
	v_mov_b32_e32 v13, 0
	s_waitcnt vmcnt(0)
	v_cmpx_lg_f32_e32 0, v9
	s_cbranch_execz .LBB4_20
; %bb.19:                               ;   in Loop: Header=BB4_9 Depth=3
	v_div_scale_f32 v13, null, v9, v9, v12
	v_rcp_f32_e32 v14, v13
	v_fma_f32 v15, -v13, v14, 1.0
	v_fmac_f32_e32 v14, v15, v14
	v_div_scale_f32 v15, vcc_lo, v12, v9, v12
	v_mul_f32_e32 v16, v15, v14
	v_fma_f32 v17, -v13, v16, v15
	v_fmac_f32_e32 v16, v17, v14
	v_fma_f32 v13, -v13, v16, v15
	v_div_fmas_f32 v13, v13, v14, v16
	v_div_fixup_f32 v13, v13, v9, v12
.LBB4_20:                               ;   in Loop: Header=BB4_9 Depth=3
	s_or_b32 exec_lo, exec_lo, s48
	v_mov_b32_e32 v12, v13
.LBB4_21:                               ;   in Loop: Header=BB4_9 Depth=3
	s_or_b32 exec_lo, exec_lo, s47
	v_cmp_class_f32_e64 s48, v12, 0x1f8
	s_and_saveexec_b32 s47, s48
	s_cbranch_execz .LBB4_8
; %bb.22:                               ;   in Loop: Header=BB4_9 Depth=3
	s_and_saveexec_b32 s48, s3
	s_xor_b32 s3, exec_lo, s48
	s_cbranch_execz .LBB4_35
; %bb.23:                               ;   in Loop: Header=BB4_9 Depth=3
	s_mov_b32 s48, exec_lo
	v_cmpx_ge_i32_e64 v2, v6
	s_xor_b32 s48, exec_lo, s48
	s_cbranch_execz .LBB4_25
; %bb.24:                               ;   in Loop: Header=BB4_9 Depth=3
	v_add_co_u32 v6, vcc_lo, s38, v10
	v_add_co_ci_u32_e64 v7, null, s39, v11, vcc_lo
                                        ; implicit-def: $vgpr8
                                        ; implicit-def: $vgpr4
	global_store_dword v[6:7], v12, off
                                        ; implicit-def: $vgpr12
                                        ; implicit-def: $vgpr7
.LBB4_25:                               ;   in Loop: Header=BB4_9 Depth=3
	s_andn2_saveexec_b32 s48, s48
	s_cbranch_execz .LBB4_34
; %bb.26:                               ;   in Loop: Header=BB4_9 Depth=3
	s_mov_b32 s49, exec_lo
	v_cmpx_lt_i32_e64 v8, v4
	s_cbranch_execz .LBB4_33
; %bb.27:                               ;   in Loop: Header=BB4_9 Depth=3
	s_mov_b32 s50, 0
                                        ; implicit-def: $sgpr51
                                        ; implicit-def: $sgpr53
                                        ; implicit-def: $sgpr52
	s_inst_prefetch 0x1
	s_branch .LBB4_29
	.p2align	6
.LBB4_28:                               ;   in Loop: Header=BB4_29 Depth=4
	s_or_b32 exec_lo, exec_lo, s54
	s_and_b32 s54, exec_lo, s53
	s_or_b32 s50, s54, s50
	s_andn2_b32 s51, s51, exec_lo
	s_and_b32 s54, s52, exec_lo
	s_or_b32 s51, s51, s54
	s_andn2_b32 exec_lo, exec_lo, s50
	s_cbranch_execz .LBB4_31
.LBB4_29:                               ;   Parent Loop BB4_3 Depth=1
                                        ;     Parent Loop BB4_5 Depth=2
                                        ;       Parent Loop BB4_9 Depth=3
                                        ; =>      This Inner Loop Header: Depth=4
	v_add_nc_u32_e32 v9, v7, v8
	s_or_b32 s52, s52, exec_lo
	s_or_b32 s53, s53, exec_lo
	s_mov_b32 s54, exec_lo
	v_ashrrev_i32_e32 v10, 31, v9
	v_lshlrev_b64 v[9:10], 2, v[9:10]
	v_add_co_u32 v13, vcc_lo, s12, v9
	v_add_co_ci_u32_e64 v14, null, s13, v10, vcc_lo
	global_load_dword v0, v[13:14], off
	s_waitcnt vmcnt(0)
	v_subrev_nc_u32_e32 v0, s44, v0
	v_cmpx_ne_u32_e64 v0, v2
	s_cbranch_execz .LBB4_28
; %bb.30:                               ;   in Loop: Header=BB4_29 Depth=4
	v_add_nc_u32_e32 v8, 1, v8
	s_andn2_b32 s53, s53, exec_lo
	s_andn2_b32 s52, s52, exec_lo
	v_cmp_ge_i32_e32 vcc_lo, v8, v4
	s_and_b32 s55, vcc_lo, exec_lo
	s_or_b32 s53, s53, s55
	s_branch .LBB4_28
.LBB4_31:                               ;   in Loop: Header=BB4_9 Depth=3
	s_inst_prefetch 0x2
	s_or_b32 exec_lo, exec_lo, s50
	s_and_saveexec_b32 s50, s51
	s_xor_b32 s50, exec_lo, s50
	s_cbranch_execz .LBB4_33
; %bb.32:                               ;   in Loop: Header=BB4_9 Depth=3
	v_add_co_u32 v6, vcc_lo, s6, v9
	v_add_co_ci_u32_e64 v7, null, s7, v10, vcc_lo
	global_store_dword v[6:7], v12, off
.LBB4_33:                               ;   in Loop: Header=BB4_9 Depth=3
	s_or_b32 exec_lo, exec_lo, s49
.LBB4_34:                               ;   in Loop: Header=BB4_9 Depth=3
	s_or_b32 exec_lo, exec_lo, s48
                                        ; implicit-def: $vgpr12
                                        ; implicit-def: $vgpr6_vgpr7
.LBB4_35:                               ;   in Loop: Header=BB4_9 Depth=3
	s_andn2_saveexec_b32 s3, s3
	s_cbranch_execz .LBB4_8
; %bb.36:                               ;   in Loop: Header=BB4_9 Depth=3
	v_cmp_lt_i32_e32 vcc_lo, v0, v23
	s_and_b32 exec_lo, exec_lo, vcc_lo
	s_cbranch_execz .LBB4_8
; %bb.37:                               ;   in Loop: Header=BB4_9 Depth=3
	s_mov_b32 s3, 0
                                        ; implicit-def: $sgpr48
                                        ; implicit-def: $sgpr50
                                        ; implicit-def: $sgpr49
	s_inst_prefetch 0x1
	s_branch .LBB4_39
	.p2align	6
.LBB4_38:                               ;   in Loop: Header=BB4_39 Depth=4
	s_or_b32 exec_lo, exec_lo, s51
	s_and_b32 s51, exec_lo, s50
	s_or_b32 s3, s51, s3
	s_andn2_b32 s48, s48, exec_lo
	s_and_b32 s51, s49, exec_lo
	s_or_b32 s48, s48, s51
	s_andn2_b32 exec_lo, exec_lo, s3
	s_cbranch_execz .LBB4_41
.LBB4_39:                               ;   Parent Loop BB4_3 Depth=1
                                        ;     Parent Loop BB4_5 Depth=2
                                        ;       Parent Loop BB4_9 Depth=3
                                        ; =>      This Inner Loop Header: Depth=4
	v_add_nc_u32_e32 v7, v5, v0
	s_or_b32 s49, s49, exec_lo
	s_or_b32 s50, s50, exec_lo
	s_mov_b32 s51, exec_lo
	v_ashrrev_i32_e32 v8, 31, v7
	v_lshlrev_b64 v[7:8], 2, v[7:8]
	v_add_co_u32 v9, vcc_lo, s20, v7
	v_add_co_ci_u32_e64 v10, null, s21, v8, vcc_lo
	global_load_dword v4, v[9:10], off
	s_waitcnt vmcnt(0)
	v_subrev_nc_u32_e32 v4, s43, v4
	v_cmpx_ne_u32_e64 v4, v6
	s_cbranch_execz .LBB4_38
; %bb.40:                               ;   in Loop: Header=BB4_39 Depth=4
	v_add_nc_u32_e32 v0, 1, v0
	s_andn2_b32 s50, s50, exec_lo
	s_andn2_b32 s49, s49, exec_lo
	v_cmp_ge_i32_e32 vcc_lo, v0, v23
	s_and_b32 s52, vcc_lo, exec_lo
	s_or_b32 s50, s50, s52
	s_branch .LBB4_38
.LBB4_41:                               ;   in Loop: Header=BB4_9 Depth=3
	s_inst_prefetch 0x2
	s_or_b32 exec_lo, exec_lo, s3
	s_and_saveexec_b32 s3, s48
	s_xor_b32 s3, exec_lo, s3
	s_cbranch_execz .LBB4_8
; %bb.42:                               ;   in Loop: Header=BB4_9 Depth=3
	v_add_co_u32 v6, vcc_lo, s40, v7
	v_add_co_ci_u32_e64 v7, null, s41, v8, vcc_lo
	global_store_dword v[6:7], v12, off
	s_branch .LBB4_8
.LBB4_43:                               ;   in Loop: Header=BB4_3 Depth=1
	s_and_saveexec_b32 s3, s0
	s_cbranch_execz .LBB4_2
; %bb.44:                               ;   in Loop: Header=BB4_3 Depth=1
	v_mov_b32_e32 v2, v18
	s_mov_b32 s5, 0
	s_branch .LBB4_46
.LBB4_45:                               ;   in Loop: Header=BB4_46 Depth=2
	s_or_b32 exec_lo, exec_lo, s45
	v_add_nc_u32_e32 v2, 64, v2
	v_cmp_le_u32_e32 vcc_lo, s4, v2
	s_or_b32 s5, vcc_lo, s5
	s_andn2_b32 exec_lo, exec_lo, s5
	s_cbranch_execz .LBB4_2
.LBB4_46:                               ;   Parent Loop BB4_3 Depth=1
                                        ; =>  This Loop Header: Depth=2
                                        ;       Child Loop BB4_49 Depth 3
                                        ;       Child Loop BB4_52 Depth 3
	s_mov_b32 s45, exec_lo
	v_cmpx_gt_i32_e64 s35, v2
	s_cbranch_execz .LBB4_45
; %bb.47:                               ;   in Loop: Header=BB4_46 Depth=2
	v_ashrrev_i32_e32 v3, 31, v2
	s_mov_b32 s46, exec_lo
	v_lshlrev_b64 v[3:4], 2, v[2:3]
	v_add_co_u32 v5, vcc_lo, s16, v3
	v_add_co_ci_u32_e64 v6, null, s17, v4, vcc_lo
	v_add_co_u32 v7, vcc_lo, s18, v3
	v_add_co_ci_u32_e64 v8, null, s19, v4, vcc_lo
	global_load_dword v0, v[5:6], off
	global_load_dword v6, v[7:8], off
	s_waitcnt vmcnt(1)
	v_add_nc_u32_e32 v5, v20, v0
	s_waitcnt vmcnt(0)
	v_subrev_nc_u32_e32 v0, s43, v6
	v_cmpx_lt_i32_e64 v5, v0
	s_cbranch_execz .LBB4_50
; %bb.48:                               ;   in Loop: Header=BB4_46 Depth=2
	v_ashrrev_i32_e32 v6, 31, v5
	s_mov_b32 s47, 0
	v_lshlrev_b64 v[8:9], 2, v[5:6]
	v_add_co_u32 v6, vcc_lo, s40, v8
	v_add_co_ci_u32_e64 v7, null, s41, v9, vcc_lo
	v_add_co_u32 v8, vcc_lo, s22, v8
	v_add_co_ci_u32_e64 v9, null, s23, v9, vcc_lo
	.p2align	6
.LBB4_49:                               ;   Parent Loop BB4_3 Depth=1
                                        ;     Parent Loop BB4_46 Depth=2
                                        ; =>    This Inner Loop Header: Depth=3
	global_load_dword v10, v[6:7], off
	v_add_nc_u32_e32 v5, 16, v5
	v_add_co_u32 v6, vcc_lo, v6, 64
	v_add_co_ci_u32_e64 v7, null, 0, v7, vcc_lo
	v_cmp_ge_i32_e32 vcc_lo, v5, v0
	s_or_b32 s47, vcc_lo, s47
	s_waitcnt vmcnt(0)
	global_store_dword v[8:9], v10, off
	v_add_co_u32 v8, s2, v8, 64
	v_add_co_ci_u32_e64 v9, null, 0, v9, s2
	s_andn2_b32 exec_lo, exec_lo, s47
	s_cbranch_execnz .LBB4_49
.LBB4_50:                               ;   in Loop: Header=BB4_46 Depth=2
	s_or_b32 exec_lo, exec_lo, s46
	v_add_co_u32 v5, vcc_lo, s8, v3
	v_add_co_ci_u32_e64 v6, null, s9, v4, vcc_lo
	v_add_co_u32 v7, vcc_lo, s10, v3
	v_add_co_ci_u32_e64 v8, null, s11, v4, vcc_lo
	global_load_dword v0, v[5:6], off
	global_load_dword v6, v[7:8], off
	s_mov_b32 s46, exec_lo
	s_waitcnt vmcnt(1)
	v_add_nc_u32_e32 v5, v21, v0
	s_waitcnt vmcnt(0)
	v_subrev_nc_u32_e32 v0, s44, v6
	v_cmpx_lt_i32_e64 v5, v0
	s_cbranch_execz .LBB4_53
; %bb.51:                               ;   in Loop: Header=BB4_46 Depth=2
	v_ashrrev_i32_e32 v6, 31, v5
	s_mov_b32 s47, 0
	v_lshlrev_b64 v[8:9], 2, v[5:6]
	v_add_co_u32 v6, vcc_lo, s6, v8
	v_add_co_ci_u32_e64 v7, null, s7, v9, vcc_lo
	v_add_co_u32 v8, vcc_lo, s14, v8
	v_add_co_ci_u32_e64 v9, null, s15, v9, vcc_lo
	.p2align	6
.LBB4_52:                               ;   Parent Loop BB4_3 Depth=1
                                        ;     Parent Loop BB4_46 Depth=2
                                        ; =>    This Inner Loop Header: Depth=3
	global_load_dword v10, v[6:7], off
	v_add_nc_u32_e32 v5, 16, v5
	v_add_co_u32 v6, vcc_lo, v6, 64
	v_add_co_ci_u32_e64 v7, null, 0, v7, vcc_lo
	v_cmp_ge_i32_e32 vcc_lo, v5, v0
	s_or_b32 s47, vcc_lo, s47
	s_waitcnt vmcnt(0)
	global_store_dword v[8:9], v10, off
	v_add_co_u32 v8, s2, v8, 64
	v_add_co_ci_u32_e64 v9, null, 0, v9, s2
	s_andn2_b32 exec_lo, exec_lo, s47
	s_cbranch_execnz .LBB4_52
.LBB4_53:                               ;   in Loop: Header=BB4_46 Depth=2
	s_or_b32 exec_lo, exec_lo, s46
	s_and_b32 exec_lo, exec_lo, s1
	s_cbranch_execz .LBB4_45
; %bb.54:                               ;   in Loop: Header=BB4_46 Depth=2
	v_add_co_u32 v5, vcc_lo, s38, v3
	v_add_co_ci_u32_e64 v6, null, s39, v4, vcc_lo
	v_add_co_u32 v3, vcc_lo, s36, v3
	v_add_co_ci_u32_e64 v4, null, s37, v4, vcc_lo
	global_load_dword v0, v[5:6], off
	s_waitcnt vmcnt(0)
	global_store_dword v[3:4], v0, off
	s_branch .LBB4_45
.LBB4_55:
	s_endpgm
	.section	.rodata,"a",@progbits
	.p2align	6, 0x0
	.amdhsa_kernel _ZN9rocsparseL14kernel_freerunILi1024ELi16EfiiEEvT3_S1_T2_PKS2_S4_PKS1_PKT1_21rocsparse_index_base_S4_S4_S6_PS7_SB_SA_S4_S4_S6_SB_SB_SA_SB_SB_
		.amdhsa_group_segment_fixed_size 0
		.amdhsa_private_segment_fixed_size 0
		.amdhsa_kernarg_size 168
		.amdhsa_user_sgpr_count 6
		.amdhsa_user_sgpr_private_segment_buffer 1
		.amdhsa_user_sgpr_dispatch_ptr 0
		.amdhsa_user_sgpr_queue_ptr 0
		.amdhsa_user_sgpr_kernarg_segment_ptr 1
		.amdhsa_user_sgpr_dispatch_id 0
		.amdhsa_user_sgpr_flat_scratch_init 0
		.amdhsa_user_sgpr_private_segment_size 0
		.amdhsa_wavefront_size32 1
		.amdhsa_uses_dynamic_stack 0
		.amdhsa_system_sgpr_private_segment_wavefront_offset 0
		.amdhsa_system_sgpr_workgroup_id_x 1
		.amdhsa_system_sgpr_workgroup_id_y 0
		.amdhsa_system_sgpr_workgroup_id_z 0
		.amdhsa_system_sgpr_workgroup_info 0
		.amdhsa_system_vgpr_workitem_id 0
		.amdhsa_next_free_vgpr 37
		.amdhsa_next_free_sgpr 56
		.amdhsa_reserve_vcc 1
		.amdhsa_reserve_flat_scratch 0
		.amdhsa_float_round_mode_32 0
		.amdhsa_float_round_mode_16_64 0
		.amdhsa_float_denorm_mode_32 3
		.amdhsa_float_denorm_mode_16_64 3
		.amdhsa_dx10_clamp 1
		.amdhsa_ieee_mode 1
		.amdhsa_fp16_overflow 0
		.amdhsa_workgroup_processor_mode 1
		.amdhsa_memory_ordered 1
		.amdhsa_forward_progress 1
		.amdhsa_shared_vgpr_count 0
		.amdhsa_exception_fp_ieee_invalid_op 0
		.amdhsa_exception_fp_denorm_src 0
		.amdhsa_exception_fp_ieee_div_zero 0
		.amdhsa_exception_fp_ieee_overflow 0
		.amdhsa_exception_fp_ieee_underflow 0
		.amdhsa_exception_fp_ieee_inexact 0
		.amdhsa_exception_int_div_zero 0
	.end_amdhsa_kernel
	.section	.text._ZN9rocsparseL14kernel_freerunILi1024ELi16EfiiEEvT3_S1_T2_PKS2_S4_PKS1_PKT1_21rocsparse_index_base_S4_S4_S6_PS7_SB_SA_S4_S4_S6_SB_SB_SA_SB_SB_,"axG",@progbits,_ZN9rocsparseL14kernel_freerunILi1024ELi16EfiiEEvT3_S1_T2_PKS2_S4_PKS1_PKT1_21rocsparse_index_base_S4_S4_S6_PS7_SB_SA_S4_S4_S6_SB_SB_SA_SB_SB_,comdat
.Lfunc_end4:
	.size	_ZN9rocsparseL14kernel_freerunILi1024ELi16EfiiEEvT3_S1_T2_PKS2_S4_PKS1_PKT1_21rocsparse_index_base_S4_S4_S6_PS7_SB_SA_S4_S4_S6_SB_SB_SA_SB_SB_, .Lfunc_end4-_ZN9rocsparseL14kernel_freerunILi1024ELi16EfiiEEvT3_S1_T2_PKS2_S4_PKS1_PKT1_21rocsparse_index_base_S4_S4_S6_PS7_SB_SA_S4_S4_S6_SB_SB_SA_SB_SB_
                                        ; -- End function
	.set _ZN9rocsparseL14kernel_freerunILi1024ELi16EfiiEEvT3_S1_T2_PKS2_S4_PKS1_PKT1_21rocsparse_index_base_S4_S4_S6_PS7_SB_SA_S4_S4_S6_SB_SB_SA_SB_SB_.num_vgpr, 37
	.set _ZN9rocsparseL14kernel_freerunILi1024ELi16EfiiEEvT3_S1_T2_PKS2_S4_PKS1_PKT1_21rocsparse_index_base_S4_S4_S6_PS7_SB_SA_S4_S4_S6_SB_SB_SA_SB_SB_.num_agpr, 0
	.set _ZN9rocsparseL14kernel_freerunILi1024ELi16EfiiEEvT3_S1_T2_PKS2_S4_PKS1_PKT1_21rocsparse_index_base_S4_S4_S6_PS7_SB_SA_S4_S4_S6_SB_SB_SA_SB_SB_.numbered_sgpr, 56
	.set _ZN9rocsparseL14kernel_freerunILi1024ELi16EfiiEEvT3_S1_T2_PKS2_S4_PKS1_PKT1_21rocsparse_index_base_S4_S4_S6_PS7_SB_SA_S4_S4_S6_SB_SB_SA_SB_SB_.num_named_barrier, 0
	.set _ZN9rocsparseL14kernel_freerunILi1024ELi16EfiiEEvT3_S1_T2_PKS2_S4_PKS1_PKT1_21rocsparse_index_base_S4_S4_S6_PS7_SB_SA_S4_S4_S6_SB_SB_SA_SB_SB_.private_seg_size, 0
	.set _ZN9rocsparseL14kernel_freerunILi1024ELi16EfiiEEvT3_S1_T2_PKS2_S4_PKS1_PKT1_21rocsparse_index_base_S4_S4_S6_PS7_SB_SA_S4_S4_S6_SB_SB_SA_SB_SB_.uses_vcc, 1
	.set _ZN9rocsparseL14kernel_freerunILi1024ELi16EfiiEEvT3_S1_T2_PKS2_S4_PKS1_PKT1_21rocsparse_index_base_S4_S4_S6_PS7_SB_SA_S4_S4_S6_SB_SB_SA_SB_SB_.uses_flat_scratch, 0
	.set _ZN9rocsparseL14kernel_freerunILi1024ELi16EfiiEEvT3_S1_T2_PKS2_S4_PKS1_PKT1_21rocsparse_index_base_S4_S4_S6_PS7_SB_SA_S4_S4_S6_SB_SB_SA_SB_SB_.has_dyn_sized_stack, 0
	.set _ZN9rocsparseL14kernel_freerunILi1024ELi16EfiiEEvT3_S1_T2_PKS2_S4_PKS1_PKT1_21rocsparse_index_base_S4_S4_S6_PS7_SB_SA_S4_S4_S6_SB_SB_SA_SB_SB_.has_recursion, 0
	.set _ZN9rocsparseL14kernel_freerunILi1024ELi16EfiiEEvT3_S1_T2_PKS2_S4_PKS1_PKT1_21rocsparse_index_base_S4_S4_S6_PS7_SB_SA_S4_S4_S6_SB_SB_SA_SB_SB_.has_indirect_call, 0
	.section	.AMDGPU.csdata,"",@progbits
; Kernel info:
; codeLenInByte = 2320
; TotalNumSgprs: 58
; NumVgprs: 37
; ScratchSize: 0
; MemoryBound: 0
; FloatMode: 240
; IeeeMode: 1
; LDSByteSize: 0 bytes/workgroup (compile time only)
; SGPRBlocks: 0
; VGPRBlocks: 4
; NumSGPRsForWavesPerEU: 58
; NumVGPRsForWavesPerEU: 37
; Occupancy: 16
; WaveLimiterHint : 1
; COMPUTE_PGM_RSRC2:SCRATCH_EN: 0
; COMPUTE_PGM_RSRC2:USER_SGPR: 6
; COMPUTE_PGM_RSRC2:TRAP_HANDLER: 0
; COMPUTE_PGM_RSRC2:TGID_X_EN: 1
; COMPUTE_PGM_RSRC2:TGID_Y_EN: 0
; COMPUTE_PGM_RSRC2:TGID_Z_EN: 0
; COMPUTE_PGM_RSRC2:TIDIG_COMP_CNT: 0
	.section	.text._ZN9rocsparseL14kernel_freerunILi1024ELi32EfiiEEvT3_S1_T2_PKS2_S4_PKS1_PKT1_21rocsparse_index_base_S4_S4_S6_PS7_SB_SA_S4_S4_S6_SB_SB_SA_SB_SB_,"axG",@progbits,_ZN9rocsparseL14kernel_freerunILi1024ELi32EfiiEEvT3_S1_T2_PKS2_S4_PKS1_PKT1_21rocsparse_index_base_S4_S4_S6_PS7_SB_SA_S4_S4_S6_SB_SB_SA_SB_SB_,comdat
	.globl	_ZN9rocsparseL14kernel_freerunILi1024ELi32EfiiEEvT3_S1_T2_PKS2_S4_PKS1_PKT1_21rocsparse_index_base_S4_S4_S6_PS7_SB_SA_S4_S4_S6_SB_SB_SA_SB_SB_ ; -- Begin function _ZN9rocsparseL14kernel_freerunILi1024ELi32EfiiEEvT3_S1_T2_PKS2_S4_PKS1_PKT1_21rocsparse_index_base_S4_S4_S6_PS7_SB_SA_S4_S4_S6_SB_SB_SA_SB_SB_
	.p2align	8
	.type	_ZN9rocsparseL14kernel_freerunILi1024ELi32EfiiEEvT3_S1_T2_PKS2_S4_PKS1_PKT1_21rocsparse_index_base_S4_S4_S6_PS7_SB_SA_S4_S4_S6_SB_SB_SA_SB_SB_,@function
_ZN9rocsparseL14kernel_freerunILi1024ELi32EfiiEEvT3_S1_T2_PKS2_S4_PKS1_PKT1_21rocsparse_index_base_S4_S4_S6_PS7_SB_SA_S4_S4_S6_SB_SB_SA_SB_SB_: ; @_ZN9rocsparseL14kernel_freerunILi1024ELi32EfiiEEvT3_S1_T2_PKS2_S4_PKS1_PKT1_21rocsparse_index_base_S4_S4_S6_PS7_SB_SA_S4_S4_S6_SB_SB_SA_SB_SB_
; %bb.0:
	s_load_dwordx2 s[34:35], s[4:5], 0x0
	v_lshrrev_b32_e32 v1, 5, v0
	s_lshl_b32 s0, s6, 10
	s_mov_b32 s33, 0
	v_or_b32_e32 v18, s0, v1
	s_waitcnt lgkmcnt(0)
	v_cmp_gt_i32_e32 vcc_lo, s35, v18
	s_cmp_gt_i32 s34, 0
	s_cselect_b32 s1, -1, 0
	s_and_b32 s1, vcc_lo, s1
	s_and_saveexec_b32 s2, s1
	s_cbranch_execz .LBB5_55
; %bb.1:
	s_clause 0x8
	s_load_dword s42, s[4:5], 0x30
	s_load_dword s43, s[4:5], 0x60
	;; [unrolled: 1-line block ×3, first 2 shown]
	s_load_dwordx2 s[6:7], s[4:5], 0x88
	s_load_dwordx2 s[40:41], s[4:5], 0x58
	s_load_dwordx4 s[36:39], s[4:5], 0x98
	s_load_dwordx8 s[8:15], s[4:5], 0x68
	s_load_dwordx8 s[16:23], s[4:5], 0x38
	;; [unrolled: 1-line block ×3, first 2 shown]
	v_and_b32_e32 v0, 31, v0
	s_add_i32 s4, s0, 0x400
	v_mov_b32_e32 v1, 0
	v_cmp_gt_u32_e64 s0, s4, v18
	v_cmp_eq_u32_e64 s1, 0, v0
	s_waitcnt lgkmcnt(0)
	v_subrev_nc_u32_e32 v19, s42, v0
	v_subrev_nc_u32_e32 v20, s43, v0
	;; [unrolled: 1-line block ×3, first 2 shown]
	s_branch .LBB5_3
.LBB5_2:                                ;   in Loop: Header=BB5_3 Depth=1
	s_or_b32 exec_lo, exec_lo, s3
	s_add_i32 s33, s33, 1
	s_cmp_eq_u32 s33, s34
	s_cbranch_scc1 .LBB5_55
.LBB5_3:                                ; =>This Loop Header: Depth=1
                                        ;     Child Loop BB5_5 Depth 2
                                        ;       Child Loop BB5_9 Depth 3
                                        ;         Child Loop BB5_13 Depth 4
                                        ;         Child Loop BB5_29 Depth 4
	;; [unrolled: 1-line block ×3, first 2 shown]
                                        ;     Child Loop BB5_46 Depth 2
                                        ;       Child Loop BB5_49 Depth 3
                                        ;       Child Loop BB5_52 Depth 3
	s_mov_b32 s5, 0
	s_branch .LBB5_5
.LBB5_4:                                ;   in Loop: Header=BB5_5 Depth=2
	s_or_b32 exec_lo, exec_lo, s45
	s_add_i32 s5, s5, 1
	s_cmp_eq_u32 s5, 32
	s_cbranch_scc1 .LBB5_43
.LBB5_5:                                ;   Parent Loop BB5_3 Depth=1
                                        ; =>  This Loop Header: Depth=2
                                        ;       Child Loop BB5_9 Depth 3
                                        ;         Child Loop BB5_13 Depth 4
                                        ;         Child Loop BB5_29 Depth 4
	;; [unrolled: 1-line block ×3, first 2 shown]
	v_lshl_add_u32 v2, s5, 5, v18
	s_mov_b32 s45, exec_lo
	v_cmpx_gt_i32_e64 s35, v2
	s_cbranch_execz .LBB5_4
; %bb.6:                                ;   in Loop: Header=BB5_5 Depth=2
	v_ashrrev_i32_e32 v3, 31, v2
	v_lshlrev_b64 v[4:5], 2, v[2:3]
	v_add_co_u32 v6, vcc_lo, s24, v4
	v_add_co_ci_u32_e64 v7, null, s25, v5, vcc_lo
	v_add_co_u32 v8, vcc_lo, s26, v4
	v_add_co_ci_u32_e64 v9, null, s27, v5, vcc_lo
	global_load_dword v0, v[6:7], off
	global_load_dword v6, v[8:9], off
	s_waitcnt vmcnt(1)
	v_add_nc_u32_e32 v3, v19, v0
	s_waitcnt vmcnt(0)
	v_subrev_nc_u32_e32 v22, s42, v6
	v_cmp_lt_i32_e32 vcc_lo, v3, v22
	s_and_b32 exec_lo, exec_lo, vcc_lo
	s_cbranch_execz .LBB5_4
; %bb.7:                                ;   in Loop: Header=BB5_5 Depth=2
	v_add_co_u32 v6, vcc_lo, s16, v4
	v_add_co_ci_u32_e64 v7, null, s17, v5, vcc_lo
	v_add_co_u32 v4, vcc_lo, s18, v4
	v_add_co_ci_u32_e64 v5, null, s19, v5, vcc_lo
	global_load_dword v0, v[6:7], off
	s_mov_b32 s46, 0
	global_load_dword v4, v[4:5], off
	s_waitcnt vmcnt(1)
	v_subrev_nc_u32_e32 v5, s43, v0
	s_waitcnt vmcnt(0)
	v_sub_nc_u32_e32 v23, v4, v0
	v_ashrrev_i32_e32 v6, 31, v5
	v_cmp_lt_i32_e64 s2, 0, v23
	v_lshlrev_b64 v[6:7], 2, v[5:6]
	v_add_co_u32 v24, vcc_lo, s20, v6
	v_add_co_ci_u32_e64 v25, null, s21, v7, vcc_lo
	v_add_co_u32 v26, vcc_lo, s22, v6
	v_add_co_ci_u32_e64 v27, null, s23, v7, vcc_lo
	s_branch .LBB5_9
.LBB5_8:                                ;   in Loop: Header=BB5_9 Depth=3
	s_or_b32 exec_lo, exec_lo, s47
	v_add_nc_u32_e32 v3, 32, v3
	v_cmp_ge_i32_e32 vcc_lo, v3, v22
	s_or_b32 s46, vcc_lo, s46
	s_andn2_b32 exec_lo, exec_lo, s46
	s_cbranch_execz .LBB5_4
.LBB5_9:                                ;   Parent Loop BB5_3 Depth=1
                                        ;     Parent Loop BB5_5 Depth=2
                                        ; =>    This Loop Header: Depth=3
                                        ;         Child Loop BB5_13 Depth 4
                                        ;         Child Loop BB5_29 Depth 4
	;; [unrolled: 1-line block ×3, first 2 shown]
	v_ashrrev_i32_e32 v4, 31, v3
	v_mov_b32_e32 v28, 0
	v_lshlrev_b64 v[12:13], 2, v[3:4]
	v_add_co_u32 v6, vcc_lo, s28, v12
	v_add_co_ci_u32_e64 v7, null, s29, v13, vcc_lo
	global_load_dword v0, v[6:7], off
	s_waitcnt vmcnt(0)
	v_subrev_nc_u32_e32 v6, s42, v0
	v_ashrrev_i32_e32 v7, 31, v6
	v_lshlrev_b64 v[10:11], 2, v[6:7]
	v_add_co_u32 v7, vcc_lo, s8, v10
	v_add_co_ci_u32_e64 v8, null, s9, v11, vcc_lo
	v_add_co_u32 v14, vcc_lo, s10, v10
	v_add_co_ci_u32_e64 v15, null, s11, v11, vcc_lo
	global_load_dword v0, v[7:8], off
	global_load_dword v4, v[14:15], off
	v_mov_b32_e32 v8, 0
	s_waitcnt vmcnt(1)
	v_subrev_nc_u32_e32 v7, s44, v0
	s_waitcnt vmcnt(0)
	v_sub_nc_u32_e32 v4, v4, v0
	v_mov_b32_e32 v0, v8
	s_and_saveexec_b32 s47, s2
	s_cbranch_execz .LBB5_17
; %bb.10:                               ;   in Loop: Header=BB5_9 Depth=3
	v_ashrrev_i32_e32 v8, 31, v7
	v_mov_b32_e32 v28, 0
	v_mov_b32_e32 v0, 0
	s_mov_b32 s48, 0
                                        ; implicit-def: $sgpr49
	v_lshlrev_b64 v[8:9], 2, v[7:8]
	v_add_co_u32 v29, vcc_lo, s12, v8
	v_add_co_ci_u32_e64 v30, null, s13, v9, vcc_lo
	v_add_co_u32 v31, vcc_lo, s14, v8
	v_add_co_ci_u32_e64 v32, null, s15, v9, vcc_lo
	v_mov_b32_e32 v8, 0
	s_branch .LBB5_13
.LBB5_11:                               ;   in Loop: Header=BB5_13 Depth=4
	s_or_b32 exec_lo, exec_lo, s3
	v_cmp_le_i32_e32 vcc_lo, v9, v33
	v_cmp_ge_i32_e64 s3, v9, v33
	v_add_co_ci_u32_e64 v0, null, 0, v0, vcc_lo
	v_add_co_ci_u32_e64 v8, null, 0, v8, s3
	s_andn2_b32 s3, s49, exec_lo
	v_cmp_ge_i32_e32 vcc_lo, v0, v23
	s_and_b32 s49, vcc_lo, exec_lo
	s_or_b32 s49, s3, s49
.LBB5_12:                               ;   in Loop: Header=BB5_13 Depth=4
	s_or_b32 exec_lo, exec_lo, s50
	s_and_b32 s3, exec_lo, s49
	s_or_b32 s48, s3, s48
	s_andn2_b32 exec_lo, exec_lo, s48
	s_cbranch_execz .LBB5_16
.LBB5_13:                               ;   Parent Loop BB5_3 Depth=1
                                        ;     Parent Loop BB5_5 Depth=2
                                        ;       Parent Loop BB5_9 Depth=3
                                        ; =>      This Inner Loop Header: Depth=4
	s_or_b32 s49, s49, exec_lo
	s_mov_b32 s50, exec_lo
	v_cmpx_lt_i32_e64 v8, v4
	s_cbranch_execz .LBB5_12
; %bb.14:                               ;   in Loop: Header=BB5_13 Depth=4
	v_mov_b32_e32 v9, v1
	v_lshlrev_b64 v[16:17], 2, v[0:1]
	s_mov_b32 s3, exec_lo
	v_lshlrev_b64 v[14:15], 2, v[8:9]
	v_add_co_u32 v33, vcc_lo, v24, v16
	v_add_co_ci_u32_e64 v34, null, v25, v17, vcc_lo
	v_add_co_u32 v35, vcc_lo, v29, v14
	v_add_co_ci_u32_e64 v36, null, v30, v15, vcc_lo
	global_load_dword v9, v[33:34], off
	global_load_dword v33, v[35:36], off
	s_waitcnt vmcnt(1)
	v_subrev_nc_u32_e32 v9, s43, v9
	s_waitcnt vmcnt(0)
	v_subrev_nc_u32_e32 v33, s44, v33
	v_cmpx_eq_u32_e64 v9, v33
	s_cbranch_execz .LBB5_11
; %bb.15:                               ;   in Loop: Header=BB5_13 Depth=4
	v_add_co_u32 v16, vcc_lo, v26, v16
	v_add_co_ci_u32_e64 v17, null, v27, v17, vcc_lo
	v_add_co_u32 v14, vcc_lo, v31, v14
	v_add_co_ci_u32_e64 v15, null, v32, v15, vcc_lo
	global_load_dword v16, v[16:17], off
	global_load_dword v14, v[14:15], off
	s_waitcnt vmcnt(0)
	v_fmac_f32_e32 v28, v16, v14
	s_branch .LBB5_11
.LBB5_16:                               ;   in Loop: Header=BB5_9 Depth=3
	s_or_b32 exec_lo, exec_lo, s48
.LBB5_17:                               ;   in Loop: Header=BB5_9 Depth=3
	s_or_b32 exec_lo, exec_lo, s47
	v_add_co_u32 v12, vcc_lo, s30, v12
	v_add_co_ci_u32_e64 v13, null, s31, v13, vcc_lo
	v_cmp_le_i32_e64 s3, v2, v6
	s_mov_b32 s47, exec_lo
	global_load_dword v9, v[12:13], off
	s_waitcnt vmcnt(0)
	v_sub_f32_e32 v12, v9, v28
	v_cmpx_gt_i32_e64 v2, v6
	s_cbranch_execz .LBB5_21
; %bb.18:                               ;   in Loop: Header=BB5_9 Depth=3
	v_add_co_u32 v13, vcc_lo, s36, v10
	v_add_co_ci_u32_e64 v14, null, s37, v11, vcc_lo
	s_mov_b32 s48, exec_lo
	global_load_dword v9, v[13:14], off
	v_mov_b32_e32 v13, 0
	s_waitcnt vmcnt(0)
	v_cmpx_lg_f32_e32 0, v9
	s_cbranch_execz .LBB5_20
; %bb.19:                               ;   in Loop: Header=BB5_9 Depth=3
	v_div_scale_f32 v13, null, v9, v9, v12
	v_rcp_f32_e32 v14, v13
	v_fma_f32 v15, -v13, v14, 1.0
	v_fmac_f32_e32 v14, v15, v14
	v_div_scale_f32 v15, vcc_lo, v12, v9, v12
	v_mul_f32_e32 v16, v15, v14
	v_fma_f32 v17, -v13, v16, v15
	v_fmac_f32_e32 v16, v17, v14
	v_fma_f32 v13, -v13, v16, v15
	v_div_fmas_f32 v13, v13, v14, v16
	v_div_fixup_f32 v13, v13, v9, v12
.LBB5_20:                               ;   in Loop: Header=BB5_9 Depth=3
	s_or_b32 exec_lo, exec_lo, s48
	v_mov_b32_e32 v12, v13
.LBB5_21:                               ;   in Loop: Header=BB5_9 Depth=3
	s_or_b32 exec_lo, exec_lo, s47
	v_cmp_class_f32_e64 s48, v12, 0x1f8
	s_and_saveexec_b32 s47, s48
	s_cbranch_execz .LBB5_8
; %bb.22:                               ;   in Loop: Header=BB5_9 Depth=3
	s_and_saveexec_b32 s48, s3
	s_xor_b32 s3, exec_lo, s48
	s_cbranch_execz .LBB5_35
; %bb.23:                               ;   in Loop: Header=BB5_9 Depth=3
	s_mov_b32 s48, exec_lo
	v_cmpx_ge_i32_e64 v2, v6
	s_xor_b32 s48, exec_lo, s48
	s_cbranch_execz .LBB5_25
; %bb.24:                               ;   in Loop: Header=BB5_9 Depth=3
	v_add_co_u32 v6, vcc_lo, s38, v10
	v_add_co_ci_u32_e64 v7, null, s39, v11, vcc_lo
                                        ; implicit-def: $vgpr8
                                        ; implicit-def: $vgpr4
	global_store_dword v[6:7], v12, off
                                        ; implicit-def: $vgpr12
                                        ; implicit-def: $vgpr7
.LBB5_25:                               ;   in Loop: Header=BB5_9 Depth=3
	s_andn2_saveexec_b32 s48, s48
	s_cbranch_execz .LBB5_34
; %bb.26:                               ;   in Loop: Header=BB5_9 Depth=3
	s_mov_b32 s49, exec_lo
	v_cmpx_lt_i32_e64 v8, v4
	s_cbranch_execz .LBB5_33
; %bb.27:                               ;   in Loop: Header=BB5_9 Depth=3
	s_mov_b32 s50, 0
                                        ; implicit-def: $sgpr51
                                        ; implicit-def: $sgpr53
                                        ; implicit-def: $sgpr52
	s_inst_prefetch 0x1
	s_branch .LBB5_29
	.p2align	6
.LBB5_28:                               ;   in Loop: Header=BB5_29 Depth=4
	s_or_b32 exec_lo, exec_lo, s54
	s_and_b32 s54, exec_lo, s53
	s_or_b32 s50, s54, s50
	s_andn2_b32 s51, s51, exec_lo
	s_and_b32 s54, s52, exec_lo
	s_or_b32 s51, s51, s54
	s_andn2_b32 exec_lo, exec_lo, s50
	s_cbranch_execz .LBB5_31
.LBB5_29:                               ;   Parent Loop BB5_3 Depth=1
                                        ;     Parent Loop BB5_5 Depth=2
                                        ;       Parent Loop BB5_9 Depth=3
                                        ; =>      This Inner Loop Header: Depth=4
	v_add_nc_u32_e32 v9, v7, v8
	s_or_b32 s52, s52, exec_lo
	s_or_b32 s53, s53, exec_lo
	s_mov_b32 s54, exec_lo
	v_ashrrev_i32_e32 v10, 31, v9
	v_lshlrev_b64 v[9:10], 2, v[9:10]
	v_add_co_u32 v13, vcc_lo, s12, v9
	v_add_co_ci_u32_e64 v14, null, s13, v10, vcc_lo
	global_load_dword v0, v[13:14], off
	s_waitcnt vmcnt(0)
	v_subrev_nc_u32_e32 v0, s44, v0
	v_cmpx_ne_u32_e64 v0, v2
	s_cbranch_execz .LBB5_28
; %bb.30:                               ;   in Loop: Header=BB5_29 Depth=4
	v_add_nc_u32_e32 v8, 1, v8
	s_andn2_b32 s53, s53, exec_lo
	s_andn2_b32 s52, s52, exec_lo
	v_cmp_ge_i32_e32 vcc_lo, v8, v4
	s_and_b32 s55, vcc_lo, exec_lo
	s_or_b32 s53, s53, s55
	s_branch .LBB5_28
.LBB5_31:                               ;   in Loop: Header=BB5_9 Depth=3
	s_inst_prefetch 0x2
	s_or_b32 exec_lo, exec_lo, s50
	s_and_saveexec_b32 s50, s51
	s_xor_b32 s50, exec_lo, s50
	s_cbranch_execz .LBB5_33
; %bb.32:                               ;   in Loop: Header=BB5_9 Depth=3
	v_add_co_u32 v6, vcc_lo, s6, v9
	v_add_co_ci_u32_e64 v7, null, s7, v10, vcc_lo
	global_store_dword v[6:7], v12, off
.LBB5_33:                               ;   in Loop: Header=BB5_9 Depth=3
	s_or_b32 exec_lo, exec_lo, s49
.LBB5_34:                               ;   in Loop: Header=BB5_9 Depth=3
	s_or_b32 exec_lo, exec_lo, s48
                                        ; implicit-def: $vgpr12
                                        ; implicit-def: $vgpr6_vgpr7
.LBB5_35:                               ;   in Loop: Header=BB5_9 Depth=3
	s_andn2_saveexec_b32 s3, s3
	s_cbranch_execz .LBB5_8
; %bb.36:                               ;   in Loop: Header=BB5_9 Depth=3
	v_cmp_lt_i32_e32 vcc_lo, v0, v23
	s_and_b32 exec_lo, exec_lo, vcc_lo
	s_cbranch_execz .LBB5_8
; %bb.37:                               ;   in Loop: Header=BB5_9 Depth=3
	s_mov_b32 s3, 0
                                        ; implicit-def: $sgpr48
                                        ; implicit-def: $sgpr50
                                        ; implicit-def: $sgpr49
	s_inst_prefetch 0x1
	s_branch .LBB5_39
	.p2align	6
.LBB5_38:                               ;   in Loop: Header=BB5_39 Depth=4
	s_or_b32 exec_lo, exec_lo, s51
	s_and_b32 s51, exec_lo, s50
	s_or_b32 s3, s51, s3
	s_andn2_b32 s48, s48, exec_lo
	s_and_b32 s51, s49, exec_lo
	s_or_b32 s48, s48, s51
	s_andn2_b32 exec_lo, exec_lo, s3
	s_cbranch_execz .LBB5_41
.LBB5_39:                               ;   Parent Loop BB5_3 Depth=1
                                        ;     Parent Loop BB5_5 Depth=2
                                        ;       Parent Loop BB5_9 Depth=3
                                        ; =>      This Inner Loop Header: Depth=4
	v_add_nc_u32_e32 v7, v5, v0
	s_or_b32 s49, s49, exec_lo
	s_or_b32 s50, s50, exec_lo
	s_mov_b32 s51, exec_lo
	v_ashrrev_i32_e32 v8, 31, v7
	v_lshlrev_b64 v[7:8], 2, v[7:8]
	v_add_co_u32 v9, vcc_lo, s20, v7
	v_add_co_ci_u32_e64 v10, null, s21, v8, vcc_lo
	global_load_dword v4, v[9:10], off
	s_waitcnt vmcnt(0)
	v_subrev_nc_u32_e32 v4, s43, v4
	v_cmpx_ne_u32_e64 v4, v6
	s_cbranch_execz .LBB5_38
; %bb.40:                               ;   in Loop: Header=BB5_39 Depth=4
	v_add_nc_u32_e32 v0, 1, v0
	s_andn2_b32 s50, s50, exec_lo
	s_andn2_b32 s49, s49, exec_lo
	v_cmp_ge_i32_e32 vcc_lo, v0, v23
	s_and_b32 s52, vcc_lo, exec_lo
	s_or_b32 s50, s50, s52
	s_branch .LBB5_38
.LBB5_41:                               ;   in Loop: Header=BB5_9 Depth=3
	s_inst_prefetch 0x2
	s_or_b32 exec_lo, exec_lo, s3
	s_and_saveexec_b32 s3, s48
	s_xor_b32 s3, exec_lo, s3
	s_cbranch_execz .LBB5_8
; %bb.42:                               ;   in Loop: Header=BB5_9 Depth=3
	v_add_co_u32 v6, vcc_lo, s40, v7
	v_add_co_ci_u32_e64 v7, null, s41, v8, vcc_lo
	global_store_dword v[6:7], v12, off
	s_branch .LBB5_8
.LBB5_43:                               ;   in Loop: Header=BB5_3 Depth=1
	s_and_saveexec_b32 s3, s0
	s_cbranch_execz .LBB5_2
; %bb.44:                               ;   in Loop: Header=BB5_3 Depth=1
	v_mov_b32_e32 v2, v18
	s_mov_b32 s5, 0
	s_branch .LBB5_46
.LBB5_45:                               ;   in Loop: Header=BB5_46 Depth=2
	s_or_b32 exec_lo, exec_lo, s45
	v_add_nc_u32_e32 v2, 32, v2
	v_cmp_le_u32_e32 vcc_lo, s4, v2
	s_or_b32 s5, vcc_lo, s5
	s_andn2_b32 exec_lo, exec_lo, s5
	s_cbranch_execz .LBB5_2
.LBB5_46:                               ;   Parent Loop BB5_3 Depth=1
                                        ; =>  This Loop Header: Depth=2
                                        ;       Child Loop BB5_49 Depth 3
                                        ;       Child Loop BB5_52 Depth 3
	s_mov_b32 s45, exec_lo
	v_cmpx_gt_i32_e64 s35, v2
	s_cbranch_execz .LBB5_45
; %bb.47:                               ;   in Loop: Header=BB5_46 Depth=2
	v_ashrrev_i32_e32 v3, 31, v2
	s_mov_b32 s46, exec_lo
	v_lshlrev_b64 v[3:4], 2, v[2:3]
	v_add_co_u32 v5, vcc_lo, s16, v3
	v_add_co_ci_u32_e64 v6, null, s17, v4, vcc_lo
	v_add_co_u32 v7, vcc_lo, s18, v3
	v_add_co_ci_u32_e64 v8, null, s19, v4, vcc_lo
	global_load_dword v0, v[5:6], off
	global_load_dword v6, v[7:8], off
	s_waitcnt vmcnt(1)
	v_add_nc_u32_e32 v5, v20, v0
	s_waitcnt vmcnt(0)
	v_subrev_nc_u32_e32 v0, s43, v6
	v_cmpx_lt_i32_e64 v5, v0
	s_cbranch_execz .LBB5_50
; %bb.48:                               ;   in Loop: Header=BB5_46 Depth=2
	v_ashrrev_i32_e32 v6, 31, v5
	s_mov_b32 s47, 0
	v_lshlrev_b64 v[8:9], 2, v[5:6]
	v_add_co_u32 v6, vcc_lo, s40, v8
	v_add_co_ci_u32_e64 v7, null, s41, v9, vcc_lo
	v_add_co_u32 v8, vcc_lo, s22, v8
	v_add_co_ci_u32_e64 v9, null, s23, v9, vcc_lo
	.p2align	6
.LBB5_49:                               ;   Parent Loop BB5_3 Depth=1
                                        ;     Parent Loop BB5_46 Depth=2
                                        ; =>    This Inner Loop Header: Depth=3
	global_load_dword v10, v[6:7], off
	v_add_nc_u32_e32 v5, 32, v5
	v_add_co_u32 v6, vcc_lo, 0x80, v6
	v_add_co_ci_u32_e64 v7, null, 0, v7, vcc_lo
	v_cmp_ge_i32_e32 vcc_lo, v5, v0
	s_or_b32 s47, vcc_lo, s47
	s_waitcnt vmcnt(0)
	global_store_dword v[8:9], v10, off
	v_add_co_u32 v8, s2, 0x80, v8
	v_add_co_ci_u32_e64 v9, null, 0, v9, s2
	s_andn2_b32 exec_lo, exec_lo, s47
	s_cbranch_execnz .LBB5_49
.LBB5_50:                               ;   in Loop: Header=BB5_46 Depth=2
	s_or_b32 exec_lo, exec_lo, s46
	v_add_co_u32 v5, vcc_lo, s8, v3
	v_add_co_ci_u32_e64 v6, null, s9, v4, vcc_lo
	v_add_co_u32 v7, vcc_lo, s10, v3
	v_add_co_ci_u32_e64 v8, null, s11, v4, vcc_lo
	global_load_dword v0, v[5:6], off
	global_load_dword v6, v[7:8], off
	s_mov_b32 s46, exec_lo
	s_waitcnt vmcnt(1)
	v_add_nc_u32_e32 v5, v21, v0
	s_waitcnt vmcnt(0)
	v_subrev_nc_u32_e32 v0, s44, v6
	v_cmpx_lt_i32_e64 v5, v0
	s_cbranch_execz .LBB5_53
; %bb.51:                               ;   in Loop: Header=BB5_46 Depth=2
	v_ashrrev_i32_e32 v6, 31, v5
	s_mov_b32 s47, 0
	v_lshlrev_b64 v[8:9], 2, v[5:6]
	v_add_co_u32 v6, vcc_lo, s6, v8
	v_add_co_ci_u32_e64 v7, null, s7, v9, vcc_lo
	v_add_co_u32 v8, vcc_lo, s14, v8
	v_add_co_ci_u32_e64 v9, null, s15, v9, vcc_lo
	.p2align	6
.LBB5_52:                               ;   Parent Loop BB5_3 Depth=1
                                        ;     Parent Loop BB5_46 Depth=2
                                        ; =>    This Inner Loop Header: Depth=3
	global_load_dword v10, v[6:7], off
	v_add_nc_u32_e32 v5, 32, v5
	v_add_co_u32 v6, vcc_lo, 0x80, v6
	v_add_co_ci_u32_e64 v7, null, 0, v7, vcc_lo
	v_cmp_ge_i32_e32 vcc_lo, v5, v0
	s_or_b32 s47, vcc_lo, s47
	s_waitcnt vmcnt(0)
	global_store_dword v[8:9], v10, off
	v_add_co_u32 v8, s2, 0x80, v8
	v_add_co_ci_u32_e64 v9, null, 0, v9, s2
	s_andn2_b32 exec_lo, exec_lo, s47
	s_cbranch_execnz .LBB5_52
.LBB5_53:                               ;   in Loop: Header=BB5_46 Depth=2
	s_or_b32 exec_lo, exec_lo, s46
	s_and_b32 exec_lo, exec_lo, s1
	s_cbranch_execz .LBB5_45
; %bb.54:                               ;   in Loop: Header=BB5_46 Depth=2
	v_add_co_u32 v5, vcc_lo, s38, v3
	v_add_co_ci_u32_e64 v6, null, s39, v4, vcc_lo
	v_add_co_u32 v3, vcc_lo, s36, v3
	v_add_co_ci_u32_e64 v4, null, s37, v4, vcc_lo
	global_load_dword v0, v[5:6], off
	s_waitcnt vmcnt(0)
	global_store_dword v[3:4], v0, off
	s_branch .LBB5_45
.LBB5_55:
	s_endpgm
	.section	.rodata,"a",@progbits
	.p2align	6, 0x0
	.amdhsa_kernel _ZN9rocsparseL14kernel_freerunILi1024ELi32EfiiEEvT3_S1_T2_PKS2_S4_PKS1_PKT1_21rocsparse_index_base_S4_S4_S6_PS7_SB_SA_S4_S4_S6_SB_SB_SA_SB_SB_
		.amdhsa_group_segment_fixed_size 0
		.amdhsa_private_segment_fixed_size 0
		.amdhsa_kernarg_size 168
		.amdhsa_user_sgpr_count 6
		.amdhsa_user_sgpr_private_segment_buffer 1
		.amdhsa_user_sgpr_dispatch_ptr 0
		.amdhsa_user_sgpr_queue_ptr 0
		.amdhsa_user_sgpr_kernarg_segment_ptr 1
		.amdhsa_user_sgpr_dispatch_id 0
		.amdhsa_user_sgpr_flat_scratch_init 0
		.amdhsa_user_sgpr_private_segment_size 0
		.amdhsa_wavefront_size32 1
		.amdhsa_uses_dynamic_stack 0
		.amdhsa_system_sgpr_private_segment_wavefront_offset 0
		.amdhsa_system_sgpr_workgroup_id_x 1
		.amdhsa_system_sgpr_workgroup_id_y 0
		.amdhsa_system_sgpr_workgroup_id_z 0
		.amdhsa_system_sgpr_workgroup_info 0
		.amdhsa_system_vgpr_workitem_id 0
		.amdhsa_next_free_vgpr 37
		.amdhsa_next_free_sgpr 56
		.amdhsa_reserve_vcc 1
		.amdhsa_reserve_flat_scratch 0
		.amdhsa_float_round_mode_32 0
		.amdhsa_float_round_mode_16_64 0
		.amdhsa_float_denorm_mode_32 3
		.amdhsa_float_denorm_mode_16_64 3
		.amdhsa_dx10_clamp 1
		.amdhsa_ieee_mode 1
		.amdhsa_fp16_overflow 0
		.amdhsa_workgroup_processor_mode 1
		.amdhsa_memory_ordered 1
		.amdhsa_forward_progress 1
		.amdhsa_shared_vgpr_count 0
		.amdhsa_exception_fp_ieee_invalid_op 0
		.amdhsa_exception_fp_denorm_src 0
		.amdhsa_exception_fp_ieee_div_zero 0
		.amdhsa_exception_fp_ieee_overflow 0
		.amdhsa_exception_fp_ieee_underflow 0
		.amdhsa_exception_fp_ieee_inexact 0
		.amdhsa_exception_int_div_zero 0
	.end_amdhsa_kernel
	.section	.text._ZN9rocsparseL14kernel_freerunILi1024ELi32EfiiEEvT3_S1_T2_PKS2_S4_PKS1_PKT1_21rocsparse_index_base_S4_S4_S6_PS7_SB_SA_S4_S4_S6_SB_SB_SA_SB_SB_,"axG",@progbits,_ZN9rocsparseL14kernel_freerunILi1024ELi32EfiiEEvT3_S1_T2_PKS2_S4_PKS1_PKT1_21rocsparse_index_base_S4_S4_S6_PS7_SB_SA_S4_S4_S6_SB_SB_SA_SB_SB_,comdat
.Lfunc_end5:
	.size	_ZN9rocsparseL14kernel_freerunILi1024ELi32EfiiEEvT3_S1_T2_PKS2_S4_PKS1_PKT1_21rocsparse_index_base_S4_S4_S6_PS7_SB_SA_S4_S4_S6_SB_SB_SA_SB_SB_, .Lfunc_end5-_ZN9rocsparseL14kernel_freerunILi1024ELi32EfiiEEvT3_S1_T2_PKS2_S4_PKS1_PKT1_21rocsparse_index_base_S4_S4_S6_PS7_SB_SA_S4_S4_S6_SB_SB_SA_SB_SB_
                                        ; -- End function
	.set _ZN9rocsparseL14kernel_freerunILi1024ELi32EfiiEEvT3_S1_T2_PKS2_S4_PKS1_PKT1_21rocsparse_index_base_S4_S4_S6_PS7_SB_SA_S4_S4_S6_SB_SB_SA_SB_SB_.num_vgpr, 37
	.set _ZN9rocsparseL14kernel_freerunILi1024ELi32EfiiEEvT3_S1_T2_PKS2_S4_PKS1_PKT1_21rocsparse_index_base_S4_S4_S6_PS7_SB_SA_S4_S4_S6_SB_SB_SA_SB_SB_.num_agpr, 0
	.set _ZN9rocsparseL14kernel_freerunILi1024ELi32EfiiEEvT3_S1_T2_PKS2_S4_PKS1_PKT1_21rocsparse_index_base_S4_S4_S6_PS7_SB_SA_S4_S4_S6_SB_SB_SA_SB_SB_.numbered_sgpr, 56
	.set _ZN9rocsparseL14kernel_freerunILi1024ELi32EfiiEEvT3_S1_T2_PKS2_S4_PKS1_PKT1_21rocsparse_index_base_S4_S4_S6_PS7_SB_SA_S4_S4_S6_SB_SB_SA_SB_SB_.num_named_barrier, 0
	.set _ZN9rocsparseL14kernel_freerunILi1024ELi32EfiiEEvT3_S1_T2_PKS2_S4_PKS1_PKT1_21rocsparse_index_base_S4_S4_S6_PS7_SB_SA_S4_S4_S6_SB_SB_SA_SB_SB_.private_seg_size, 0
	.set _ZN9rocsparseL14kernel_freerunILi1024ELi32EfiiEEvT3_S1_T2_PKS2_S4_PKS1_PKT1_21rocsparse_index_base_S4_S4_S6_PS7_SB_SA_S4_S4_S6_SB_SB_SA_SB_SB_.uses_vcc, 1
	.set _ZN9rocsparseL14kernel_freerunILi1024ELi32EfiiEEvT3_S1_T2_PKS2_S4_PKS1_PKT1_21rocsparse_index_base_S4_S4_S6_PS7_SB_SA_S4_S4_S6_SB_SB_SA_SB_SB_.uses_flat_scratch, 0
	.set _ZN9rocsparseL14kernel_freerunILi1024ELi32EfiiEEvT3_S1_T2_PKS2_S4_PKS1_PKT1_21rocsparse_index_base_S4_S4_S6_PS7_SB_SA_S4_S4_S6_SB_SB_SA_SB_SB_.has_dyn_sized_stack, 0
	.set _ZN9rocsparseL14kernel_freerunILi1024ELi32EfiiEEvT3_S1_T2_PKS2_S4_PKS1_PKT1_21rocsparse_index_base_S4_S4_S6_PS7_SB_SA_S4_S4_S6_SB_SB_SA_SB_SB_.has_recursion, 0
	.set _ZN9rocsparseL14kernel_freerunILi1024ELi32EfiiEEvT3_S1_T2_PKS2_S4_PKS1_PKT1_21rocsparse_index_base_S4_S4_S6_PS7_SB_SA_S4_S4_S6_SB_SB_SA_SB_SB_.has_indirect_call, 0
	.section	.AMDGPU.csdata,"",@progbits
; Kernel info:
; codeLenInByte = 2328
; TotalNumSgprs: 58
; NumVgprs: 37
; ScratchSize: 0
; MemoryBound: 0
; FloatMode: 240
; IeeeMode: 1
; LDSByteSize: 0 bytes/workgroup (compile time only)
; SGPRBlocks: 0
; VGPRBlocks: 4
; NumSGPRsForWavesPerEU: 58
; NumVGPRsForWavesPerEU: 37
; Occupancy: 16
; WaveLimiterHint : 1
; COMPUTE_PGM_RSRC2:SCRATCH_EN: 0
; COMPUTE_PGM_RSRC2:USER_SGPR: 6
; COMPUTE_PGM_RSRC2:TRAP_HANDLER: 0
; COMPUTE_PGM_RSRC2:TGID_X_EN: 1
; COMPUTE_PGM_RSRC2:TGID_Y_EN: 0
; COMPUTE_PGM_RSRC2:TGID_Z_EN: 0
; COMPUTE_PGM_RSRC2:TIDIG_COMP_CNT: 0
	.section	.text._ZN9rocsparseL14kernel_freerunILi1024ELi64EfiiEEvT3_S1_T2_PKS2_S4_PKS1_PKT1_21rocsparse_index_base_S4_S4_S6_PS7_SB_SA_S4_S4_S6_SB_SB_SA_SB_SB_,"axG",@progbits,_ZN9rocsparseL14kernel_freerunILi1024ELi64EfiiEEvT3_S1_T2_PKS2_S4_PKS1_PKT1_21rocsparse_index_base_S4_S4_S6_PS7_SB_SA_S4_S4_S6_SB_SB_SA_SB_SB_,comdat
	.globl	_ZN9rocsparseL14kernel_freerunILi1024ELi64EfiiEEvT3_S1_T2_PKS2_S4_PKS1_PKT1_21rocsparse_index_base_S4_S4_S6_PS7_SB_SA_S4_S4_S6_SB_SB_SA_SB_SB_ ; -- Begin function _ZN9rocsparseL14kernel_freerunILi1024ELi64EfiiEEvT3_S1_T2_PKS2_S4_PKS1_PKT1_21rocsparse_index_base_S4_S4_S6_PS7_SB_SA_S4_S4_S6_SB_SB_SA_SB_SB_
	.p2align	8
	.type	_ZN9rocsparseL14kernel_freerunILi1024ELi64EfiiEEvT3_S1_T2_PKS2_S4_PKS1_PKT1_21rocsparse_index_base_S4_S4_S6_PS7_SB_SA_S4_S4_S6_SB_SB_SA_SB_SB_,@function
_ZN9rocsparseL14kernel_freerunILi1024ELi64EfiiEEvT3_S1_T2_PKS2_S4_PKS1_PKT1_21rocsparse_index_base_S4_S4_S6_PS7_SB_SA_S4_S4_S6_SB_SB_SA_SB_SB_: ; @_ZN9rocsparseL14kernel_freerunILi1024ELi64EfiiEEvT3_S1_T2_PKS2_S4_PKS1_PKT1_21rocsparse_index_base_S4_S4_S6_PS7_SB_SA_S4_S4_S6_SB_SB_SA_SB_SB_
; %bb.0:
	s_load_dwordx2 s[34:35], s[4:5], 0x0
	v_lshrrev_b32_e32 v1, 6, v0
	s_lshl_b32 s0, s6, 10
	s_mov_b32 s33, 0
	v_or_b32_e32 v18, s0, v1
	s_waitcnt lgkmcnt(0)
	v_cmp_gt_i32_e32 vcc_lo, s35, v18
	s_cmp_gt_i32 s34, 0
	s_cselect_b32 s1, -1, 0
	s_and_b32 s1, vcc_lo, s1
	s_and_saveexec_b32 s2, s1
	s_cbranch_execz .LBB6_55
; %bb.1:
	s_clause 0x8
	s_load_dword s42, s[4:5], 0x30
	s_load_dword s43, s[4:5], 0x60
	;; [unrolled: 1-line block ×3, first 2 shown]
	s_load_dwordx2 s[6:7], s[4:5], 0x88
	s_load_dwordx2 s[40:41], s[4:5], 0x58
	s_load_dwordx4 s[36:39], s[4:5], 0x98
	s_load_dwordx8 s[8:15], s[4:5], 0x68
	s_load_dwordx8 s[16:23], s[4:5], 0x38
	;; [unrolled: 1-line block ×3, first 2 shown]
	v_and_b32_e32 v0, 63, v0
	s_add_i32 s4, s0, 0x400
	v_mov_b32_e32 v1, 0
	v_cmp_gt_u32_e64 s0, s4, v18
	v_cmp_eq_u32_e64 s1, 0, v0
	s_waitcnt lgkmcnt(0)
	v_subrev_nc_u32_e32 v19, s42, v0
	v_subrev_nc_u32_e32 v20, s43, v0
	;; [unrolled: 1-line block ×3, first 2 shown]
	s_branch .LBB6_3
.LBB6_2:                                ;   in Loop: Header=BB6_3 Depth=1
	s_or_b32 exec_lo, exec_lo, s3
	s_add_i32 s33, s33, 1
	s_cmp_eq_u32 s33, s34
	s_cbranch_scc1 .LBB6_55
.LBB6_3:                                ; =>This Loop Header: Depth=1
                                        ;     Child Loop BB6_5 Depth 2
                                        ;       Child Loop BB6_9 Depth 3
                                        ;         Child Loop BB6_13 Depth 4
                                        ;         Child Loop BB6_29 Depth 4
	;; [unrolled: 1-line block ×3, first 2 shown]
                                        ;     Child Loop BB6_46 Depth 2
                                        ;       Child Loop BB6_49 Depth 3
                                        ;       Child Loop BB6_52 Depth 3
	s_mov_b32 s5, 0
	s_branch .LBB6_5
.LBB6_4:                                ;   in Loop: Header=BB6_5 Depth=2
	s_or_b32 exec_lo, exec_lo, s45
	s_add_i32 s5, s5, 1
	s_cmp_eq_u32 s5, 64
	s_cbranch_scc1 .LBB6_43
.LBB6_5:                                ;   Parent Loop BB6_3 Depth=1
                                        ; =>  This Loop Header: Depth=2
                                        ;       Child Loop BB6_9 Depth 3
                                        ;         Child Loop BB6_13 Depth 4
                                        ;         Child Loop BB6_29 Depth 4
	;; [unrolled: 1-line block ×3, first 2 shown]
	v_lshl_add_u32 v2, s5, 4, v18
	s_mov_b32 s45, exec_lo
	v_cmpx_gt_i32_e64 s35, v2
	s_cbranch_execz .LBB6_4
; %bb.6:                                ;   in Loop: Header=BB6_5 Depth=2
	v_ashrrev_i32_e32 v3, 31, v2
	v_lshlrev_b64 v[4:5], 2, v[2:3]
	v_add_co_u32 v6, vcc_lo, s24, v4
	v_add_co_ci_u32_e64 v7, null, s25, v5, vcc_lo
	v_add_co_u32 v8, vcc_lo, s26, v4
	v_add_co_ci_u32_e64 v9, null, s27, v5, vcc_lo
	global_load_dword v0, v[6:7], off
	global_load_dword v6, v[8:9], off
	s_waitcnt vmcnt(1)
	v_add_nc_u32_e32 v3, v19, v0
	s_waitcnt vmcnt(0)
	v_subrev_nc_u32_e32 v22, s42, v6
	v_cmp_lt_i32_e32 vcc_lo, v3, v22
	s_and_b32 exec_lo, exec_lo, vcc_lo
	s_cbranch_execz .LBB6_4
; %bb.7:                                ;   in Loop: Header=BB6_5 Depth=2
	v_add_co_u32 v6, vcc_lo, s16, v4
	v_add_co_ci_u32_e64 v7, null, s17, v5, vcc_lo
	v_add_co_u32 v4, vcc_lo, s18, v4
	v_add_co_ci_u32_e64 v5, null, s19, v5, vcc_lo
	global_load_dword v0, v[6:7], off
	s_mov_b32 s46, 0
	global_load_dword v4, v[4:5], off
	s_waitcnt vmcnt(1)
	v_subrev_nc_u32_e32 v5, s43, v0
	s_waitcnt vmcnt(0)
	v_sub_nc_u32_e32 v23, v4, v0
	v_ashrrev_i32_e32 v6, 31, v5
	v_cmp_lt_i32_e64 s2, 0, v23
	v_lshlrev_b64 v[6:7], 2, v[5:6]
	v_add_co_u32 v24, vcc_lo, s20, v6
	v_add_co_ci_u32_e64 v25, null, s21, v7, vcc_lo
	v_add_co_u32 v26, vcc_lo, s22, v6
	v_add_co_ci_u32_e64 v27, null, s23, v7, vcc_lo
	s_branch .LBB6_9
.LBB6_8:                                ;   in Loop: Header=BB6_9 Depth=3
	s_or_b32 exec_lo, exec_lo, s47
	v_add_nc_u32_e32 v3, 64, v3
	v_cmp_ge_i32_e32 vcc_lo, v3, v22
	s_or_b32 s46, vcc_lo, s46
	s_andn2_b32 exec_lo, exec_lo, s46
	s_cbranch_execz .LBB6_4
.LBB6_9:                                ;   Parent Loop BB6_3 Depth=1
                                        ;     Parent Loop BB6_5 Depth=2
                                        ; =>    This Loop Header: Depth=3
                                        ;         Child Loop BB6_13 Depth 4
                                        ;         Child Loop BB6_29 Depth 4
	;; [unrolled: 1-line block ×3, first 2 shown]
	v_ashrrev_i32_e32 v4, 31, v3
	v_mov_b32_e32 v28, 0
	v_lshlrev_b64 v[12:13], 2, v[3:4]
	v_add_co_u32 v6, vcc_lo, s28, v12
	v_add_co_ci_u32_e64 v7, null, s29, v13, vcc_lo
	global_load_dword v0, v[6:7], off
	s_waitcnt vmcnt(0)
	v_subrev_nc_u32_e32 v6, s42, v0
	v_ashrrev_i32_e32 v7, 31, v6
	v_lshlrev_b64 v[10:11], 2, v[6:7]
	v_add_co_u32 v7, vcc_lo, s8, v10
	v_add_co_ci_u32_e64 v8, null, s9, v11, vcc_lo
	v_add_co_u32 v14, vcc_lo, s10, v10
	v_add_co_ci_u32_e64 v15, null, s11, v11, vcc_lo
	global_load_dword v0, v[7:8], off
	global_load_dword v4, v[14:15], off
	v_mov_b32_e32 v8, 0
	s_waitcnt vmcnt(1)
	v_subrev_nc_u32_e32 v7, s44, v0
	s_waitcnt vmcnt(0)
	v_sub_nc_u32_e32 v4, v4, v0
	v_mov_b32_e32 v0, v8
	s_and_saveexec_b32 s47, s2
	s_cbranch_execz .LBB6_17
; %bb.10:                               ;   in Loop: Header=BB6_9 Depth=3
	v_ashrrev_i32_e32 v8, 31, v7
	v_mov_b32_e32 v28, 0
	v_mov_b32_e32 v0, 0
	s_mov_b32 s48, 0
                                        ; implicit-def: $sgpr49
	v_lshlrev_b64 v[8:9], 2, v[7:8]
	v_add_co_u32 v29, vcc_lo, s12, v8
	v_add_co_ci_u32_e64 v30, null, s13, v9, vcc_lo
	v_add_co_u32 v31, vcc_lo, s14, v8
	v_add_co_ci_u32_e64 v32, null, s15, v9, vcc_lo
	v_mov_b32_e32 v8, 0
	s_branch .LBB6_13
.LBB6_11:                               ;   in Loop: Header=BB6_13 Depth=4
	s_or_b32 exec_lo, exec_lo, s3
	v_cmp_le_i32_e32 vcc_lo, v9, v33
	v_cmp_ge_i32_e64 s3, v9, v33
	v_add_co_ci_u32_e64 v0, null, 0, v0, vcc_lo
	v_add_co_ci_u32_e64 v8, null, 0, v8, s3
	s_andn2_b32 s3, s49, exec_lo
	v_cmp_ge_i32_e32 vcc_lo, v0, v23
	s_and_b32 s49, vcc_lo, exec_lo
	s_or_b32 s49, s3, s49
.LBB6_12:                               ;   in Loop: Header=BB6_13 Depth=4
	s_or_b32 exec_lo, exec_lo, s50
	s_and_b32 s3, exec_lo, s49
	s_or_b32 s48, s3, s48
	s_andn2_b32 exec_lo, exec_lo, s48
	s_cbranch_execz .LBB6_16
.LBB6_13:                               ;   Parent Loop BB6_3 Depth=1
                                        ;     Parent Loop BB6_5 Depth=2
                                        ;       Parent Loop BB6_9 Depth=3
                                        ; =>      This Inner Loop Header: Depth=4
	s_or_b32 s49, s49, exec_lo
	s_mov_b32 s50, exec_lo
	v_cmpx_lt_i32_e64 v8, v4
	s_cbranch_execz .LBB6_12
; %bb.14:                               ;   in Loop: Header=BB6_13 Depth=4
	v_mov_b32_e32 v9, v1
	v_lshlrev_b64 v[16:17], 2, v[0:1]
	s_mov_b32 s3, exec_lo
	v_lshlrev_b64 v[14:15], 2, v[8:9]
	v_add_co_u32 v33, vcc_lo, v24, v16
	v_add_co_ci_u32_e64 v34, null, v25, v17, vcc_lo
	v_add_co_u32 v35, vcc_lo, v29, v14
	v_add_co_ci_u32_e64 v36, null, v30, v15, vcc_lo
	global_load_dword v9, v[33:34], off
	global_load_dword v33, v[35:36], off
	s_waitcnt vmcnt(1)
	v_subrev_nc_u32_e32 v9, s43, v9
	s_waitcnt vmcnt(0)
	v_subrev_nc_u32_e32 v33, s44, v33
	v_cmpx_eq_u32_e64 v9, v33
	s_cbranch_execz .LBB6_11
; %bb.15:                               ;   in Loop: Header=BB6_13 Depth=4
	v_add_co_u32 v16, vcc_lo, v26, v16
	v_add_co_ci_u32_e64 v17, null, v27, v17, vcc_lo
	v_add_co_u32 v14, vcc_lo, v31, v14
	v_add_co_ci_u32_e64 v15, null, v32, v15, vcc_lo
	global_load_dword v16, v[16:17], off
	global_load_dword v14, v[14:15], off
	s_waitcnt vmcnt(0)
	v_fmac_f32_e32 v28, v16, v14
	s_branch .LBB6_11
.LBB6_16:                               ;   in Loop: Header=BB6_9 Depth=3
	s_or_b32 exec_lo, exec_lo, s48
.LBB6_17:                               ;   in Loop: Header=BB6_9 Depth=3
	s_or_b32 exec_lo, exec_lo, s47
	v_add_co_u32 v12, vcc_lo, s30, v12
	v_add_co_ci_u32_e64 v13, null, s31, v13, vcc_lo
	v_cmp_le_i32_e64 s3, v2, v6
	s_mov_b32 s47, exec_lo
	global_load_dword v9, v[12:13], off
	s_waitcnt vmcnt(0)
	v_sub_f32_e32 v12, v9, v28
	v_cmpx_gt_i32_e64 v2, v6
	s_cbranch_execz .LBB6_21
; %bb.18:                               ;   in Loop: Header=BB6_9 Depth=3
	v_add_co_u32 v13, vcc_lo, s36, v10
	v_add_co_ci_u32_e64 v14, null, s37, v11, vcc_lo
	s_mov_b32 s48, exec_lo
	global_load_dword v9, v[13:14], off
	v_mov_b32_e32 v13, 0
	s_waitcnt vmcnt(0)
	v_cmpx_lg_f32_e32 0, v9
	s_cbranch_execz .LBB6_20
; %bb.19:                               ;   in Loop: Header=BB6_9 Depth=3
	v_div_scale_f32 v13, null, v9, v9, v12
	v_rcp_f32_e32 v14, v13
	v_fma_f32 v15, -v13, v14, 1.0
	v_fmac_f32_e32 v14, v15, v14
	v_div_scale_f32 v15, vcc_lo, v12, v9, v12
	v_mul_f32_e32 v16, v15, v14
	v_fma_f32 v17, -v13, v16, v15
	v_fmac_f32_e32 v16, v17, v14
	v_fma_f32 v13, -v13, v16, v15
	v_div_fmas_f32 v13, v13, v14, v16
	v_div_fixup_f32 v13, v13, v9, v12
.LBB6_20:                               ;   in Loop: Header=BB6_9 Depth=3
	s_or_b32 exec_lo, exec_lo, s48
	v_mov_b32_e32 v12, v13
.LBB6_21:                               ;   in Loop: Header=BB6_9 Depth=3
	s_or_b32 exec_lo, exec_lo, s47
	v_cmp_class_f32_e64 s48, v12, 0x1f8
	s_and_saveexec_b32 s47, s48
	s_cbranch_execz .LBB6_8
; %bb.22:                               ;   in Loop: Header=BB6_9 Depth=3
	s_and_saveexec_b32 s48, s3
	s_xor_b32 s3, exec_lo, s48
	s_cbranch_execz .LBB6_35
; %bb.23:                               ;   in Loop: Header=BB6_9 Depth=3
	s_mov_b32 s48, exec_lo
	v_cmpx_ge_i32_e64 v2, v6
	s_xor_b32 s48, exec_lo, s48
	s_cbranch_execz .LBB6_25
; %bb.24:                               ;   in Loop: Header=BB6_9 Depth=3
	v_add_co_u32 v6, vcc_lo, s38, v10
	v_add_co_ci_u32_e64 v7, null, s39, v11, vcc_lo
                                        ; implicit-def: $vgpr8
                                        ; implicit-def: $vgpr4
	global_store_dword v[6:7], v12, off
                                        ; implicit-def: $vgpr12
                                        ; implicit-def: $vgpr7
.LBB6_25:                               ;   in Loop: Header=BB6_9 Depth=3
	s_andn2_saveexec_b32 s48, s48
	s_cbranch_execz .LBB6_34
; %bb.26:                               ;   in Loop: Header=BB6_9 Depth=3
	s_mov_b32 s49, exec_lo
	v_cmpx_lt_i32_e64 v8, v4
	s_cbranch_execz .LBB6_33
; %bb.27:                               ;   in Loop: Header=BB6_9 Depth=3
	s_mov_b32 s50, 0
                                        ; implicit-def: $sgpr51
                                        ; implicit-def: $sgpr53
                                        ; implicit-def: $sgpr52
	s_inst_prefetch 0x1
	s_branch .LBB6_29
	.p2align	6
.LBB6_28:                               ;   in Loop: Header=BB6_29 Depth=4
	s_or_b32 exec_lo, exec_lo, s54
	s_and_b32 s54, exec_lo, s53
	s_or_b32 s50, s54, s50
	s_andn2_b32 s51, s51, exec_lo
	s_and_b32 s54, s52, exec_lo
	s_or_b32 s51, s51, s54
	s_andn2_b32 exec_lo, exec_lo, s50
	s_cbranch_execz .LBB6_31
.LBB6_29:                               ;   Parent Loop BB6_3 Depth=1
                                        ;     Parent Loop BB6_5 Depth=2
                                        ;       Parent Loop BB6_9 Depth=3
                                        ; =>      This Inner Loop Header: Depth=4
	v_add_nc_u32_e32 v9, v7, v8
	s_or_b32 s52, s52, exec_lo
	s_or_b32 s53, s53, exec_lo
	s_mov_b32 s54, exec_lo
	v_ashrrev_i32_e32 v10, 31, v9
	v_lshlrev_b64 v[9:10], 2, v[9:10]
	v_add_co_u32 v13, vcc_lo, s12, v9
	v_add_co_ci_u32_e64 v14, null, s13, v10, vcc_lo
	global_load_dword v0, v[13:14], off
	s_waitcnt vmcnt(0)
	v_subrev_nc_u32_e32 v0, s44, v0
	v_cmpx_ne_u32_e64 v0, v2
	s_cbranch_execz .LBB6_28
; %bb.30:                               ;   in Loop: Header=BB6_29 Depth=4
	v_add_nc_u32_e32 v8, 1, v8
	s_andn2_b32 s53, s53, exec_lo
	s_andn2_b32 s52, s52, exec_lo
	v_cmp_ge_i32_e32 vcc_lo, v8, v4
	s_and_b32 s55, vcc_lo, exec_lo
	s_or_b32 s53, s53, s55
	s_branch .LBB6_28
.LBB6_31:                               ;   in Loop: Header=BB6_9 Depth=3
	s_inst_prefetch 0x2
	s_or_b32 exec_lo, exec_lo, s50
	s_and_saveexec_b32 s50, s51
	s_xor_b32 s50, exec_lo, s50
	s_cbranch_execz .LBB6_33
; %bb.32:                               ;   in Loop: Header=BB6_9 Depth=3
	v_add_co_u32 v6, vcc_lo, s6, v9
	v_add_co_ci_u32_e64 v7, null, s7, v10, vcc_lo
	global_store_dword v[6:7], v12, off
.LBB6_33:                               ;   in Loop: Header=BB6_9 Depth=3
	s_or_b32 exec_lo, exec_lo, s49
.LBB6_34:                               ;   in Loop: Header=BB6_9 Depth=3
	s_or_b32 exec_lo, exec_lo, s48
                                        ; implicit-def: $vgpr12
                                        ; implicit-def: $vgpr6_vgpr7
.LBB6_35:                               ;   in Loop: Header=BB6_9 Depth=3
	s_andn2_saveexec_b32 s3, s3
	s_cbranch_execz .LBB6_8
; %bb.36:                               ;   in Loop: Header=BB6_9 Depth=3
	v_cmp_lt_i32_e32 vcc_lo, v0, v23
	s_and_b32 exec_lo, exec_lo, vcc_lo
	s_cbranch_execz .LBB6_8
; %bb.37:                               ;   in Loop: Header=BB6_9 Depth=3
	s_mov_b32 s3, 0
                                        ; implicit-def: $sgpr48
                                        ; implicit-def: $sgpr50
                                        ; implicit-def: $sgpr49
	s_inst_prefetch 0x1
	s_branch .LBB6_39
	.p2align	6
.LBB6_38:                               ;   in Loop: Header=BB6_39 Depth=4
	s_or_b32 exec_lo, exec_lo, s51
	s_and_b32 s51, exec_lo, s50
	s_or_b32 s3, s51, s3
	s_andn2_b32 s48, s48, exec_lo
	s_and_b32 s51, s49, exec_lo
	s_or_b32 s48, s48, s51
	s_andn2_b32 exec_lo, exec_lo, s3
	s_cbranch_execz .LBB6_41
.LBB6_39:                               ;   Parent Loop BB6_3 Depth=1
                                        ;     Parent Loop BB6_5 Depth=2
                                        ;       Parent Loop BB6_9 Depth=3
                                        ; =>      This Inner Loop Header: Depth=4
	v_add_nc_u32_e32 v7, v5, v0
	s_or_b32 s49, s49, exec_lo
	s_or_b32 s50, s50, exec_lo
	s_mov_b32 s51, exec_lo
	v_ashrrev_i32_e32 v8, 31, v7
	v_lshlrev_b64 v[7:8], 2, v[7:8]
	v_add_co_u32 v9, vcc_lo, s20, v7
	v_add_co_ci_u32_e64 v10, null, s21, v8, vcc_lo
	global_load_dword v4, v[9:10], off
	s_waitcnt vmcnt(0)
	v_subrev_nc_u32_e32 v4, s43, v4
	v_cmpx_ne_u32_e64 v4, v6
	s_cbranch_execz .LBB6_38
; %bb.40:                               ;   in Loop: Header=BB6_39 Depth=4
	v_add_nc_u32_e32 v0, 1, v0
	s_andn2_b32 s50, s50, exec_lo
	s_andn2_b32 s49, s49, exec_lo
	v_cmp_ge_i32_e32 vcc_lo, v0, v23
	s_and_b32 s52, vcc_lo, exec_lo
	s_or_b32 s50, s50, s52
	s_branch .LBB6_38
.LBB6_41:                               ;   in Loop: Header=BB6_9 Depth=3
	s_inst_prefetch 0x2
	s_or_b32 exec_lo, exec_lo, s3
	s_and_saveexec_b32 s3, s48
	s_xor_b32 s3, exec_lo, s3
	s_cbranch_execz .LBB6_8
; %bb.42:                               ;   in Loop: Header=BB6_9 Depth=3
	v_add_co_u32 v6, vcc_lo, s40, v7
	v_add_co_ci_u32_e64 v7, null, s41, v8, vcc_lo
	global_store_dword v[6:7], v12, off
	s_branch .LBB6_8
.LBB6_43:                               ;   in Loop: Header=BB6_3 Depth=1
	s_and_saveexec_b32 s3, s0
	s_cbranch_execz .LBB6_2
; %bb.44:                               ;   in Loop: Header=BB6_3 Depth=1
	v_mov_b32_e32 v2, v18
	s_mov_b32 s5, 0
	s_branch .LBB6_46
.LBB6_45:                               ;   in Loop: Header=BB6_46 Depth=2
	s_or_b32 exec_lo, exec_lo, s45
	v_add_nc_u32_e32 v2, 16, v2
	v_cmp_le_u32_e32 vcc_lo, s4, v2
	s_or_b32 s5, vcc_lo, s5
	s_andn2_b32 exec_lo, exec_lo, s5
	s_cbranch_execz .LBB6_2
.LBB6_46:                               ;   Parent Loop BB6_3 Depth=1
                                        ; =>  This Loop Header: Depth=2
                                        ;       Child Loop BB6_49 Depth 3
                                        ;       Child Loop BB6_52 Depth 3
	s_mov_b32 s45, exec_lo
	v_cmpx_gt_i32_e64 s35, v2
	s_cbranch_execz .LBB6_45
; %bb.47:                               ;   in Loop: Header=BB6_46 Depth=2
	v_ashrrev_i32_e32 v3, 31, v2
	s_mov_b32 s46, exec_lo
	v_lshlrev_b64 v[3:4], 2, v[2:3]
	v_add_co_u32 v5, vcc_lo, s16, v3
	v_add_co_ci_u32_e64 v6, null, s17, v4, vcc_lo
	v_add_co_u32 v7, vcc_lo, s18, v3
	v_add_co_ci_u32_e64 v8, null, s19, v4, vcc_lo
	global_load_dword v0, v[5:6], off
	global_load_dword v6, v[7:8], off
	s_waitcnt vmcnt(1)
	v_add_nc_u32_e32 v5, v20, v0
	s_waitcnt vmcnt(0)
	v_subrev_nc_u32_e32 v0, s43, v6
	v_cmpx_lt_i32_e64 v5, v0
	s_cbranch_execz .LBB6_50
; %bb.48:                               ;   in Loop: Header=BB6_46 Depth=2
	v_ashrrev_i32_e32 v6, 31, v5
	s_mov_b32 s47, 0
	v_lshlrev_b64 v[8:9], 2, v[5:6]
	v_add_co_u32 v6, vcc_lo, s40, v8
	v_add_co_ci_u32_e64 v7, null, s41, v9, vcc_lo
	v_add_co_u32 v8, vcc_lo, s22, v8
	v_add_co_ci_u32_e64 v9, null, s23, v9, vcc_lo
	.p2align	6
.LBB6_49:                               ;   Parent Loop BB6_3 Depth=1
                                        ;     Parent Loop BB6_46 Depth=2
                                        ; =>    This Inner Loop Header: Depth=3
	global_load_dword v10, v[6:7], off
	v_add_nc_u32_e32 v5, 64, v5
	v_add_co_u32 v6, vcc_lo, 0x100, v6
	v_add_co_ci_u32_e64 v7, null, 0, v7, vcc_lo
	v_cmp_ge_i32_e32 vcc_lo, v5, v0
	s_or_b32 s47, vcc_lo, s47
	s_waitcnt vmcnt(0)
	global_store_dword v[8:9], v10, off
	v_add_co_u32 v8, s2, 0x100, v8
	v_add_co_ci_u32_e64 v9, null, 0, v9, s2
	s_andn2_b32 exec_lo, exec_lo, s47
	s_cbranch_execnz .LBB6_49
.LBB6_50:                               ;   in Loop: Header=BB6_46 Depth=2
	s_or_b32 exec_lo, exec_lo, s46
	v_add_co_u32 v5, vcc_lo, s8, v3
	v_add_co_ci_u32_e64 v6, null, s9, v4, vcc_lo
	v_add_co_u32 v7, vcc_lo, s10, v3
	v_add_co_ci_u32_e64 v8, null, s11, v4, vcc_lo
	global_load_dword v0, v[5:6], off
	global_load_dword v6, v[7:8], off
	s_mov_b32 s46, exec_lo
	s_waitcnt vmcnt(1)
	v_add_nc_u32_e32 v5, v21, v0
	s_waitcnt vmcnt(0)
	v_subrev_nc_u32_e32 v0, s44, v6
	v_cmpx_lt_i32_e64 v5, v0
	s_cbranch_execz .LBB6_53
; %bb.51:                               ;   in Loop: Header=BB6_46 Depth=2
	v_ashrrev_i32_e32 v6, 31, v5
	s_mov_b32 s47, 0
	v_lshlrev_b64 v[8:9], 2, v[5:6]
	v_add_co_u32 v6, vcc_lo, s6, v8
	v_add_co_ci_u32_e64 v7, null, s7, v9, vcc_lo
	v_add_co_u32 v8, vcc_lo, s14, v8
	v_add_co_ci_u32_e64 v9, null, s15, v9, vcc_lo
	.p2align	6
.LBB6_52:                               ;   Parent Loop BB6_3 Depth=1
                                        ;     Parent Loop BB6_46 Depth=2
                                        ; =>    This Inner Loop Header: Depth=3
	global_load_dword v10, v[6:7], off
	v_add_nc_u32_e32 v5, 64, v5
	v_add_co_u32 v6, vcc_lo, 0x100, v6
	v_add_co_ci_u32_e64 v7, null, 0, v7, vcc_lo
	v_cmp_ge_i32_e32 vcc_lo, v5, v0
	s_or_b32 s47, vcc_lo, s47
	s_waitcnt vmcnt(0)
	global_store_dword v[8:9], v10, off
	v_add_co_u32 v8, s2, 0x100, v8
	v_add_co_ci_u32_e64 v9, null, 0, v9, s2
	s_andn2_b32 exec_lo, exec_lo, s47
	s_cbranch_execnz .LBB6_52
.LBB6_53:                               ;   in Loop: Header=BB6_46 Depth=2
	s_or_b32 exec_lo, exec_lo, s46
	s_and_b32 exec_lo, exec_lo, s1
	s_cbranch_execz .LBB6_45
; %bb.54:                               ;   in Loop: Header=BB6_46 Depth=2
	v_add_co_u32 v5, vcc_lo, s38, v3
	v_add_co_ci_u32_e64 v6, null, s39, v4, vcc_lo
	v_add_co_u32 v3, vcc_lo, s36, v3
	v_add_co_ci_u32_e64 v4, null, s37, v4, vcc_lo
	global_load_dword v0, v[5:6], off
	s_waitcnt vmcnt(0)
	global_store_dword v[3:4], v0, off
	s_branch .LBB6_45
.LBB6_55:
	s_endpgm
	.section	.rodata,"a",@progbits
	.p2align	6, 0x0
	.amdhsa_kernel _ZN9rocsparseL14kernel_freerunILi1024ELi64EfiiEEvT3_S1_T2_PKS2_S4_PKS1_PKT1_21rocsparse_index_base_S4_S4_S6_PS7_SB_SA_S4_S4_S6_SB_SB_SA_SB_SB_
		.amdhsa_group_segment_fixed_size 0
		.amdhsa_private_segment_fixed_size 0
		.amdhsa_kernarg_size 168
		.amdhsa_user_sgpr_count 6
		.amdhsa_user_sgpr_private_segment_buffer 1
		.amdhsa_user_sgpr_dispatch_ptr 0
		.amdhsa_user_sgpr_queue_ptr 0
		.amdhsa_user_sgpr_kernarg_segment_ptr 1
		.amdhsa_user_sgpr_dispatch_id 0
		.amdhsa_user_sgpr_flat_scratch_init 0
		.amdhsa_user_sgpr_private_segment_size 0
		.amdhsa_wavefront_size32 1
		.amdhsa_uses_dynamic_stack 0
		.amdhsa_system_sgpr_private_segment_wavefront_offset 0
		.amdhsa_system_sgpr_workgroup_id_x 1
		.amdhsa_system_sgpr_workgroup_id_y 0
		.amdhsa_system_sgpr_workgroup_id_z 0
		.amdhsa_system_sgpr_workgroup_info 0
		.amdhsa_system_vgpr_workitem_id 0
		.amdhsa_next_free_vgpr 37
		.amdhsa_next_free_sgpr 56
		.amdhsa_reserve_vcc 1
		.amdhsa_reserve_flat_scratch 0
		.amdhsa_float_round_mode_32 0
		.amdhsa_float_round_mode_16_64 0
		.amdhsa_float_denorm_mode_32 3
		.amdhsa_float_denorm_mode_16_64 3
		.amdhsa_dx10_clamp 1
		.amdhsa_ieee_mode 1
		.amdhsa_fp16_overflow 0
		.amdhsa_workgroup_processor_mode 1
		.amdhsa_memory_ordered 1
		.amdhsa_forward_progress 1
		.amdhsa_shared_vgpr_count 0
		.amdhsa_exception_fp_ieee_invalid_op 0
		.amdhsa_exception_fp_denorm_src 0
		.amdhsa_exception_fp_ieee_div_zero 0
		.amdhsa_exception_fp_ieee_overflow 0
		.amdhsa_exception_fp_ieee_underflow 0
		.amdhsa_exception_fp_ieee_inexact 0
		.amdhsa_exception_int_div_zero 0
	.end_amdhsa_kernel
	.section	.text._ZN9rocsparseL14kernel_freerunILi1024ELi64EfiiEEvT3_S1_T2_PKS2_S4_PKS1_PKT1_21rocsparse_index_base_S4_S4_S6_PS7_SB_SA_S4_S4_S6_SB_SB_SA_SB_SB_,"axG",@progbits,_ZN9rocsparseL14kernel_freerunILi1024ELi64EfiiEEvT3_S1_T2_PKS2_S4_PKS1_PKT1_21rocsparse_index_base_S4_S4_S6_PS7_SB_SA_S4_S4_S6_SB_SB_SA_SB_SB_,comdat
.Lfunc_end6:
	.size	_ZN9rocsparseL14kernel_freerunILi1024ELi64EfiiEEvT3_S1_T2_PKS2_S4_PKS1_PKT1_21rocsparse_index_base_S4_S4_S6_PS7_SB_SA_S4_S4_S6_SB_SB_SA_SB_SB_, .Lfunc_end6-_ZN9rocsparseL14kernel_freerunILi1024ELi64EfiiEEvT3_S1_T2_PKS2_S4_PKS1_PKT1_21rocsparse_index_base_S4_S4_S6_PS7_SB_SA_S4_S4_S6_SB_SB_SA_SB_SB_
                                        ; -- End function
	.set _ZN9rocsparseL14kernel_freerunILi1024ELi64EfiiEEvT3_S1_T2_PKS2_S4_PKS1_PKT1_21rocsparse_index_base_S4_S4_S6_PS7_SB_SA_S4_S4_S6_SB_SB_SA_SB_SB_.num_vgpr, 37
	.set _ZN9rocsparseL14kernel_freerunILi1024ELi64EfiiEEvT3_S1_T2_PKS2_S4_PKS1_PKT1_21rocsparse_index_base_S4_S4_S6_PS7_SB_SA_S4_S4_S6_SB_SB_SA_SB_SB_.num_agpr, 0
	.set _ZN9rocsparseL14kernel_freerunILi1024ELi64EfiiEEvT3_S1_T2_PKS2_S4_PKS1_PKT1_21rocsparse_index_base_S4_S4_S6_PS7_SB_SA_S4_S4_S6_SB_SB_SA_SB_SB_.numbered_sgpr, 56
	.set _ZN9rocsparseL14kernel_freerunILi1024ELi64EfiiEEvT3_S1_T2_PKS2_S4_PKS1_PKT1_21rocsparse_index_base_S4_S4_S6_PS7_SB_SA_S4_S4_S6_SB_SB_SA_SB_SB_.num_named_barrier, 0
	.set _ZN9rocsparseL14kernel_freerunILi1024ELi64EfiiEEvT3_S1_T2_PKS2_S4_PKS1_PKT1_21rocsparse_index_base_S4_S4_S6_PS7_SB_SA_S4_S4_S6_SB_SB_SA_SB_SB_.private_seg_size, 0
	.set _ZN9rocsparseL14kernel_freerunILi1024ELi64EfiiEEvT3_S1_T2_PKS2_S4_PKS1_PKT1_21rocsparse_index_base_S4_S4_S6_PS7_SB_SA_S4_S4_S6_SB_SB_SA_SB_SB_.uses_vcc, 1
	.set _ZN9rocsparseL14kernel_freerunILi1024ELi64EfiiEEvT3_S1_T2_PKS2_S4_PKS1_PKT1_21rocsparse_index_base_S4_S4_S6_PS7_SB_SA_S4_S4_S6_SB_SB_SA_SB_SB_.uses_flat_scratch, 0
	.set _ZN9rocsparseL14kernel_freerunILi1024ELi64EfiiEEvT3_S1_T2_PKS2_S4_PKS1_PKT1_21rocsparse_index_base_S4_S4_S6_PS7_SB_SA_S4_S4_S6_SB_SB_SA_SB_SB_.has_dyn_sized_stack, 0
	.set _ZN9rocsparseL14kernel_freerunILi1024ELi64EfiiEEvT3_S1_T2_PKS2_S4_PKS1_PKT1_21rocsparse_index_base_S4_S4_S6_PS7_SB_SA_S4_S4_S6_SB_SB_SA_SB_SB_.has_recursion, 0
	.set _ZN9rocsparseL14kernel_freerunILi1024ELi64EfiiEEvT3_S1_T2_PKS2_S4_PKS1_PKT1_21rocsparse_index_base_S4_S4_S6_PS7_SB_SA_S4_S4_S6_SB_SB_SA_SB_SB_.has_indirect_call, 0
	.section	.AMDGPU.csdata,"",@progbits
; Kernel info:
; codeLenInByte = 2328
; TotalNumSgprs: 58
; NumVgprs: 37
; ScratchSize: 0
; MemoryBound: 0
; FloatMode: 240
; IeeeMode: 1
; LDSByteSize: 0 bytes/workgroup (compile time only)
; SGPRBlocks: 0
; VGPRBlocks: 4
; NumSGPRsForWavesPerEU: 58
; NumVGPRsForWavesPerEU: 37
; Occupancy: 16
; WaveLimiterHint : 1
; COMPUTE_PGM_RSRC2:SCRATCH_EN: 0
; COMPUTE_PGM_RSRC2:USER_SGPR: 6
; COMPUTE_PGM_RSRC2:TRAP_HANDLER: 0
; COMPUTE_PGM_RSRC2:TGID_X_EN: 1
; COMPUTE_PGM_RSRC2:TGID_Y_EN: 0
; COMPUTE_PGM_RSRC2:TGID_Z_EN: 0
; COMPUTE_PGM_RSRC2:TIDIG_COMP_CNT: 0
	.section	.text._ZN9rocsparseL6kernelILi1024ELi1EfiiEEvbbbT3_PS1_NS_15floating_traitsIT1_E6data_tES1_T2_PKS7_S9_PKS1_PKS4_21rocsparse_index_base_S9_S9_SB_PS4_SF_SE_S9_S9_SB_SF_SF_SE_SF_SF_PS6_SG_PKS6_,"axG",@progbits,_ZN9rocsparseL6kernelILi1024ELi1EfiiEEvbbbT3_PS1_NS_15floating_traitsIT1_E6data_tES1_T2_PKS7_S9_PKS1_PKS4_21rocsparse_index_base_S9_S9_SB_PS4_SF_SE_S9_S9_SB_SF_SF_SE_SF_SF_PS6_SG_PKS6_,comdat
	.globl	_ZN9rocsparseL6kernelILi1024ELi1EfiiEEvbbbT3_PS1_NS_15floating_traitsIT1_E6data_tES1_T2_PKS7_S9_PKS1_PKS4_21rocsparse_index_base_S9_S9_SB_PS4_SF_SE_S9_S9_SB_SF_SF_SE_SF_SF_PS6_SG_PKS6_ ; -- Begin function _ZN9rocsparseL6kernelILi1024ELi1EfiiEEvbbbT3_PS1_NS_15floating_traitsIT1_E6data_tES1_T2_PKS7_S9_PKS1_PKS4_21rocsparse_index_base_S9_S9_SB_PS4_SF_SE_S9_S9_SB_SF_SF_SE_SF_SF_PS6_SG_PKS6_
	.p2align	8
	.type	_ZN9rocsparseL6kernelILi1024ELi1EfiiEEvbbbT3_PS1_NS_15floating_traitsIT1_E6data_tES1_T2_PKS7_S9_PKS1_PKS4_21rocsparse_index_base_S9_S9_SB_PS4_SF_SE_S9_S9_SB_SF_SF_SE_SF_SF_PS6_SG_PKS6_,@function
_ZN9rocsparseL6kernelILi1024ELi1EfiiEEvbbbT3_PS1_NS_15floating_traitsIT1_E6data_tES1_T2_PKS7_S9_PKS1_PKS4_21rocsparse_index_base_S9_S9_SB_PS4_SF_SE_S9_S9_SB_SF_SF_SE_SF_SF_PS6_SG_PKS6_: ; @_ZN9rocsparseL6kernelILi1024ELi1EfiiEEvbbbT3_PS1_NS_15floating_traitsIT1_E6data_tES1_T2_PKS7_S9_PKS1_PKS4_21rocsparse_index_base_S9_S9_SB_PS4_SF_SE_S9_S9_SB_SF_SF_SE_SF_SF_PS6_SG_PKS6_
; %bb.0:
	s_clause 0x3
	s_load_dword s0, s[4:5], 0x0
	s_load_dwordx2 s[34:35], s[4:5], 0x0
	s_load_dwordx2 s[48:49], s[4:5], 0x10
	s_load_dwordx4 s[44:47], s[4:5], 0xb8
	v_mov_b32_e32 v18, 0
	v_lshlrev_b32_e32 v19, 2, v0
	v_mov_b32_e32 v20, 0
	v_mov_b32_e32 v3, 0
	ds_write_b32 v19, v18
	s_waitcnt lgkmcnt(0)
	s_barrier
	buffer_gl0_inv
	s_bitcmp1_b32 s0, 0
	s_cselect_b32 s57, -1, 0
	s_bitcmp1_b32 s0, 8
	s_cselect_b32 s56, -1, 0
	s_bitcmp1_b32 s34, 16
	s_mov_b32 s34, 0
	s_cselect_b32 s33, -1, 0
	s_lshl_b32 s62, s6, 10
	s_cmp_gt_i32 s35, 0
	v_or_b32_e32 v1, s62, v0
	s_cselect_b32 s0, -1, 0
	v_cmp_gt_i32_e32 vcc_lo, s49, v1
	s_and_b32 s0, s0, vcc_lo
	s_and_saveexec_b32 s58, s0
	s_cbranch_execnz .LBB7_3
; %bb.1:
	s_or_b32 exec_lo, exec_lo, s58
	s_andn2_b32 vcc_lo, exec_lo, s57
	s_cbranch_vccz .LBB7_149
.LBB7_2:
	v_cmp_eq_u32_e32 vcc_lo, 0, v0
	s_and_b32 s0, vcc_lo, s56
	s_and_saveexec_b32 s1, s0
	s_cbranch_execnz .LBB7_173
	s_branch .LBB7_179
.LBB7_3:
	s_clause 0x1
	s_load_dwordx8 s[16:23], s[4:5], 0x48
	s_load_dwordx8 s[24:31], s[4:5], 0x20
	v_ashrrev_i32_e32 v2, 31, v1
	s_addk_i32 s62, 0x400
	v_cmp_gt_u32_e64 s0, 0x200, v0
	v_cmp_gt_u32_e64 s1, 0x100, v0
	;; [unrolled: 1-line block ×3, first 2 shown]
	v_lshlrev_b64 v[2:3], 2, v[1:2]
	v_cmp_gt_u32_e64 s3, 64, v0
	v_cmp_gt_u32_e64 s6, 32, v0
	;; [unrolled: 1-line block ×6, first 2 shown]
	v_cmp_eq_u32_e64 s11, 0, v0
	v_mov_b32_e32 v20, 0
	v_cmp_gt_u32_e64 s12, s62, v1
	v_mov_b32_e32 v18, 0
	s_and_b32 s15, s56, s33
	s_xor_b32 s63, s56, -1
	s_waitcnt lgkmcnt(0)
	v_add_co_u32 v4, vcc_lo, s16, v2
	v_add_co_ci_u32_e64 v5, null, s17, v3, vcc_lo
	v_add_co_u32 v6, vcc_lo, s18, v2
	v_add_co_ci_u32_e64 v7, null, s19, v3, vcc_lo
	global_load_dword v8, v[4:5], off
	v_add_co_u32 v4, vcc_lo, s26, v2
	v_add_co_ci_u32_e64 v5, null, s27, v3, vcc_lo
	v_add_co_u32 v2, vcc_lo, s24, v2
	v_add_co_ci_u32_e64 v3, null, s25, v3, vcc_lo
	global_load_dword v6, v[6:7], off
	global_load_dword v7, v[4:5], off
	;; [unrolled: 1-line block ×3, first 2 shown]
	s_clause 0x7
	s_load_dword s59, s[4:5], 0x70
	s_load_dwordx2 s[50:51], s[4:5], 0x68
	s_load_dwordx2 s[52:53], s[4:5], 0xc8
	s_load_dwordx4 s[24:27], s[4:5], 0xa8
	s_load_dwordx8 s[36:43], s[4:5], 0x78
	s_load_dword s60, s[4:5], 0x40
	s_load_dwordx2 s[54:55], s[4:5], 0x98
	s_load_dword s61, s[4:5], 0xa0
	v_mov_b32_e32 v4, 0
	s_xor_b32 s64, s15, -1
	s_mov_b32 s65, 0
	s_waitcnt vmcnt(3) lgkmcnt(0)
	v_subrev_nc_u32_e32 v2, s59, v8
	v_ashrrev_i32_e32 v3, 31, v2
	s_waitcnt vmcnt(2)
	v_sub_nc_u32_e32 v21, v6, v8
	s_waitcnt vmcnt(1)
	v_subrev_nc_u32_e32 v22, s60, v7
	v_lshlrev_b64 v[5:6], 2, v[2:3]
	s_waitcnt vmcnt(0)
	v_cmp_lt_i32_e64 s13, v9, v7
	v_subrev_nc_u32_e32 v23, s60, v9
	v_cmp_lt_i32_e64 s14, 0, v21
	v_add_co_u32 v24, vcc_lo, s20, v5
	v_add_co_ci_u32_e64 v25, null, s21, v6, vcc_lo
	v_add_co_u32 v26, vcc_lo, s22, v5
	v_add_co_ci_u32_e64 v27, null, s23, v6, vcc_lo
	s_branch .LBB7_5
.LBB7_4:                                ;   in Loop: Header=BB7_5 Depth=1
	s_or_b32 exec_lo, exec_lo, s15
	s_and_b32 s15, exec_lo, s66
	s_or_b32 s34, s15, s34
	s_andn2_b32 exec_lo, exec_lo, s34
	s_cbranch_execz .LBB7_148
.LBB7_5:                                ; =>This Loop Header: Depth=1
                                        ;     Child Loop BB7_12 Depth 2
                                        ;       Child Loop BB7_16 Depth 3
                                        ;       Child Loop BB7_37 Depth 3
	;; [unrolled: 1-line block ×5, first 2 shown]
                                        ;     Child Loop BB7_129 Depth 2
                                        ;       Child Loop BB7_132 Depth 3
                                        ;       Child Loop BB7_135 Depth 3
	v_cndmask_b32_e64 v20, v20, 0, s56
	v_cndmask_b32_e64 v18, v18, 0, s33
	s_and_saveexec_b32 s66, s13
	s_cbranch_execnz .LBB7_9
; %bb.6:                                ;   in Loop: Header=BB7_5 Depth=1
	s_or_b32 exec_lo, exec_lo, s66
	s_andn2_b32 vcc_lo, exec_lo, s56
	s_cbranch_vccz .LBB7_84
.LBB7_7:                                ;   in Loop: Header=BB7_5 Depth=1
	s_andn2_b32 vcc_lo, exec_lo, s33
	s_cbranch_vccz .LBB7_105
.LBB7_8:                                ;   in Loop: Header=BB7_5 Depth=1
	s_and_saveexec_b32 s66, s12
	s_cbranch_execnz .LBB7_126
	s_branch .LBB7_136
.LBB7_9:                                ;   in Loop: Header=BB7_5 Depth=1
	v_mov_b32_e32 v5, v23
	s_mov_b32 s67, 0
	s_branch .LBB7_12
.LBB7_10:                               ;   in Loop: Header=BB7_12 Depth=2
	s_or_b32 exec_lo, exec_lo, s68
.LBB7_11:                               ;   in Loop: Header=BB7_12 Depth=2
	s_or_b32 exec_lo, exec_lo, s15
	v_add_nc_u32_e32 v5, 1, v5
	v_cmp_ge_i32_e32 vcc_lo, v5, v22
	s_or_b32 s67, vcc_lo, s67
	s_andn2_b32 exec_lo, exec_lo, s67
	s_cbranch_execz .LBB7_83
.LBB7_12:                               ;   Parent Loop BB7_5 Depth=1
                                        ; =>  This Loop Header: Depth=2
                                        ;       Child Loop BB7_16 Depth 3
                                        ;       Child Loop BB7_37 Depth 3
	;; [unrolled: 1-line block ×5, first 2 shown]
	v_ashrrev_i32_e32 v6, 31, v5
	v_mov_b32_e32 v28, 0
	v_lshlrev_b64 v[12:13], 2, v[5:6]
	v_add_co_u32 v6, vcc_lo, s28, v12
	v_add_co_ci_u32_e64 v7, null, s29, v13, vcc_lo
	global_load_dword v3, v[6:7], off
	s_waitcnt vmcnt(0)
	v_subrev_nc_u32_e32 v8, s60, v3
	v_ashrrev_i32_e32 v9, 31, v8
	v_lshlrev_b64 v[6:7], 2, v[8:9]
	v_add_co_u32 v9, vcc_lo, s36, v6
	v_add_co_ci_u32_e64 v10, null, s37, v7, vcc_lo
	v_add_co_u32 v14, vcc_lo, s38, v6
	v_add_co_ci_u32_e64 v15, null, s39, v7, vcc_lo
	global_load_dword v3, v[9:10], off
	global_load_dword v11, v[14:15], off
	v_mov_b32_e32 v10, 0
	s_waitcnt vmcnt(1)
	v_subrev_nc_u32_e32 v9, s61, v3
	s_waitcnt vmcnt(0)
	v_sub_nc_u32_e32 v29, v11, v3
	v_mov_b32_e32 v3, v10
	s_and_saveexec_b32 s68, s14
	s_cbranch_execz .LBB7_20
; %bb.13:                               ;   in Loop: Header=BB7_12 Depth=2
	v_ashrrev_i32_e32 v10, 31, v9
	v_mov_b32_e32 v28, 0
	v_mov_b32_e32 v3, 0
	s_mov_b32 s69, 0
                                        ; implicit-def: $sgpr70
	v_lshlrev_b64 v[10:11], 2, v[9:10]
	v_add_co_u32 v30, vcc_lo, s40, v10
	v_add_co_ci_u32_e64 v31, null, s41, v11, vcc_lo
	v_add_co_u32 v32, vcc_lo, s42, v10
	v_add_co_ci_u32_e64 v33, null, s43, v11, vcc_lo
	v_mov_b32_e32 v10, 0
	s_branch .LBB7_16
.LBB7_14:                               ;   in Loop: Header=BB7_16 Depth=3
	s_or_b32 exec_lo, exec_lo, s15
	v_cmp_le_i32_e32 vcc_lo, v11, v34
	v_cmp_ge_i32_e64 s15, v11, v34
	v_add_co_ci_u32_e64 v3, null, 0, v3, vcc_lo
	v_add_co_ci_u32_e64 v10, null, 0, v10, s15
	s_andn2_b32 s15, s70, exec_lo
	v_cmp_ge_i32_e32 vcc_lo, v3, v21
	s_and_b32 s70, vcc_lo, exec_lo
	s_or_b32 s70, s15, s70
.LBB7_15:                               ;   in Loop: Header=BB7_16 Depth=3
	s_or_b32 exec_lo, exec_lo, s71
	s_and_b32 s15, exec_lo, s70
	s_or_b32 s69, s15, s69
	s_andn2_b32 exec_lo, exec_lo, s69
	s_cbranch_execz .LBB7_19
.LBB7_16:                               ;   Parent Loop BB7_5 Depth=1
                                        ;     Parent Loop BB7_12 Depth=2
                                        ; =>    This Inner Loop Header: Depth=3
	s_or_b32 s70, s70, exec_lo
	s_mov_b32 s71, exec_lo
	v_cmpx_lt_i32_e64 v10, v29
	s_cbranch_execz .LBB7_15
; %bb.17:                               ;   in Loop: Header=BB7_16 Depth=3
	v_mov_b32_e32 v11, v4
	v_lshlrev_b64 v[16:17], 2, v[3:4]
	s_mov_b32 s15, exec_lo
	v_lshlrev_b64 v[14:15], 2, v[10:11]
	v_add_co_u32 v34, vcc_lo, v24, v16
	v_add_co_ci_u32_e64 v35, null, v25, v17, vcc_lo
	v_add_co_u32 v36, vcc_lo, v30, v14
	v_add_co_ci_u32_e64 v37, null, v31, v15, vcc_lo
	global_load_dword v11, v[34:35], off
	global_load_dword v34, v[36:37], off
	s_waitcnt vmcnt(1)
	v_subrev_nc_u32_e32 v11, s59, v11
	s_waitcnt vmcnt(0)
	v_subrev_nc_u32_e32 v34, s61, v34
	v_cmpx_eq_u32_e64 v11, v34
	s_cbranch_execz .LBB7_14
; %bb.18:                               ;   in Loop: Header=BB7_16 Depth=3
	v_add_co_u32 v16, vcc_lo, v26, v16
	v_add_co_ci_u32_e64 v17, null, v27, v17, vcc_lo
	v_add_co_u32 v14, vcc_lo, v32, v14
	v_add_co_ci_u32_e64 v15, null, v33, v15, vcc_lo
	global_load_dword v16, v[16:17], off
	global_load_dword v14, v[14:15], off
	s_waitcnt vmcnt(0)
	v_fmac_f32_e32 v28, v16, v14
	s_branch .LBB7_14
.LBB7_19:                               ;   in Loop: Header=BB7_12 Depth=2
	s_or_b32 exec_lo, exec_lo, s69
.LBB7_20:                               ;   in Loop: Header=BB7_12 Depth=2
	s_or_b32 exec_lo, exec_lo, s68
	v_add_co_u32 v11, vcc_lo, s30, v12
	v_add_co_ci_u32_e64 v12, null, s31, v13, vcc_lo
	v_cmp_le_i32_e64 s15, v1, v8
	s_mov_b32 s68, exec_lo
	global_load_dword v13, v[11:12], off
	s_waitcnt vmcnt(0)
	v_sub_f32_e32 v14, v13, v28
	v_cmpx_gt_i32_e64 v1, v8
	s_cbranch_execnz .LBB7_23
; %bb.21:                               ;   in Loop: Header=BB7_12 Depth=2
	s_or_b32 exec_lo, exec_lo, s68
	v_cmp_class_f32_e64 s68, v14, 0x1f8
	s_and_saveexec_b32 s69, s68
	s_cbranch_execnz .LBB7_26
.LBB7_22:                               ;   in Loop: Header=BB7_12 Depth=2
	s_or_b32 exec_lo, exec_lo, s69
	s_and_b32 s68, s33, s68
	s_and_saveexec_b32 s15, s68
	s_cbranch_execz .LBB7_11
	s_branch .LBB7_61
.LBB7_23:                               ;   in Loop: Header=BB7_12 Depth=2
	v_add_co_u32 v11, vcc_lo, s24, v6
	v_add_co_ci_u32_e64 v12, null, s25, v7, vcc_lo
	s_mov_b32 s69, exec_lo
	global_load_dword v11, v[11:12], off
	v_mov_b32_e32 v12, 0
	s_waitcnt vmcnt(0)
	v_cmpx_lg_f32_e32 0, v11
	s_cbranch_execz .LBB7_25
; %bb.24:                               ;   in Loop: Header=BB7_12 Depth=2
	v_div_scale_f32 v12, null, v11, v11, v14
	v_rcp_f32_e32 v15, v12
	v_fma_f32 v16, -v12, v15, 1.0
	v_fmac_f32_e32 v15, v16, v15
	v_div_scale_f32 v16, vcc_lo, v14, v11, v14
	v_mul_f32_e32 v17, v16, v15
	v_fma_f32 v30, -v12, v17, v16
	v_fmac_f32_e32 v17, v30, v15
	v_fma_f32 v12, -v12, v17, v16
	v_div_fmas_f32 v12, v12, v15, v17
	v_div_fixup_f32 v12, v12, v11, v14
.LBB7_25:                               ;   in Loop: Header=BB7_12 Depth=2
	s_or_b32 exec_lo, exec_lo, s69
	v_mov_b32_e32 v14, v12
	s_or_b32 exec_lo, exec_lo, s68
	v_cmp_class_f32_e64 s68, v14, 0x1f8
	s_and_saveexec_b32 s69, s68
	s_cbranch_execz .LBB7_22
.LBB7_26:                               ;   in Loop: Header=BB7_12 Depth=2
	s_and_saveexec_b32 s70, s15
	s_xor_b32 s15, exec_lo, s70
	s_cbranch_execz .LBB7_47
; %bb.27:                               ;   in Loop: Header=BB7_12 Depth=2
	s_mov_b32 s70, exec_lo
	v_cmpx_ge_i32_e64 v1, v8
	s_xor_b32 s70, exec_lo, s70
	s_cbranch_execz .LBB7_33
; %bb.28:                               ;   in Loop: Header=BB7_12 Depth=2
	v_add_co_u32 v11, vcc_lo, s26, v6
	v_add_co_ci_u32_e64 v12, null, s27, v7, vcc_lo
	s_andn2_b32 vcc_lo, exec_lo, s56
	global_store_dword v[11:12], v14, off
	s_cbranch_vccnz .LBB7_32
; %bb.29:                               ;   in Loop: Header=BB7_12 Depth=2
	v_add_co_u32 v11, vcc_lo, s24, v6
	v_add_co_ci_u32_e64 v12, null, s25, v7, vcc_lo
	global_load_dword v11, v[11:12], off
	s_waitcnt vmcnt(0)
	v_sub_f32_e32 v11, v11, v14
	v_cmp_class_f32_e64 s72, v11, 0x1f8
	s_and_saveexec_b32 s71, s72
; %bb.30:                               ;   in Loop: Header=BB7_12 Depth=2
	v_cmp_lt_f32_e64 s72, v20, |v11|
	v_cndmask_b32_e64 v20, v20, |v11|, s72
; %bb.31:                               ;   in Loop: Header=BB7_12 Depth=2
	s_or_b32 exec_lo, exec_lo, s71
.LBB7_32:                               ;   in Loop: Header=BB7_12 Depth=2
                                        ; implicit-def: $vgpr14
.LBB7_33:                               ;   in Loop: Header=BB7_12 Depth=2
	s_andn2_saveexec_b32 s70, s70
	s_cbranch_execz .LBB7_46
; %bb.34:                               ;   in Loop: Header=BB7_12 Depth=2
	s_mov_b32 s71, exec_lo
	v_cmpx_lt_i32_e64 v10, v29
	s_cbranch_execz .LBB7_45
; %bb.35:                               ;   in Loop: Header=BB7_12 Depth=2
	v_mov_b32_e32 v15, v10
	s_mov_b32 s72, 0
                                        ; implicit-def: $sgpr73
                                        ; implicit-def: $sgpr75
                                        ; implicit-def: $sgpr74
	s_inst_prefetch 0x1
	s_branch .LBB7_37
	.p2align	6
.LBB7_36:                               ;   in Loop: Header=BB7_37 Depth=3
	s_or_b32 exec_lo, exec_lo, s76
	s_and_b32 s76, exec_lo, s75
	s_or_b32 s72, s76, s72
	s_andn2_b32 s73, s73, exec_lo
	s_and_b32 s76, s74, exec_lo
	s_or_b32 s73, s73, s76
	s_andn2_b32 exec_lo, exec_lo, s72
	s_cbranch_execz .LBB7_39
.LBB7_37:                               ;   Parent Loop BB7_5 Depth=1
                                        ;     Parent Loop BB7_12 Depth=2
                                        ; =>    This Inner Loop Header: Depth=3
	v_add_nc_u32_e32 v11, v9, v15
	s_or_b32 s74, s74, exec_lo
	s_or_b32 s75, s75, exec_lo
	s_mov_b32 s76, exec_lo
	v_ashrrev_i32_e32 v12, 31, v11
	v_lshlrev_b64 v[11:12], 2, v[11:12]
	v_add_co_u32 v16, vcc_lo, s40, v11
	v_add_co_ci_u32_e64 v17, null, s41, v12, vcc_lo
	global_load_dword v16, v[16:17], off
	s_waitcnt vmcnt(0)
	v_subrev_nc_u32_e32 v16, s61, v16
	v_cmpx_ne_u32_e64 v16, v1
	s_cbranch_execz .LBB7_36
; %bb.38:                               ;   in Loop: Header=BB7_37 Depth=3
	v_add_nc_u32_e32 v15, 1, v15
	s_andn2_b32 s75, s75, exec_lo
	s_andn2_b32 s74, s74, exec_lo
	v_cmp_ge_i32_e32 vcc_lo, v15, v29
	s_and_b32 s77, vcc_lo, exec_lo
	s_or_b32 s75, s75, s77
	s_branch .LBB7_36
.LBB7_39:                               ;   in Loop: Header=BB7_12 Depth=2
	s_inst_prefetch 0x2
	s_or_b32 exec_lo, exec_lo, s72
	s_and_saveexec_b32 s72, s73
	s_xor_b32 s72, exec_lo, s72
	s_cbranch_execz .LBB7_44
; %bb.40:                               ;   in Loop: Header=BB7_12 Depth=2
	v_add_co_u32 v15, vcc_lo, s54, v11
	v_add_co_ci_u32_e64 v16, null, s55, v12, vcc_lo
	s_andn2_b32 vcc_lo, exec_lo, s56
	global_store_dword v[15:16], v14, off
	s_cbranch_vccnz .LBB7_44
; %bb.41:                               ;   in Loop: Header=BB7_12 Depth=2
	v_add_co_u32 v11, vcc_lo, s42, v11
	v_add_co_ci_u32_e64 v12, null, s43, v12, vcc_lo
	global_load_dword v11, v[11:12], off
	s_waitcnt vmcnt(0)
	v_sub_f32_e32 v11, v11, v14
	v_cmp_class_f32_e64 s74, v11, 0x1f8
	s_and_saveexec_b32 s73, s74
; %bb.42:                               ;   in Loop: Header=BB7_12 Depth=2
	v_cmp_lt_f32_e64 s74, v20, |v11|
	v_cndmask_b32_e64 v20, v20, |v11|, s74
; %bb.43:                               ;   in Loop: Header=BB7_12 Depth=2
	s_or_b32 exec_lo, exec_lo, s73
.LBB7_44:                               ;   in Loop: Header=BB7_12 Depth=2
	s_or_b32 exec_lo, exec_lo, s72
.LBB7_45:                               ;   in Loop: Header=BB7_12 Depth=2
	s_or_b32 exec_lo, exec_lo, s71
.LBB7_46:                               ;   in Loop: Header=BB7_12 Depth=2
	s_or_b32 exec_lo, exec_lo, s70
                                        ; implicit-def: $vgpr14
.LBB7_47:                               ;   in Loop: Header=BB7_12 Depth=2
	s_andn2_saveexec_b32 s15, s15
	s_cbranch_execz .LBB7_60
; %bb.48:                               ;   in Loop: Header=BB7_12 Depth=2
	s_mov_b32 s70, exec_lo
	v_cmpx_lt_i32_e64 v3, v21
	s_cbranch_execz .LBB7_59
; %bb.49:                               ;   in Loop: Header=BB7_12 Depth=2
	v_mov_b32_e32 v15, v3
	s_mov_b32 s71, 0
                                        ; implicit-def: $sgpr72
                                        ; implicit-def: $sgpr74
                                        ; implicit-def: $sgpr73
	s_inst_prefetch 0x1
	s_branch .LBB7_51
	.p2align	6
.LBB7_50:                               ;   in Loop: Header=BB7_51 Depth=3
	s_or_b32 exec_lo, exec_lo, s75
	s_and_b32 s75, exec_lo, s74
	s_or_b32 s71, s75, s71
	s_andn2_b32 s72, s72, exec_lo
	s_and_b32 s75, s73, exec_lo
	s_or_b32 s72, s72, s75
	s_andn2_b32 exec_lo, exec_lo, s71
	s_cbranch_execz .LBB7_53
.LBB7_51:                               ;   Parent Loop BB7_5 Depth=1
                                        ;     Parent Loop BB7_12 Depth=2
                                        ; =>    This Inner Loop Header: Depth=3
	v_add_nc_u32_e32 v11, v2, v15
	s_or_b32 s73, s73, exec_lo
	s_or_b32 s74, s74, exec_lo
	s_mov_b32 s75, exec_lo
	v_ashrrev_i32_e32 v12, 31, v11
	v_lshlrev_b64 v[11:12], 2, v[11:12]
	v_add_co_u32 v16, vcc_lo, s20, v11
	v_add_co_ci_u32_e64 v17, null, s21, v12, vcc_lo
	global_load_dword v16, v[16:17], off
	s_waitcnt vmcnt(0)
	v_subrev_nc_u32_e32 v16, s59, v16
	v_cmpx_ne_u32_e64 v16, v8
	s_cbranch_execz .LBB7_50
; %bb.52:                               ;   in Loop: Header=BB7_51 Depth=3
	v_add_nc_u32_e32 v15, 1, v15
	s_andn2_b32 s74, s74, exec_lo
	s_andn2_b32 s73, s73, exec_lo
	v_cmp_ge_i32_e32 vcc_lo, v15, v21
	s_and_b32 s76, vcc_lo, exec_lo
	s_or_b32 s74, s74, s76
	s_branch .LBB7_50
.LBB7_53:                               ;   in Loop: Header=BB7_12 Depth=2
	s_inst_prefetch 0x2
	s_or_b32 exec_lo, exec_lo, s71
	s_and_saveexec_b32 s71, s72
	s_xor_b32 s71, exec_lo, s71
	s_cbranch_execz .LBB7_58
; %bb.54:                               ;   in Loop: Header=BB7_12 Depth=2
	v_add_co_u32 v15, vcc_lo, s50, v11
	v_add_co_ci_u32_e64 v16, null, s51, v12, vcc_lo
	s_andn2_b32 vcc_lo, exec_lo, s56
	global_store_dword v[15:16], v14, off
	s_cbranch_vccnz .LBB7_58
; %bb.55:                               ;   in Loop: Header=BB7_12 Depth=2
	v_add_co_u32 v11, vcc_lo, s22, v11
	v_add_co_ci_u32_e64 v12, null, s23, v12, vcc_lo
	global_load_dword v11, v[11:12], off
	s_waitcnt vmcnt(0)
	v_sub_f32_e32 v11, v11, v14
	v_cmp_class_f32_e64 s73, v11, 0x1f8
	s_and_saveexec_b32 s72, s73
; %bb.56:                               ;   in Loop: Header=BB7_12 Depth=2
	v_cmp_lt_f32_e64 s73, v20, |v11|
	v_cndmask_b32_e64 v20, v20, |v11|, s73
; %bb.57:                               ;   in Loop: Header=BB7_12 Depth=2
	s_or_b32 exec_lo, exec_lo, s72
.LBB7_58:                               ;   in Loop: Header=BB7_12 Depth=2
	s_or_b32 exec_lo, exec_lo, s71
.LBB7_59:                               ;   in Loop: Header=BB7_12 Depth=2
	s_or_b32 exec_lo, exec_lo, s70
.LBB7_60:                               ;   in Loop: Header=BB7_12 Depth=2
	s_or_b32 exec_lo, exec_lo, s15
	s_or_b32 exec_lo, exec_lo, s69
	s_and_b32 s68, s33, s68
	s_and_saveexec_b32 s15, s68
	s_cbranch_execz .LBB7_11
.LBB7_61:                               ;   in Loop: Header=BB7_12 Depth=2
	s_mov_b32 s68, exec_lo
	v_cmpx_ge_i32_e64 v10, v29
	s_xor_b32 s68, exec_lo, s68
	s_cbranch_execnz .LBB7_67
; %bb.62:                               ;   in Loop: Header=BB7_12 Depth=2
	s_andn2_saveexec_b32 s68, s68
	s_cbranch_execnz .LBB7_76
.LBB7_63:                               ;   in Loop: Header=BB7_12 Depth=2
	s_or_b32 exec_lo, exec_lo, s68
	s_mov_b32 s68, exec_lo
	v_cmpx_eq_u32_e64 v1, v8
	s_cbranch_execz .LBB7_65
.LBB7_64:                               ;   in Loop: Header=BB7_12 Depth=2
	v_add_co_u32 v6, vcc_lo, s24, v6
	v_add_co_ci_u32_e64 v7, null, s25, v7, vcc_lo
	global_load_dword v3, v[6:7], off
	s_waitcnt vmcnt(0)
	v_add_f32_e32 v28, v28, v3
.LBB7_65:                               ;   in Loop: Header=BB7_12 Depth=2
	s_or_b32 exec_lo, exec_lo, s68
	v_sub_f32_e32 v3, v13, v28
	v_cmp_class_f32_e64 s69, v3, 0x1f8
	s_and_saveexec_b32 s68, s69
	s_cbranch_execz .LBB7_10
; %bb.66:                               ;   in Loop: Header=BB7_12 Depth=2
	v_cmp_lt_f32_e64 s69, v18, |v3|
	v_cndmask_b32_e64 v18, v18, |v3|, s69
	s_branch .LBB7_10
.LBB7_67:                               ;   in Loop: Header=BB7_12 Depth=2
	s_mov_b32 s69, exec_lo
	v_cmpx_lt_i32_e64 v3, v21
	s_cbranch_execz .LBB7_75
; %bb.68:                               ;   in Loop: Header=BB7_12 Depth=2
	s_mov_b32 s70, 0
                                        ; implicit-def: $sgpr71
                                        ; implicit-def: $sgpr73
                                        ; implicit-def: $sgpr72
	s_inst_prefetch 0x1
	s_branch .LBB7_70
	.p2align	6
.LBB7_69:                               ;   in Loop: Header=BB7_70 Depth=3
	s_or_b32 exec_lo, exec_lo, s74
	s_and_b32 s74, exec_lo, s73
	s_or_b32 s70, s74, s70
	s_andn2_b32 s71, s71, exec_lo
	s_and_b32 s74, s72, exec_lo
	s_or_b32 s71, s71, s74
	s_andn2_b32 exec_lo, exec_lo, s70
	s_cbranch_execz .LBB7_72
.LBB7_70:                               ;   Parent Loop BB7_5 Depth=1
                                        ;     Parent Loop BB7_12 Depth=2
                                        ; =>    This Inner Loop Header: Depth=3
	v_add_nc_u32_e32 v9, v2, v3
	s_or_b32 s72, s72, exec_lo
	s_or_b32 s73, s73, exec_lo
	s_mov_b32 s74, exec_lo
	v_ashrrev_i32_e32 v10, 31, v9
	v_lshlrev_b64 v[9:10], 2, v[9:10]
	v_add_co_u32 v11, vcc_lo, s20, v9
	v_add_co_ci_u32_e64 v12, null, s21, v10, vcc_lo
	global_load_dword v11, v[11:12], off
	s_waitcnt vmcnt(0)
	v_subrev_nc_u32_e32 v11, s59, v11
	v_cmpx_ne_u32_e64 v11, v8
	s_cbranch_execz .LBB7_69
; %bb.71:                               ;   in Loop: Header=BB7_70 Depth=3
	v_add_nc_u32_e32 v3, 1, v3
	s_andn2_b32 s73, s73, exec_lo
	s_andn2_b32 s72, s72, exec_lo
	v_cmp_ge_i32_e32 vcc_lo, v3, v21
	s_and_b32 s75, vcc_lo, exec_lo
	s_or_b32 s73, s73, s75
	s_branch .LBB7_69
.LBB7_72:                               ;   in Loop: Header=BB7_12 Depth=2
	s_inst_prefetch 0x2
	s_or_b32 exec_lo, exec_lo, s70
	s_and_saveexec_b32 s70, s71
	s_xor_b32 s70, exec_lo, s70
	s_cbranch_execz .LBB7_74
; %bb.73:                               ;   in Loop: Header=BB7_12 Depth=2
	v_add_co_u32 v9, vcc_lo, s22, v9
	v_add_co_ci_u32_e64 v10, null, s23, v10, vcc_lo
	v_add_co_u32 v11, vcc_lo, s24, v6
	v_add_co_ci_u32_e64 v12, null, s25, v7, vcc_lo
	global_load_dword v3, v[9:10], off
	global_load_dword v9, v[11:12], off
	s_waitcnt vmcnt(0)
	v_fmac_f32_e32 v28, v3, v9
.LBB7_74:                               ;   in Loop: Header=BB7_12 Depth=2
	s_or_b32 exec_lo, exec_lo, s70
.LBB7_75:                               ;   in Loop: Header=BB7_12 Depth=2
	s_or_b32 exec_lo, exec_lo, s69
                                        ; implicit-def: $vgpr10
                                        ; implicit-def: $vgpr9
                                        ; implicit-def: $vgpr29
	s_andn2_saveexec_b32 s68, s68
	s_cbranch_execz .LBB7_63
.LBB7_76:                               ;   in Loop: Header=BB7_12 Depth=2
	s_mov_b32 s69, 0
                                        ; implicit-def: $sgpr70
                                        ; implicit-def: $sgpr72
                                        ; implicit-def: $sgpr71
	s_inst_prefetch 0x1
	s_branch .LBB7_78
	.p2align	6
.LBB7_77:                               ;   in Loop: Header=BB7_78 Depth=3
	s_or_b32 exec_lo, exec_lo, s73
	s_and_b32 s73, exec_lo, s72
	s_or_b32 s69, s73, s69
	s_andn2_b32 s70, s70, exec_lo
	s_and_b32 s73, s71, exec_lo
	s_or_b32 s70, s70, s73
	s_andn2_b32 exec_lo, exec_lo, s69
	s_cbranch_execz .LBB7_80
.LBB7_78:                               ;   Parent Loop BB7_5 Depth=1
                                        ;     Parent Loop BB7_12 Depth=2
                                        ; =>    This Inner Loop Header: Depth=3
	v_add_nc_u32_e32 v11, v9, v10
	s_or_b32 s71, s71, exec_lo
	s_or_b32 s72, s72, exec_lo
	s_mov_b32 s73, exec_lo
	v_ashrrev_i32_e32 v12, 31, v11
	v_lshlrev_b64 v[11:12], 2, v[11:12]
	v_add_co_u32 v14, vcc_lo, s40, v11
	v_add_co_ci_u32_e64 v15, null, s41, v12, vcc_lo
	global_load_dword v3, v[14:15], off
	s_waitcnt vmcnt(0)
	v_subrev_nc_u32_e32 v3, s61, v3
	v_cmpx_ne_u32_e64 v3, v1
	s_cbranch_execz .LBB7_77
; %bb.79:                               ;   in Loop: Header=BB7_78 Depth=3
	v_add_nc_u32_e32 v10, 1, v10
	s_andn2_b32 s72, s72, exec_lo
	s_andn2_b32 s71, s71, exec_lo
	v_cmp_ge_i32_e32 vcc_lo, v10, v29
	s_and_b32 s74, vcc_lo, exec_lo
	s_or_b32 s72, s72, s74
	s_branch .LBB7_77
.LBB7_80:                               ;   in Loop: Header=BB7_12 Depth=2
	s_inst_prefetch 0x2
	s_or_b32 exec_lo, exec_lo, s69
	s_and_saveexec_b32 s69, s70
	s_xor_b32 s69, exec_lo, s69
	s_cbranch_execz .LBB7_82
; %bb.81:                               ;   in Loop: Header=BB7_12 Depth=2
	v_add_co_u32 v9, vcc_lo, s42, v11
	v_add_co_ci_u32_e64 v10, null, s43, v12, vcc_lo
	global_load_dword v3, v[9:10], off
	s_waitcnt vmcnt(0)
	v_add_f32_e32 v28, v28, v3
.LBB7_82:                               ;   in Loop: Header=BB7_12 Depth=2
	s_or_b32 exec_lo, exec_lo, s69
	s_or_b32 exec_lo, exec_lo, s68
	s_mov_b32 s68, exec_lo
	v_cmpx_eq_u32_e64 v1, v8
	s_cbranch_execnz .LBB7_64
	s_branch .LBB7_65
.LBB7_83:                               ;   in Loop: Header=BB7_5 Depth=1
	s_or_b32 exec_lo, exec_lo, s67
	s_or_b32 exec_lo, exec_lo, s66
	s_andn2_b32 vcc_lo, exec_lo, s56
	s_cbranch_vccnz .LBB7_7
.LBB7_84:                               ;   in Loop: Header=BB7_5 Depth=1
	ds_write_b32 v19, v20
	s_waitcnt lgkmcnt(0)
	s_waitcnt_vscnt null, 0x0
	s_barrier
	buffer_gl0_inv
	s_and_saveexec_b32 s15, s0
	s_cbranch_execz .LBB7_86
; %bb.85:                               ;   in Loop: Header=BB7_5 Depth=1
	ds_read2st64_b32 v[5:6], v19 offset1:8
	s_waitcnt lgkmcnt(0)
	v_cmp_lt_f32_e32 vcc_lo, v5, v6
	v_cndmask_b32_e32 v3, v5, v6, vcc_lo
	ds_write_b32 v19, v3
.LBB7_86:                               ;   in Loop: Header=BB7_5 Depth=1
	s_or_b32 exec_lo, exec_lo, s15
	s_waitcnt lgkmcnt(0)
	s_barrier
	buffer_gl0_inv
	s_and_saveexec_b32 s15, s1
	s_cbranch_execz .LBB7_88
; %bb.87:                               ;   in Loop: Header=BB7_5 Depth=1
	ds_read2st64_b32 v[5:6], v19 offset1:4
	s_waitcnt lgkmcnt(0)
	v_cmp_lt_f32_e32 vcc_lo, v5, v6
	v_cndmask_b32_e32 v3, v5, v6, vcc_lo
	ds_write_b32 v19, v3
.LBB7_88:                               ;   in Loop: Header=BB7_5 Depth=1
	s_or_b32 exec_lo, exec_lo, s15
	s_waitcnt lgkmcnt(0)
	;; [unrolled: 13-line block ×4, first 2 shown]
	s_barrier
	buffer_gl0_inv
	s_and_saveexec_b32 s15, s6
	s_cbranch_execz .LBB7_94
; %bb.93:                               ;   in Loop: Header=BB7_5 Depth=1
	ds_read2_b32 v[5:6], v19 offset1:32
	s_waitcnt lgkmcnt(0)
	v_cmp_lt_f32_e32 vcc_lo, v5, v6
	v_cndmask_b32_e32 v3, v5, v6, vcc_lo
	ds_write_b32 v19, v3
.LBB7_94:                               ;   in Loop: Header=BB7_5 Depth=1
	s_or_b32 exec_lo, exec_lo, s15
	s_waitcnt lgkmcnt(0)
	s_barrier
	buffer_gl0_inv
	s_and_saveexec_b32 s15, s7
	s_cbranch_execz .LBB7_96
; %bb.95:                               ;   in Loop: Header=BB7_5 Depth=1
	ds_read2_b32 v[5:6], v19 offset1:16
	s_waitcnt lgkmcnt(0)
	v_cmp_lt_f32_e32 vcc_lo, v5, v6
	v_cndmask_b32_e32 v3, v5, v6, vcc_lo
	ds_write_b32 v19, v3
.LBB7_96:                               ;   in Loop: Header=BB7_5 Depth=1
	s_or_b32 exec_lo, exec_lo, s15
	s_waitcnt lgkmcnt(0)
	;; [unrolled: 13-line block ×3, first 2 shown]
	s_barrier
	buffer_gl0_inv
	s_and_saveexec_b32 s15, s9
	s_cbranch_execz .LBB7_100
; %bb.99:                               ;   in Loop: Header=BB7_5 Depth=1
	ds_read2_b32 v[5:6], v19 offset1:4
	s_waitcnt lgkmcnt(0)
	v_cmp_lt_f32_e32 vcc_lo, v5, v6
	v_cndmask_b32_e32 v3, v5, v6, vcc_lo
	ds_write_b32 v19, v3
.LBB7_100:                              ;   in Loop: Header=BB7_5 Depth=1
	s_or_b32 exec_lo, exec_lo, s15
	s_waitcnt lgkmcnt(0)
	s_barrier
	buffer_gl0_inv
	s_and_saveexec_b32 s15, s10
	s_cbranch_execz .LBB7_102
; %bb.101:                              ;   in Loop: Header=BB7_5 Depth=1
	ds_read2_b32 v[5:6], v19 offset1:2
	s_waitcnt lgkmcnt(0)
	v_cmp_lt_f32_e32 vcc_lo, v5, v6
	v_cndmask_b32_e32 v3, v5, v6, vcc_lo
	ds_write_b32 v19, v3
.LBB7_102:                              ;   in Loop: Header=BB7_5 Depth=1
	s_or_b32 exec_lo, exec_lo, s15
	s_waitcnt lgkmcnt(0)
	s_barrier
	buffer_gl0_inv
	s_and_saveexec_b32 s15, s11
	s_cbranch_execz .LBB7_104
; %bb.103:                              ;   in Loop: Header=BB7_5 Depth=1
	ds_read_b64 v[5:6], v4
	s_waitcnt lgkmcnt(0)
	v_cmp_lt_f32_e32 vcc_lo, v5, v6
	v_cndmask_b32_e32 v3, v5, v6, vcc_lo
	ds_write_b32 v4, v3
.LBB7_104:                              ;   in Loop: Header=BB7_5 Depth=1
	s_or_b32 exec_lo, exec_lo, s15
	s_waitcnt lgkmcnt(0)
	s_barrier
	buffer_gl0_inv
	ds_read_b32 v3, v4
	s_load_dword s15, s[52:53], 0x0
	s_waitcnt lgkmcnt(0)
	v_div_scale_f32 v5, null, s15, s15, v3
	v_rcp_f32_e32 v6, v5
	v_fma_f32 v7, -v5, v6, 1.0
	v_fmac_f32_e32 v6, v7, v6
	v_div_scale_f32 v7, vcc_lo, v3, s15, v3
	v_mul_f32_e32 v8, v7, v6
	v_fma_f32 v9, -v5, v8, v7
	v_fmac_f32_e32 v8, v9, v6
	v_fma_f32 v5, -v5, v8, v7
	v_div_fmas_f32 v5, v5, v6, v8
	v_div_fixup_f32 v20, v5, s15, v3
	s_andn2_b32 vcc_lo, exec_lo, s33
	s_cbranch_vccnz .LBB7_8
.LBB7_105:                              ;   in Loop: Header=BB7_5 Depth=1
	ds_write_b32 v19, v18
	s_waitcnt lgkmcnt(0)
	s_waitcnt_vscnt null, 0x0
	s_barrier
	buffer_gl0_inv
	s_and_saveexec_b32 s15, s0
	s_cbranch_execz .LBB7_107
; %bb.106:                              ;   in Loop: Header=BB7_5 Depth=1
	ds_read2st64_b32 v[5:6], v19 offset1:8
	s_waitcnt lgkmcnt(0)
	v_cmp_lt_f32_e32 vcc_lo, v5, v6
	v_cndmask_b32_e32 v3, v5, v6, vcc_lo
	ds_write_b32 v19, v3
.LBB7_107:                              ;   in Loop: Header=BB7_5 Depth=1
	s_or_b32 exec_lo, exec_lo, s15
	s_waitcnt lgkmcnt(0)
	s_barrier
	buffer_gl0_inv
	s_and_saveexec_b32 s15, s1
	s_cbranch_execz .LBB7_109
; %bb.108:                              ;   in Loop: Header=BB7_5 Depth=1
	ds_read2st64_b32 v[5:6], v19 offset1:4
	s_waitcnt lgkmcnt(0)
	v_cmp_lt_f32_e32 vcc_lo, v5, v6
	v_cndmask_b32_e32 v3, v5, v6, vcc_lo
	ds_write_b32 v19, v3
.LBB7_109:                              ;   in Loop: Header=BB7_5 Depth=1
	s_or_b32 exec_lo, exec_lo, s15
	s_waitcnt lgkmcnt(0)
	;; [unrolled: 13-line block ×4, first 2 shown]
	s_barrier
	buffer_gl0_inv
	s_and_saveexec_b32 s15, s6
	s_cbranch_execz .LBB7_115
; %bb.114:                              ;   in Loop: Header=BB7_5 Depth=1
	ds_read2_b32 v[5:6], v19 offset1:32
	s_waitcnt lgkmcnt(0)
	v_cmp_lt_f32_e32 vcc_lo, v5, v6
	v_cndmask_b32_e32 v3, v5, v6, vcc_lo
	ds_write_b32 v19, v3
.LBB7_115:                              ;   in Loop: Header=BB7_5 Depth=1
	s_or_b32 exec_lo, exec_lo, s15
	s_waitcnt lgkmcnt(0)
	s_barrier
	buffer_gl0_inv
	s_and_saveexec_b32 s15, s7
	s_cbranch_execz .LBB7_117
; %bb.116:                              ;   in Loop: Header=BB7_5 Depth=1
	ds_read2_b32 v[5:6], v19 offset1:16
	s_waitcnt lgkmcnt(0)
	v_cmp_lt_f32_e32 vcc_lo, v5, v6
	v_cndmask_b32_e32 v3, v5, v6, vcc_lo
	ds_write_b32 v19, v3
.LBB7_117:                              ;   in Loop: Header=BB7_5 Depth=1
	s_or_b32 exec_lo, exec_lo, s15
	s_waitcnt lgkmcnt(0)
	;; [unrolled: 13-line block ×5, first 2 shown]
	s_barrier
	buffer_gl0_inv
	s_and_saveexec_b32 s15, s11
	s_cbranch_execz .LBB7_125
; %bb.124:                              ;   in Loop: Header=BB7_5 Depth=1
	ds_read_b64 v[5:6], v4
	s_waitcnt lgkmcnt(0)
	v_cmp_lt_f32_e32 vcc_lo, v5, v6
	v_cndmask_b32_e32 v3, v5, v6, vcc_lo
	ds_write_b32 v4, v3
.LBB7_125:                              ;   in Loop: Header=BB7_5 Depth=1
	s_or_b32 exec_lo, exec_lo, s15
	s_waitcnt lgkmcnt(0)
	s_barrier
	buffer_gl0_inv
	ds_read_b32 v3, v4
	s_load_dword s15, s[52:53], 0x0
	s_waitcnt lgkmcnt(0)
	v_div_scale_f32 v5, null, s15, s15, v3
	v_rcp_f32_e32 v6, v5
	v_fma_f32 v7, -v5, v6, 1.0
	v_fmac_f32_e32 v6, v7, v6
	v_div_scale_f32 v7, vcc_lo, v3, s15, v3
	v_mul_f32_e32 v8, v7, v6
	v_fma_f32 v9, -v5, v8, v7
	v_fmac_f32_e32 v8, v9, v6
	v_fma_f32 v5, -v5, v8, v7
	v_div_fmas_f32 v5, v5, v6, v8
	v_div_fixup_f32 v18, v5, s15, v3
	s_and_saveexec_b32 s66, s12
	s_cbranch_execz .LBB7_136
.LBB7_126:                              ;   in Loop: Header=BB7_5 Depth=1
	v_mov_b32_e32 v5, v1
	s_mov_b32 s67, 0
	s_branch .LBB7_129
.LBB7_127:                              ;   in Loop: Header=BB7_129 Depth=2
	s_or_b32 exec_lo, exec_lo, s69
	v_add_co_u32 v8, vcc_lo, s26, v6
	v_add_co_ci_u32_e64 v9, null, s27, v7, vcc_lo
	v_add_co_u32 v6, vcc_lo, s24, v6
	v_add_co_ci_u32_e64 v7, null, s25, v7, vcc_lo
	global_load_dword v3, v[8:9], off
	s_waitcnt vmcnt(0)
	global_store_dword v[6:7], v3, off
.LBB7_128:                              ;   in Loop: Header=BB7_129 Depth=2
	s_or_b32 exec_lo, exec_lo, s68
	v_add_nc_u32_e32 v5, 0x400, v5
	v_cmp_le_u32_e32 vcc_lo, s62, v5
	s_or_b32 s67, vcc_lo, s67
	s_andn2_b32 exec_lo, exec_lo, s67
	s_cbranch_execz .LBB7_136
.LBB7_129:                              ;   Parent Loop BB7_5 Depth=1
                                        ; =>  This Loop Header: Depth=2
                                        ;       Child Loop BB7_132 Depth 3
                                        ;       Child Loop BB7_135 Depth 3
	s_mov_b32 s68, exec_lo
	v_cmpx_gt_i32_e64 s49, v5
	s_cbranch_execz .LBB7_128
; %bb.130:                              ;   in Loop: Header=BB7_129 Depth=2
	v_ashrrev_i32_e32 v6, 31, v5
	s_mov_b32 s69, exec_lo
	v_lshlrev_b64 v[6:7], 2, v[5:6]
	v_add_co_u32 v8, vcc_lo, s16, v6
	v_add_co_ci_u32_e64 v9, null, s17, v7, vcc_lo
	v_add_co_u32 v10, vcc_lo, s18, v6
	v_add_co_ci_u32_e64 v11, null, s19, v7, vcc_lo
	global_load_dword v8, v[8:9], off
	global_load_dword v3, v[10:11], off
	s_waitcnt vmcnt(0)
	v_cmpx_lt_i32_e64 v8, v3
	s_cbranch_execz .LBB7_133
; %bb.131:                              ;   in Loop: Header=BB7_129 Depth=2
	v_subrev_nc_u32_e32 v8, s59, v8
	v_subrev_nc_u32_e32 v3, s59, v3
	s_mov_b32 s70, 0
	v_ashrrev_i32_e32 v9, 31, v8
	v_lshlrev_b64 v[11:12], 2, v[8:9]
	v_add_co_u32 v9, vcc_lo, s50, v11
	v_add_co_ci_u32_e64 v10, null, s51, v12, vcc_lo
	v_add_co_u32 v11, vcc_lo, s22, v11
	v_add_co_ci_u32_e64 v12, null, s23, v12, vcc_lo
	.p2align	6
.LBB7_132:                              ;   Parent Loop BB7_5 Depth=1
                                        ;     Parent Loop BB7_129 Depth=2
                                        ; =>    This Inner Loop Header: Depth=3
	global_load_dword v13, v[9:10], off
	v_add_nc_u32_e32 v8, 1, v8
	v_add_co_u32 v9, vcc_lo, v9, 4
	v_add_co_ci_u32_e64 v10, null, 0, v10, vcc_lo
	v_cmp_ge_i32_e32 vcc_lo, v8, v3
	s_or_b32 s70, vcc_lo, s70
	s_waitcnt vmcnt(0)
	global_store_dword v[11:12], v13, off
	v_add_co_u32 v11, s15, v11, 4
	v_add_co_ci_u32_e64 v12, null, 0, v12, s15
	s_andn2_b32 exec_lo, exec_lo, s70
	s_cbranch_execnz .LBB7_132
.LBB7_133:                              ;   in Loop: Header=BB7_129 Depth=2
	s_or_b32 exec_lo, exec_lo, s69
	v_add_co_u32 v8, vcc_lo, s36, v6
	v_add_co_ci_u32_e64 v9, null, s37, v7, vcc_lo
	v_add_co_u32 v10, vcc_lo, s38, v6
	v_add_co_ci_u32_e64 v11, null, s39, v7, vcc_lo
	global_load_dword v8, v[8:9], off
	global_load_dword v3, v[10:11], off
	s_mov_b32 s69, exec_lo
	s_waitcnt vmcnt(0)
	v_cmpx_lt_i32_e64 v8, v3
	s_cbranch_execz .LBB7_127
; %bb.134:                              ;   in Loop: Header=BB7_129 Depth=2
	v_subrev_nc_u32_e32 v8, s61, v8
	v_subrev_nc_u32_e32 v3, s61, v3
	s_mov_b32 s70, 0
	v_ashrrev_i32_e32 v9, 31, v8
	v_lshlrev_b64 v[11:12], 2, v[8:9]
	v_add_co_u32 v9, vcc_lo, s54, v11
	v_add_co_ci_u32_e64 v10, null, s55, v12, vcc_lo
	v_add_co_u32 v11, vcc_lo, s42, v11
	v_add_co_ci_u32_e64 v12, null, s43, v12, vcc_lo
	.p2align	6
.LBB7_135:                              ;   Parent Loop BB7_5 Depth=1
                                        ;     Parent Loop BB7_129 Depth=2
                                        ; =>    This Inner Loop Header: Depth=3
	global_load_dword v13, v[9:10], off
	v_add_nc_u32_e32 v8, 1, v8
	v_add_co_u32 v9, vcc_lo, v9, 4
	v_add_co_ci_u32_e64 v10, null, 0, v10, vcc_lo
	v_cmp_ge_i32_e32 vcc_lo, v8, v3
	s_or_b32 s70, vcc_lo, s70
	s_waitcnt vmcnt(0)
	global_store_dword v[11:12], v13, off
	v_add_co_u32 v11, s15, v11, 4
	v_add_co_ci_u32_e64 v12, null, 0, v12, s15
	s_andn2_b32 exec_lo, exec_lo, s70
	s_cbranch_execnz .LBB7_135
	s_branch .LBB7_127
.LBB7_136:                              ;   in Loop: Header=BB7_5 Depth=1
	s_or_b32 exec_lo, exec_lo, s66
	s_mov_b32 s66, -1
	s_and_b32 vcc_lo, exec_lo, s57
	s_mov_b32 s67, -1
	s_cbranch_vccz .LBB7_146
; %bb.137:                              ;   in Loop: Header=BB7_5 Depth=1
	s_and_b32 vcc_lo, exec_lo, s64
	s_mov_b32 s15, -1
                                        ; implicit-def: $sgpr67
	s_cbranch_vccz .LBB7_143
; %bb.138:                              ;   in Loop: Header=BB7_5 Depth=1
	s_and_b32 vcc_lo, exec_lo, s63
                                        ; implicit-def: $sgpr67
	s_cbranch_vccz .LBB7_140
; %bb.139:                              ;   in Loop: Header=BB7_5 Depth=1
	v_cmp_ge_f32_e64 s67, s48, v18
	s_mov_b32 s15, 0
.LBB7_140:                              ;   in Loop: Header=BB7_5 Depth=1
	s_andn2_b32 vcc_lo, exec_lo, s15
	s_cbranch_vccnz .LBB7_142
; %bb.141:                              ;   in Loop: Header=BB7_5 Depth=1
	v_cmp_ge_f32_e32 vcc_lo, s48, v20
	s_andn2_b32 s15, s67, exec_lo
	s_and_b32 s67, vcc_lo, exec_lo
	s_or_b32 s67, s15, s67
.LBB7_142:                              ;   in Loop: Header=BB7_5 Depth=1
	s_mov_b32 s15, 0
.LBB7_143:                              ;   in Loop: Header=BB7_5 Depth=1
	s_andn2_b32 vcc_lo, exec_lo, s15
	s_cbranch_vccnz .LBB7_145
; %bb.144:                              ;   in Loop: Header=BB7_5 Depth=1
	v_cmp_ge_f32_e32 vcc_lo, s48, v20
	v_cmp_ge_f32_e64 s15, s48, v18
	s_andn2_b32 s67, s67, exec_lo
	s_and_b32 s15, vcc_lo, s15
	s_and_b32 s15, s15, exec_lo
	s_or_b32 s67, s67, s15
.LBB7_145:                              ;   in Loop: Header=BB7_5 Depth=1
	s_xor_b32 s67, s67, -1
.LBB7_146:                              ;   in Loop: Header=BB7_5 Depth=1
	v_mov_b32_e32 v3, s65
	s_and_saveexec_b32 s15, s67
	s_cbranch_execz .LBB7_4
; %bb.147:                              ;   in Loop: Header=BB7_5 Depth=1
	s_add_i32 s65, s65, 1
	v_mov_b32_e32 v3, s35
	s_cmp_eq_u32 s65, s35
	s_cselect_b32 s66, -1, 0
	s_orn2_b32 s66, s66, exec_lo
	s_branch .LBB7_4
.LBB7_148:
	s_or_b32 exec_lo, exec_lo, s34
	s_or_b32 exec_lo, exec_lo, s58
	s_andn2_b32 vcc_lo, exec_lo, s57
	s_cbranch_vccnz .LBB7_2
.LBB7_149:
	v_or_b32_e32 v1, 0x1000, v19
	s_mov_b32 s0, exec_lo
	ds_write_b32 v19, v3 offset:4096
	s_waitcnt lgkmcnt(0)
	s_waitcnt_vscnt null, 0x0
	s_barrier
	buffer_gl0_inv
	v_cmpx_gt_u32_e32 0x200, v0
	s_cbranch_execz .LBB7_151
; %bb.150:
	ds_read2st64_b32 v[2:3], v1 offset1:8
	s_waitcnt lgkmcnt(0)
	v_max_i32_e32 v2, v2, v3
	ds_write_b32 v1, v2
.LBB7_151:
	s_or_b32 exec_lo, exec_lo, s0
	s_mov_b32 s0, exec_lo
	s_waitcnt lgkmcnt(0)
	s_barrier
	buffer_gl0_inv
	v_cmpx_gt_u32_e32 0x100, v0
	s_cbranch_execz .LBB7_153
; %bb.152:
	ds_read2st64_b32 v[2:3], v1 offset1:4
	s_waitcnt lgkmcnt(0)
	v_max_i32_e32 v2, v2, v3
	ds_write_b32 v1, v2
.LBB7_153:
	s_or_b32 exec_lo, exec_lo, s0
	s_mov_b32 s0, exec_lo
	s_waitcnt lgkmcnt(0)
	s_barrier
	buffer_gl0_inv
	v_cmpx_gt_u32_e32 0x80, v0
	s_cbranch_execz .LBB7_155
; %bb.154:
	ds_read2st64_b32 v[2:3], v1 offset1:2
	s_waitcnt lgkmcnt(0)
	v_max_i32_e32 v2, v2, v3
	ds_write_b32 v1, v2
.LBB7_155:
	s_or_b32 exec_lo, exec_lo, s0
	s_mov_b32 s0, exec_lo
	s_waitcnt lgkmcnt(0)
	s_barrier
	buffer_gl0_inv
	v_cmpx_gt_u32_e32 64, v0
	s_cbranch_execz .LBB7_157
; %bb.156:
	ds_read2st64_b32 v[2:3], v1 offset1:1
	s_waitcnt lgkmcnt(0)
	v_max_i32_e32 v2, v2, v3
	ds_write_b32 v1, v2
.LBB7_157:
	s_or_b32 exec_lo, exec_lo, s0
	s_mov_b32 s0, exec_lo
	s_waitcnt lgkmcnt(0)
	s_barrier
	buffer_gl0_inv
	v_cmpx_gt_u32_e32 32, v0
	s_cbranch_execz .LBB7_159
; %bb.158:
	ds_read2_b32 v[2:3], v1 offset1:32
	s_waitcnt lgkmcnt(0)
	v_max_i32_e32 v2, v2, v3
	ds_write_b32 v1, v2
.LBB7_159:
	s_or_b32 exec_lo, exec_lo, s0
	s_mov_b32 s0, exec_lo
	s_waitcnt lgkmcnt(0)
	s_barrier
	buffer_gl0_inv
	v_cmpx_gt_u32_e32 16, v0
	s_cbranch_execz .LBB7_161
; %bb.160:
	ds_read2_b32 v[2:3], v1 offset1:16
	s_waitcnt lgkmcnt(0)
	v_max_i32_e32 v2, v2, v3
	ds_write_b32 v1, v2
.LBB7_161:
	s_or_b32 exec_lo, exec_lo, s0
	s_mov_b32 s0, exec_lo
	s_waitcnt lgkmcnt(0)
	;; [unrolled: 13-line block ×4, first 2 shown]
	s_barrier
	buffer_gl0_inv
	v_cmpx_gt_u32_e32 2, v0
	s_cbranch_execz .LBB7_167
; %bb.166:
	ds_read2_b32 v[2:3], v1 offset1:2
	s_waitcnt lgkmcnt(0)
	v_max_i32_e32 v2, v2, v3
	ds_write_b32 v1, v2
.LBB7_167:
	s_or_b32 exec_lo, exec_lo, s0
	v_cmp_eq_u32_e32 vcc_lo, 0, v0
	s_waitcnt lgkmcnt(0)
	s_barrier
	buffer_gl0_inv
	s_and_saveexec_b32 s0, vcc_lo
	s_cbranch_execz .LBB7_169
; %bb.168:
	v_mov_b32_e32 v3, 0
	ds_read_b64 v[1:2], v3 offset:4096
	s_waitcnt lgkmcnt(0)
	v_max_i32_e32 v1, v1, v2
	ds_write_b32 v3, v1 offset:4096
.LBB7_169:
	s_or_b32 exec_lo, exec_lo, s0
	s_waitcnt lgkmcnt(0)
	s_barrier
	buffer_gl0_inv
	s_and_saveexec_b32 s0, vcc_lo
	s_cbranch_execz .LBB7_172
; %bb.170:
	v_mbcnt_lo_u32_b32 v1, exec_lo, 0
	v_cmp_eq_u32_e32 vcc_lo, 0, v1
	s_and_b32 exec_lo, exec_lo, vcc_lo
	s_cbranch_execz .LBB7_172
; %bb.171:
	v_mov_b32_e32 v1, 0
	s_load_dwordx2 s[2:3], s[4:5], 0x8
	ds_read_b32 v2, v1 offset:4096
	s_waitcnt lgkmcnt(0)
	v_add_nc_u32_e32 v2, 1, v2
	global_atomic_smax v1, v2, s[2:3]
.LBB7_172:
	s_or_b32 exec_lo, exec_lo, s0
	v_cmp_eq_u32_e32 vcc_lo, 0, v0
	s_and_b32 s0, vcc_lo, s56
	s_and_saveexec_b32 s1, s0
	s_cbranch_execz .LBB7_179
.LBB7_173:
	v_mov_b32_e32 v0, 0x7fc00000
	s_mov_b32 s0, exec_lo
.LBB7_174:                              ; =>This Inner Loop Header: Depth=1
	s_ff1_i32_b32 s2, s0
	v_max_f32_e32 v0, v0, v0
	v_readlane_b32 s3, v20, s2
	s_lshl_b32 s2, 1, s2
	s_andn2_b32 s0, s0, s2
	s_cmp_lg_u32 s0, 0
	v_max_f32_e64 v1, s3, s3
	v_max_f32_e32 v0, v0, v1
	s_cbranch_scc1 .LBB7_174
; %bb.175:
	v_mbcnt_lo_u32_b32 v1, exec_lo, 0
	s_mov_b32 s2, 0
	s_mov_b32 s3, exec_lo
	v_cmpx_eq_u32_e32 0, v1
	s_xor_b32 s3, exec_lo, s3
	s_cbranch_execz .LBB7_179
; %bb.176:
	v_mov_b32_e32 v2, 0
	v_max_f32_e32 v3, v0, v0
	global_load_dword v1, v2, s[44:45]
.LBB7_177:                              ; =>This Inner Loop Header: Depth=1
	s_waitcnt vmcnt(0)
	v_max_f32_e32 v0, v1, v1
	v_max_f32_e32 v0, v0, v3
	global_atomic_cmpswap v0, v2, v[0:1], s[44:45] glc
	s_waitcnt vmcnt(0)
	v_cmp_eq_u32_e64 s0, v0, v1
	v_mov_b32_e32 v1, v0
	s_or_b32 s2, s0, s2
	s_andn2_b32 exec_lo, exec_lo, s2
	s_cbranch_execnz .LBB7_177
; %bb.178:
	s_or_b32 exec_lo, exec_lo, s2
.LBB7_179:
	s_or_b32 exec_lo, exec_lo, s1
	s_and_b32 s0, vcc_lo, s33
	s_and_saveexec_b32 s1, s0
	s_cbranch_execz .LBB7_185
; %bb.180:
	v_mov_b32_e32 v0, 0x7fc00000
	s_mov_b32 s0, exec_lo
.LBB7_181:                              ; =>This Inner Loop Header: Depth=1
	s_ff1_i32_b32 s1, s0
	v_max_f32_e32 v0, v0, v0
	v_readlane_b32 s2, v18, s1
	s_lshl_b32 s1, 1, s1
	s_andn2_b32 s0, s0, s1
	s_cmp_lg_u32 s0, 0
	v_max_f32_e64 v1, s2, s2
	v_max_f32_e32 v0, v0, v1
	s_cbranch_scc1 .LBB7_181
; %bb.182:
	v_mbcnt_lo_u32_b32 v1, exec_lo, 0
	s_mov_b32 s0, 0
	s_mov_b32 s1, exec_lo
	v_cmpx_eq_u32_e32 0, v1
	s_xor_b32 s1, exec_lo, s1
	s_cbranch_execz .LBB7_185
; %bb.183:
	v_mov_b32_e32 v2, 0
	v_max_f32_e32 v3, v0, v0
	global_load_dword v1, v2, s[46:47]
.LBB7_184:                              ; =>This Inner Loop Header: Depth=1
	s_waitcnt vmcnt(0)
	v_max_f32_e32 v0, v1, v1
	v_max_f32_e32 v0, v0, v3
	global_atomic_cmpswap v0, v2, v[0:1], s[46:47] glc
	s_waitcnt vmcnt(0)
	v_cmp_eq_u32_e32 vcc_lo, v0, v1
	v_mov_b32_e32 v1, v0
	s_or_b32 s0, vcc_lo, s0
	s_andn2_b32 exec_lo, exec_lo, s0
	s_cbranch_execnz .LBB7_184
.LBB7_185:
	s_endpgm
	.section	.rodata,"a",@progbits
	.p2align	6, 0x0
	.amdhsa_kernel _ZN9rocsparseL6kernelILi1024ELi1EfiiEEvbbbT3_PS1_NS_15floating_traitsIT1_E6data_tES1_T2_PKS7_S9_PKS1_PKS4_21rocsparse_index_base_S9_S9_SB_PS4_SF_SE_S9_S9_SB_SF_SF_SE_SF_SF_PS6_SG_PKS6_
		.amdhsa_group_segment_fixed_size 8192
		.amdhsa_private_segment_fixed_size 0
		.amdhsa_kernarg_size 208
		.amdhsa_user_sgpr_count 6
		.amdhsa_user_sgpr_private_segment_buffer 1
		.amdhsa_user_sgpr_dispatch_ptr 0
		.amdhsa_user_sgpr_queue_ptr 0
		.amdhsa_user_sgpr_kernarg_segment_ptr 1
		.amdhsa_user_sgpr_dispatch_id 0
		.amdhsa_user_sgpr_flat_scratch_init 0
		.amdhsa_user_sgpr_private_segment_size 0
		.amdhsa_wavefront_size32 1
		.amdhsa_uses_dynamic_stack 0
		.amdhsa_system_sgpr_private_segment_wavefront_offset 0
		.amdhsa_system_sgpr_workgroup_id_x 1
		.amdhsa_system_sgpr_workgroup_id_y 0
		.amdhsa_system_sgpr_workgroup_id_z 0
		.amdhsa_system_sgpr_workgroup_info 0
		.amdhsa_system_vgpr_workitem_id 0
		.amdhsa_next_free_vgpr 38
		.amdhsa_next_free_sgpr 78
		.amdhsa_reserve_vcc 1
		.amdhsa_reserve_flat_scratch 0
		.amdhsa_float_round_mode_32 0
		.amdhsa_float_round_mode_16_64 0
		.amdhsa_float_denorm_mode_32 3
		.amdhsa_float_denorm_mode_16_64 3
		.amdhsa_dx10_clamp 1
		.amdhsa_ieee_mode 1
		.amdhsa_fp16_overflow 0
		.amdhsa_workgroup_processor_mode 1
		.amdhsa_memory_ordered 1
		.amdhsa_forward_progress 1
		.amdhsa_shared_vgpr_count 0
		.amdhsa_exception_fp_ieee_invalid_op 0
		.amdhsa_exception_fp_denorm_src 0
		.amdhsa_exception_fp_ieee_div_zero 0
		.amdhsa_exception_fp_ieee_overflow 0
		.amdhsa_exception_fp_ieee_underflow 0
		.amdhsa_exception_fp_ieee_inexact 0
		.amdhsa_exception_int_div_zero 0
	.end_amdhsa_kernel
	.section	.text._ZN9rocsparseL6kernelILi1024ELi1EfiiEEvbbbT3_PS1_NS_15floating_traitsIT1_E6data_tES1_T2_PKS7_S9_PKS1_PKS4_21rocsparse_index_base_S9_S9_SB_PS4_SF_SE_S9_S9_SB_SF_SF_SE_SF_SF_PS6_SG_PKS6_,"axG",@progbits,_ZN9rocsparseL6kernelILi1024ELi1EfiiEEvbbbT3_PS1_NS_15floating_traitsIT1_E6data_tES1_T2_PKS7_S9_PKS1_PKS4_21rocsparse_index_base_S9_S9_SB_PS4_SF_SE_S9_S9_SB_SF_SF_SE_SF_SF_PS6_SG_PKS6_,comdat
.Lfunc_end7:
	.size	_ZN9rocsparseL6kernelILi1024ELi1EfiiEEvbbbT3_PS1_NS_15floating_traitsIT1_E6data_tES1_T2_PKS7_S9_PKS1_PKS4_21rocsparse_index_base_S9_S9_SB_PS4_SF_SE_S9_S9_SB_SF_SF_SE_SF_SF_PS6_SG_PKS6_, .Lfunc_end7-_ZN9rocsparseL6kernelILi1024ELi1EfiiEEvbbbT3_PS1_NS_15floating_traitsIT1_E6data_tES1_T2_PKS7_S9_PKS1_PKS4_21rocsparse_index_base_S9_S9_SB_PS4_SF_SE_S9_S9_SB_SF_SF_SE_SF_SF_PS6_SG_PKS6_
                                        ; -- End function
	.set _ZN9rocsparseL6kernelILi1024ELi1EfiiEEvbbbT3_PS1_NS_15floating_traitsIT1_E6data_tES1_T2_PKS7_S9_PKS1_PKS4_21rocsparse_index_base_S9_S9_SB_PS4_SF_SE_S9_S9_SB_SF_SF_SE_SF_SF_PS6_SG_PKS6_.num_vgpr, 38
	.set _ZN9rocsparseL6kernelILi1024ELi1EfiiEEvbbbT3_PS1_NS_15floating_traitsIT1_E6data_tES1_T2_PKS7_S9_PKS1_PKS4_21rocsparse_index_base_S9_S9_SB_PS4_SF_SE_S9_S9_SB_SF_SF_SE_SF_SF_PS6_SG_PKS6_.num_agpr, 0
	.set _ZN9rocsparseL6kernelILi1024ELi1EfiiEEvbbbT3_PS1_NS_15floating_traitsIT1_E6data_tES1_T2_PKS7_S9_PKS1_PKS4_21rocsparse_index_base_S9_S9_SB_PS4_SF_SE_S9_S9_SB_SF_SF_SE_SF_SF_PS6_SG_PKS6_.numbered_sgpr, 78
	.set _ZN9rocsparseL6kernelILi1024ELi1EfiiEEvbbbT3_PS1_NS_15floating_traitsIT1_E6data_tES1_T2_PKS7_S9_PKS1_PKS4_21rocsparse_index_base_S9_S9_SB_PS4_SF_SE_S9_S9_SB_SF_SF_SE_SF_SF_PS6_SG_PKS6_.num_named_barrier, 0
	.set _ZN9rocsparseL6kernelILi1024ELi1EfiiEEvbbbT3_PS1_NS_15floating_traitsIT1_E6data_tES1_T2_PKS7_S9_PKS1_PKS4_21rocsparse_index_base_S9_S9_SB_PS4_SF_SE_S9_S9_SB_SF_SF_SE_SF_SF_PS6_SG_PKS6_.private_seg_size, 0
	.set _ZN9rocsparseL6kernelILi1024ELi1EfiiEEvbbbT3_PS1_NS_15floating_traitsIT1_E6data_tES1_T2_PKS7_S9_PKS1_PKS4_21rocsparse_index_base_S9_S9_SB_PS4_SF_SE_S9_S9_SB_SF_SF_SE_SF_SF_PS6_SG_PKS6_.uses_vcc, 1
	.set _ZN9rocsparseL6kernelILi1024ELi1EfiiEEvbbbT3_PS1_NS_15floating_traitsIT1_E6data_tES1_T2_PKS7_S9_PKS1_PKS4_21rocsparse_index_base_S9_S9_SB_PS4_SF_SE_S9_S9_SB_SF_SF_SE_SF_SF_PS6_SG_PKS6_.uses_flat_scratch, 0
	.set _ZN9rocsparseL6kernelILi1024ELi1EfiiEEvbbbT3_PS1_NS_15floating_traitsIT1_E6data_tES1_T2_PKS7_S9_PKS1_PKS4_21rocsparse_index_base_S9_S9_SB_PS4_SF_SE_S9_S9_SB_SF_SF_SE_SF_SF_PS6_SG_PKS6_.has_dyn_sized_stack, 0
	.set _ZN9rocsparseL6kernelILi1024ELi1EfiiEEvbbbT3_PS1_NS_15floating_traitsIT1_E6data_tES1_T2_PKS7_S9_PKS1_PKS4_21rocsparse_index_base_S9_S9_SB_PS4_SF_SE_S9_S9_SB_SF_SF_SE_SF_SF_PS6_SG_PKS6_.has_recursion, 0
	.set _ZN9rocsparseL6kernelILi1024ELi1EfiiEEvbbbT3_PS1_NS_15floating_traitsIT1_E6data_tES1_T2_PKS7_S9_PKS1_PKS4_21rocsparse_index_base_S9_S9_SB_PS4_SF_SE_S9_S9_SB_SF_SF_SE_SF_SF_PS6_SG_PKS6_.has_indirect_call, 0
	.section	.AMDGPU.csdata,"",@progbits
; Kernel info:
; codeLenInByte = 5996
; TotalNumSgprs: 80
; NumVgprs: 38
; ScratchSize: 0
; MemoryBound: 0
; FloatMode: 240
; IeeeMode: 1
; LDSByteSize: 8192 bytes/workgroup (compile time only)
; SGPRBlocks: 0
; VGPRBlocks: 4
; NumSGPRsForWavesPerEU: 80
; NumVGPRsForWavesPerEU: 38
; Occupancy: 16
; WaveLimiterHint : 1
; COMPUTE_PGM_RSRC2:SCRATCH_EN: 0
; COMPUTE_PGM_RSRC2:USER_SGPR: 6
; COMPUTE_PGM_RSRC2:TRAP_HANDLER: 0
; COMPUTE_PGM_RSRC2:TGID_X_EN: 1
; COMPUTE_PGM_RSRC2:TGID_Y_EN: 0
; COMPUTE_PGM_RSRC2:TGID_Z_EN: 0
; COMPUTE_PGM_RSRC2:TIDIG_COMP_CNT: 0
	.section	.text._ZN9rocsparseL6kernelILi1024ELi2EfiiEEvbbbT3_PS1_NS_15floating_traitsIT1_E6data_tES1_T2_PKS7_S9_PKS1_PKS4_21rocsparse_index_base_S9_S9_SB_PS4_SF_SE_S9_S9_SB_SF_SF_SE_SF_SF_PS6_SG_PKS6_,"axG",@progbits,_ZN9rocsparseL6kernelILi1024ELi2EfiiEEvbbbT3_PS1_NS_15floating_traitsIT1_E6data_tES1_T2_PKS7_S9_PKS1_PKS4_21rocsparse_index_base_S9_S9_SB_PS4_SF_SE_S9_S9_SB_SF_SF_SE_SF_SF_PS6_SG_PKS6_,comdat
	.globl	_ZN9rocsparseL6kernelILi1024ELi2EfiiEEvbbbT3_PS1_NS_15floating_traitsIT1_E6data_tES1_T2_PKS7_S9_PKS1_PKS4_21rocsparse_index_base_S9_S9_SB_PS4_SF_SE_S9_S9_SB_SF_SF_SE_SF_SF_PS6_SG_PKS6_ ; -- Begin function _ZN9rocsparseL6kernelILi1024ELi2EfiiEEvbbbT3_PS1_NS_15floating_traitsIT1_E6data_tES1_T2_PKS7_S9_PKS1_PKS4_21rocsparse_index_base_S9_S9_SB_PS4_SF_SE_S9_S9_SB_SF_SF_SE_SF_SF_PS6_SG_PKS6_
	.p2align	8
	.type	_ZN9rocsparseL6kernelILi1024ELi2EfiiEEvbbbT3_PS1_NS_15floating_traitsIT1_E6data_tES1_T2_PKS7_S9_PKS1_PKS4_21rocsparse_index_base_S9_S9_SB_PS4_SF_SE_S9_S9_SB_SF_SF_SE_SF_SF_PS6_SG_PKS6_,@function
_ZN9rocsparseL6kernelILi1024ELi2EfiiEEvbbbT3_PS1_NS_15floating_traitsIT1_E6data_tES1_T2_PKS7_S9_PKS1_PKS4_21rocsparse_index_base_S9_S9_SB_PS4_SF_SE_S9_S9_SB_SF_SF_SE_SF_SF_PS6_SG_PKS6_: ; @_ZN9rocsparseL6kernelILi1024ELi2EfiiEEvbbbT3_PS1_NS_15floating_traitsIT1_E6data_tES1_T2_PKS7_S9_PKS1_PKS4_21rocsparse_index_base_S9_S9_SB_PS4_SF_SE_S9_S9_SB_SF_SF_SE_SF_SF_PS6_SG_PKS6_
; %bb.0:
	s_clause 0x3
	s_load_dword s0, s[4:5], 0x0
	s_load_dwordx2 s[34:35], s[4:5], 0x0
	s_load_dwordx2 s[52:53], s[4:5], 0x10
	s_load_dwordx4 s[44:47], s[4:5], 0xb8
	v_lshrrev_b32_e32 v21, 1, v0
	v_mov_b32_e32 v20, 0
	v_lshlrev_b32_e32 v19, 2, v0
	v_and_b32_e32 v23, 1, v0
	v_mbcnt_lo_u32_b32 v24, -1, 0
	v_mov_b32_e32 v22, 0
	v_mov_b32_e32 v1, 0
	ds_write_b32 v19, v20
	s_waitcnt lgkmcnt(0)
	s_barrier
	buffer_gl0_inv
	s_bitcmp1_b32 s0, 0
	s_cselect_b32 s61, -1, 0
	s_bitcmp1_b32 s0, 8
	s_cselect_b32 s60, -1, 0
	s_bitcmp1_b32 s34, 16
	s_mov_b32 s34, 0
	s_cselect_b32 s33, -1, 0
	s_lshl_b32 s66, s6, 10
	s_cmp_gt_i32 s35, 0
	v_or_b32_e32 v25, s66, v21
	s_cselect_b32 s0, -1, 0
	v_cmp_gt_i32_e32 vcc_lo, s53, v25
	s_and_b32 s0, s0, vcc_lo
	s_and_saveexec_b32 s62, s0
	s_cbranch_execnz .LBB8_3
; %bb.1:
	s_or_b32 exec_lo, exec_lo, s62
	s_andn2_b32 vcc_lo, exec_lo, s61
	s_cbranch_vccz .LBB8_154
.LBB8_2:
	v_cmp_eq_u32_e32 vcc_lo, 0, v0
	s_and_b32 s0, vcc_lo, s60
	s_and_saveexec_b32 s1, s0
	s_cbranch_execnz .LBB8_178
	s_branch .LBB8_184
.LBB8_3:
	s_clause 0x9
	s_load_dword s63, s[4:5], 0x40
	s_load_dwordx2 s[54:55], s[4:5], 0xc8
	s_load_dwordx4 s[48:51], s[4:5], 0xa8
	s_load_dwordx2 s[56:57], s[4:5], 0x68
	s_load_dword s64, s[4:5], 0x70
	s_load_dwordx2 s[58:59], s[4:5], 0x98
	s_load_dword s65, s[4:5], 0xa0
	s_load_dwordx8 s[16:23], s[4:5], 0x78
	s_load_dwordx8 s[24:31], s[4:5], 0x48
	;; [unrolled: 1-line block ×3, first 2 shown]
	s_addk_i32 s66, 0x400
	v_cmp_eq_u32_e64 s0, 0, v23
	v_cmp_ne_u32_e64 s1, 0, v23
	v_lshlrev_b32_e32 v26, 2, v21
	v_cmp_gt_u32_e64 s2, 0x100, v0
	v_cmp_gt_u32_e64 s3, 0x80, v0
	;; [unrolled: 1-line block ×6, first 2 shown]
	s_waitcnt lgkmcnt(0)
	v_subrev_nc_u32_e32 v27, s63, v23
	v_cmp_gt_u32_e64 s10, 8, v0
	v_cmp_gt_u32_e64 s11, 4, v0
	;; [unrolled: 1-line block ×3, first 2 shown]
	v_cmp_eq_u32_e64 s13, 0, v0
	v_subrev_nc_u32_e32 v28, s64, v23
	v_subrev_nc_u32_e32 v29, s65, v23
	v_mov_b32_e32 v2, 0
	v_mov_b32_e32 v22, 0
	;; [unrolled: 1-line block ×3, first 2 shown]
	s_and_b32 s14, s60, s33
	s_xor_b32 s67, s60, -1
	s_xor_b32 s68, s14, -1
	s_mov_b32 s69, 0
	s_branch .LBB8_5
.LBB8_4:                                ;   in Loop: Header=BB8_5 Depth=1
	s_or_b32 exec_lo, exec_lo, s14
	s_and_b32 s14, exec_lo, s15
	s_or_b32 s34, s14, s34
	s_andn2_b32 exec_lo, exec_lo, s34
	s_cbranch_execz .LBB8_153
.LBB8_5:                                ; =>This Loop Header: Depth=1
                                        ;     Child Loop BB8_9 Depth 2
                                        ;       Child Loop BB8_14 Depth 3
                                        ;         Child Loop BB8_18 Depth 4
                                        ;         Child Loop BB8_39 Depth 4
                                        ;         Child Loop BB8_53 Depth 4
                                        ;         Child Loop BB8_72 Depth 4
                                        ;         Child Loop BB8_80 Depth 4
                                        ;     Child Loop BB8_132 Depth 2
                                        ;       Child Loop BB8_135 Depth 3
                                        ;       Child Loop BB8_138 Depth 3
	v_cndmask_b32_e64 v22, v22, 0, s60
	v_cndmask_b32_e64 v20, v20, 0, s33
	s_mov_b32 s14, 0
	s_mov_b32 s70, -1
	s_branch .LBB8_9
.LBB8_6:                                ;   in Loop: Header=BB8_9 Depth=2
	s_or_b32 exec_lo, exec_lo, s73
.LBB8_7:                                ;   in Loop: Header=BB8_9 Depth=2
	s_or_b32 exec_lo, exec_lo, s72
.LBB8_8:                                ;   in Loop: Header=BB8_9 Depth=2
	s_or_b32 exec_lo, exec_lo, s71
	s_xor_b32 s15, s70, -1
	s_movk_i32 s14, 0x200
	s_and_b32 vcc_lo, exec_lo, s15
	s_mov_b32 s70, 0
	s_cbranch_vccnz .LBB8_85
.LBB8_9:                                ;   Parent Loop BB8_5 Depth=1
                                        ; =>  This Loop Header: Depth=2
                                        ;       Child Loop BB8_14 Depth 3
                                        ;         Child Loop BB8_18 Depth 4
                                        ;         Child Loop BB8_39 Depth 4
	;; [unrolled: 1-line block ×5, first 2 shown]
	v_or_b32_e32 v3, s14, v25
	s_mov_b32 s71, exec_lo
	v_cmpx_gt_i32_e64 s53, v3
	s_cbranch_execz .LBB8_8
; %bb.10:                               ;   in Loop: Header=BB8_9 Depth=2
	v_ashrrev_i32_e32 v4, 31, v3
	s_mov_b32 s72, exec_lo
	v_lshlrev_b64 v[5:6], 2, v[3:4]
	v_add_co_u32 v7, vcc_lo, s36, v5
	v_add_co_ci_u32_e64 v8, null, s37, v6, vcc_lo
	v_add_co_u32 v9, vcc_lo, s38, v5
	v_add_co_ci_u32_e64 v10, null, s39, v6, vcc_lo
	global_load_dword v1, v[7:8], off
	global_load_dword v7, v[9:10], off
	s_waitcnt vmcnt(1)
	v_add_nc_u32_e32 v4, v27, v1
	s_waitcnt vmcnt(0)
	v_subrev_nc_u32_e32 v30, s63, v7
	v_cmpx_lt_i32_e64 v4, v30
	s_cbranch_execz .LBB8_7
; %bb.11:                               ;   in Loop: Header=BB8_9 Depth=2
	v_add_co_u32 v7, vcc_lo, s24, v5
	v_add_co_ci_u32_e64 v8, null, s25, v6, vcc_lo
	v_add_co_u32 v5, vcc_lo, s26, v5
	v_add_co_ci_u32_e64 v6, null, s27, v6, vcc_lo
	global_load_dword v1, v[7:8], off
	s_mov_b32 s73, 0
	global_load_dword v5, v[5:6], off
	s_waitcnt vmcnt(1)
	v_subrev_nc_u32_e32 v6, s64, v1
	s_waitcnt vmcnt(0)
	v_sub_nc_u32_e32 v31, v5, v1
	v_ashrrev_i32_e32 v7, 31, v6
	v_cmp_lt_i32_e64 s14, 0, v31
	v_lshlrev_b64 v[7:8], 2, v[6:7]
	v_add_co_u32 v32, vcc_lo, s28, v7
	v_add_co_ci_u32_e64 v33, null, s29, v8, vcc_lo
	v_add_co_u32 v34, vcc_lo, s30, v7
	v_add_co_ci_u32_e64 v35, null, s31, v8, vcc_lo
	s_branch .LBB8_14
.LBB8_12:                               ;   in Loop: Header=BB8_14 Depth=3
	s_or_b32 exec_lo, exec_lo, s74
.LBB8_13:                               ;   in Loop: Header=BB8_14 Depth=3
	s_or_b32 exec_lo, exec_lo, s15
	v_add_nc_u32_e32 v4, 2, v4
	v_cmp_ge_i32_e32 vcc_lo, v4, v30
	s_or_b32 s73, vcc_lo, s73
	s_andn2_b32 exec_lo, exec_lo, s73
	s_cbranch_execz .LBB8_6
.LBB8_14:                               ;   Parent Loop BB8_5 Depth=1
                                        ;     Parent Loop BB8_9 Depth=2
                                        ; =>    This Loop Header: Depth=3
                                        ;         Child Loop BB8_18 Depth 4
                                        ;         Child Loop BB8_39 Depth 4
	;; [unrolled: 1-line block ×5, first 2 shown]
	v_ashrrev_i32_e32 v5, 31, v4
	v_lshlrev_b64 v[13:14], 2, v[4:5]
	v_mov_b32_e32 v5, 0
	v_add_co_u32 v7, vcc_lo, s40, v13
	v_add_co_ci_u32_e64 v8, null, s41, v14, vcc_lo
	global_load_dword v1, v[7:8], off
	s_waitcnt vmcnt(0)
	v_subrev_nc_u32_e32 v9, s63, v1
	v_ashrrev_i32_e32 v10, 31, v9
	v_lshlrev_b64 v[7:8], 2, v[9:10]
	v_add_co_u32 v10, vcc_lo, s16, v7
	v_add_co_ci_u32_e64 v11, null, s17, v8, vcc_lo
	v_add_co_u32 v15, vcc_lo, s18, v7
	v_add_co_ci_u32_e64 v16, null, s19, v8, vcc_lo
	global_load_dword v1, v[10:11], off
	global_load_dword v12, v[15:16], off
	v_mov_b32_e32 v11, 0
	s_waitcnt vmcnt(1)
	v_subrev_nc_u32_e32 v10, s65, v1
	s_waitcnt vmcnt(0)
	v_sub_nc_u32_e32 v36, v12, v1
	v_mov_b32_e32 v1, v11
	s_and_saveexec_b32 s74, s14
	s_cbranch_execz .LBB8_22
; %bb.15:                               ;   in Loop: Header=BB8_14 Depth=3
	v_ashrrev_i32_e32 v11, 31, v10
	v_mov_b32_e32 v5, 0
	v_mov_b32_e32 v1, 0
	s_mov_b32 s75, 0
                                        ; implicit-def: $sgpr76
	v_lshlrev_b64 v[11:12], 2, v[10:11]
	v_add_co_u32 v37, vcc_lo, s20, v11
	v_add_co_ci_u32_e64 v38, null, s21, v12, vcc_lo
	v_add_co_u32 v39, vcc_lo, s22, v11
	v_add_co_ci_u32_e64 v40, null, s23, v12, vcc_lo
	v_mov_b32_e32 v11, 0
	s_branch .LBB8_18
.LBB8_16:                               ;   in Loop: Header=BB8_18 Depth=4
	s_or_b32 exec_lo, exec_lo, s15
	v_cmp_le_i32_e32 vcc_lo, v12, v41
	v_cmp_ge_i32_e64 s15, v12, v41
	v_add_co_ci_u32_e64 v1, null, 0, v1, vcc_lo
	v_add_co_ci_u32_e64 v11, null, 0, v11, s15
	s_andn2_b32 s15, s76, exec_lo
	v_cmp_ge_i32_e32 vcc_lo, v1, v31
	s_and_b32 s76, vcc_lo, exec_lo
	s_or_b32 s76, s15, s76
.LBB8_17:                               ;   in Loop: Header=BB8_18 Depth=4
	s_or_b32 exec_lo, exec_lo, s77
	s_and_b32 s15, exec_lo, s76
	s_or_b32 s75, s15, s75
	s_andn2_b32 exec_lo, exec_lo, s75
	s_cbranch_execz .LBB8_21
.LBB8_18:                               ;   Parent Loop BB8_5 Depth=1
                                        ;     Parent Loop BB8_9 Depth=2
                                        ;       Parent Loop BB8_14 Depth=3
                                        ; =>      This Inner Loop Header: Depth=4
	s_or_b32 s76, s76, exec_lo
	s_mov_b32 s77, exec_lo
	v_cmpx_lt_i32_e64 v11, v36
	s_cbranch_execz .LBB8_17
; %bb.19:                               ;   in Loop: Header=BB8_18 Depth=4
	v_mov_b32_e32 v12, v2
	v_lshlrev_b64 v[17:18], 2, v[1:2]
	s_mov_b32 s15, exec_lo
	v_lshlrev_b64 v[15:16], 2, v[11:12]
	v_add_co_u32 v41, vcc_lo, v32, v17
	v_add_co_ci_u32_e64 v42, null, v33, v18, vcc_lo
	v_add_co_u32 v43, vcc_lo, v37, v15
	v_add_co_ci_u32_e64 v44, null, v38, v16, vcc_lo
	global_load_dword v12, v[41:42], off
	global_load_dword v41, v[43:44], off
	s_waitcnt vmcnt(1)
	v_subrev_nc_u32_e32 v12, s64, v12
	s_waitcnt vmcnt(0)
	v_subrev_nc_u32_e32 v41, s65, v41
	v_cmpx_eq_u32_e64 v12, v41
	s_cbranch_execz .LBB8_16
; %bb.20:                               ;   in Loop: Header=BB8_18 Depth=4
	v_add_co_u32 v17, vcc_lo, v34, v17
	v_add_co_ci_u32_e64 v18, null, v35, v18, vcc_lo
	v_add_co_u32 v15, vcc_lo, v39, v15
	v_add_co_ci_u32_e64 v16, null, v40, v16, vcc_lo
	global_load_dword v17, v[17:18], off
	global_load_dword v15, v[15:16], off
	s_waitcnt vmcnt(0)
	v_fmac_f32_e32 v5, v17, v15
	s_branch .LBB8_16
.LBB8_21:                               ;   in Loop: Header=BB8_14 Depth=3
	s_or_b32 exec_lo, exec_lo, s75
.LBB8_22:                               ;   in Loop: Header=BB8_14 Depth=3
	s_or_b32 exec_lo, exec_lo, s74
	v_add_co_u32 v12, vcc_lo, s42, v13
	v_add_co_ci_u32_e64 v13, null, s43, v14, vcc_lo
	v_cmp_le_i32_e64 s15, v3, v9
	s_mov_b32 s74, exec_lo
	global_load_dword v14, v[12:13], off
	s_waitcnt vmcnt(0)
	v_sub_f32_e32 v15, v14, v5
	v_cmpx_gt_i32_e64 v3, v9
	s_cbranch_execnz .LBB8_25
; %bb.23:                               ;   in Loop: Header=BB8_14 Depth=3
	s_or_b32 exec_lo, exec_lo, s74
	v_cmp_class_f32_e64 s74, v15, 0x1f8
	s_and_saveexec_b32 s75, s74
	s_cbranch_execnz .LBB8_28
.LBB8_24:                               ;   in Loop: Header=BB8_14 Depth=3
	s_or_b32 exec_lo, exec_lo, s75
	s_and_b32 s74, s33, s74
	s_and_saveexec_b32 s15, s74
	s_cbranch_execz .LBB8_13
	s_branch .LBB8_63
.LBB8_25:                               ;   in Loop: Header=BB8_14 Depth=3
	v_add_co_u32 v12, vcc_lo, s48, v7
	v_add_co_ci_u32_e64 v13, null, s49, v8, vcc_lo
	s_mov_b32 s75, exec_lo
	global_load_dword v12, v[12:13], off
	v_mov_b32_e32 v13, 0
	s_waitcnt vmcnt(0)
	v_cmpx_lg_f32_e32 0, v12
	s_cbranch_execz .LBB8_27
; %bb.26:                               ;   in Loop: Header=BB8_14 Depth=3
	v_div_scale_f32 v13, null, v12, v12, v15
	v_rcp_f32_e32 v16, v13
	v_fma_f32 v17, -v13, v16, 1.0
	v_fmac_f32_e32 v16, v17, v16
	v_div_scale_f32 v17, vcc_lo, v15, v12, v15
	v_mul_f32_e32 v18, v17, v16
	v_fma_f32 v37, -v13, v18, v17
	v_fmac_f32_e32 v18, v37, v16
	v_fma_f32 v13, -v13, v18, v17
	v_div_fmas_f32 v13, v13, v16, v18
	v_div_fixup_f32 v13, v13, v12, v15
.LBB8_27:                               ;   in Loop: Header=BB8_14 Depth=3
	s_or_b32 exec_lo, exec_lo, s75
	v_mov_b32_e32 v15, v13
	s_or_b32 exec_lo, exec_lo, s74
	v_cmp_class_f32_e64 s74, v15, 0x1f8
	s_and_saveexec_b32 s75, s74
	s_cbranch_execz .LBB8_24
.LBB8_28:                               ;   in Loop: Header=BB8_14 Depth=3
	s_and_saveexec_b32 s76, s15
	s_xor_b32 s15, exec_lo, s76
	s_cbranch_execz .LBB8_49
; %bb.29:                               ;   in Loop: Header=BB8_14 Depth=3
	s_mov_b32 s76, exec_lo
	v_cmpx_ge_i32_e64 v3, v9
	s_xor_b32 s76, exec_lo, s76
	s_cbranch_execz .LBB8_35
; %bb.30:                               ;   in Loop: Header=BB8_14 Depth=3
	v_add_co_u32 v12, vcc_lo, s50, v7
	v_add_co_ci_u32_e64 v13, null, s51, v8, vcc_lo
	s_andn2_b32 vcc_lo, exec_lo, s60
	global_store_dword v[12:13], v15, off
	s_cbranch_vccnz .LBB8_34
; %bb.31:                               ;   in Loop: Header=BB8_14 Depth=3
	v_add_co_u32 v12, vcc_lo, s48, v7
	v_add_co_ci_u32_e64 v13, null, s49, v8, vcc_lo
	global_load_dword v12, v[12:13], off
	s_waitcnt vmcnt(0)
	v_sub_f32_e32 v12, v12, v15
	v_cmp_class_f32_e64 s78, v12, 0x1f8
	s_and_saveexec_b32 s77, s78
; %bb.32:                               ;   in Loop: Header=BB8_14 Depth=3
	v_cmp_lt_f32_e64 s78, v22, |v12|
	v_cndmask_b32_e64 v22, v22, |v12|, s78
; %bb.33:                               ;   in Loop: Header=BB8_14 Depth=3
	s_or_b32 exec_lo, exec_lo, s77
.LBB8_34:                               ;   in Loop: Header=BB8_14 Depth=3
                                        ; implicit-def: $vgpr15
.LBB8_35:                               ;   in Loop: Header=BB8_14 Depth=3
	s_andn2_saveexec_b32 s76, s76
	s_cbranch_execz .LBB8_48
; %bb.36:                               ;   in Loop: Header=BB8_14 Depth=3
	s_mov_b32 s77, exec_lo
	v_cmpx_lt_i32_e64 v11, v36
	s_cbranch_execz .LBB8_47
; %bb.37:                               ;   in Loop: Header=BB8_14 Depth=3
	v_mov_b32_e32 v16, v11
	s_mov_b32 s78, 0
                                        ; implicit-def: $sgpr79
                                        ; implicit-def: $sgpr81
                                        ; implicit-def: $sgpr80
	s_inst_prefetch 0x1
	s_branch .LBB8_39
	.p2align	6
.LBB8_38:                               ;   in Loop: Header=BB8_39 Depth=4
	s_or_b32 exec_lo, exec_lo, s82
	s_and_b32 s82, exec_lo, s81
	s_or_b32 s78, s82, s78
	s_andn2_b32 s79, s79, exec_lo
	s_and_b32 s82, s80, exec_lo
	s_or_b32 s79, s79, s82
	s_andn2_b32 exec_lo, exec_lo, s78
	s_cbranch_execz .LBB8_41
.LBB8_39:                               ;   Parent Loop BB8_5 Depth=1
                                        ;     Parent Loop BB8_9 Depth=2
                                        ;       Parent Loop BB8_14 Depth=3
                                        ; =>      This Inner Loop Header: Depth=4
	v_add_nc_u32_e32 v12, v10, v16
	s_or_b32 s80, s80, exec_lo
	s_or_b32 s81, s81, exec_lo
	s_mov_b32 s82, exec_lo
	v_ashrrev_i32_e32 v13, 31, v12
	v_lshlrev_b64 v[12:13], 2, v[12:13]
	v_add_co_u32 v17, vcc_lo, s20, v12
	v_add_co_ci_u32_e64 v18, null, s21, v13, vcc_lo
	global_load_dword v17, v[17:18], off
	s_waitcnt vmcnt(0)
	v_subrev_nc_u32_e32 v17, s65, v17
	v_cmpx_ne_u32_e64 v17, v3
	s_cbranch_execz .LBB8_38
; %bb.40:                               ;   in Loop: Header=BB8_39 Depth=4
	v_add_nc_u32_e32 v16, 1, v16
	s_andn2_b32 s81, s81, exec_lo
	s_andn2_b32 s80, s80, exec_lo
	v_cmp_ge_i32_e32 vcc_lo, v16, v36
	s_and_b32 s83, vcc_lo, exec_lo
	s_or_b32 s81, s81, s83
	s_branch .LBB8_38
.LBB8_41:                               ;   in Loop: Header=BB8_14 Depth=3
	s_inst_prefetch 0x2
	s_or_b32 exec_lo, exec_lo, s78
	s_and_saveexec_b32 s78, s79
	s_xor_b32 s78, exec_lo, s78
	s_cbranch_execz .LBB8_46
; %bb.42:                               ;   in Loop: Header=BB8_14 Depth=3
	v_add_co_u32 v16, vcc_lo, s58, v12
	v_add_co_ci_u32_e64 v17, null, s59, v13, vcc_lo
	s_andn2_b32 vcc_lo, exec_lo, s60
	global_store_dword v[16:17], v15, off
	s_cbranch_vccnz .LBB8_46
; %bb.43:                               ;   in Loop: Header=BB8_14 Depth=3
	v_add_co_u32 v12, vcc_lo, s22, v12
	v_add_co_ci_u32_e64 v13, null, s23, v13, vcc_lo
	global_load_dword v12, v[12:13], off
	s_waitcnt vmcnt(0)
	v_sub_f32_e32 v12, v12, v15
	v_cmp_class_f32_e64 s80, v12, 0x1f8
	s_and_saveexec_b32 s79, s80
; %bb.44:                               ;   in Loop: Header=BB8_14 Depth=3
	v_cmp_lt_f32_e64 s80, v22, |v12|
	v_cndmask_b32_e64 v22, v22, |v12|, s80
; %bb.45:                               ;   in Loop: Header=BB8_14 Depth=3
	s_or_b32 exec_lo, exec_lo, s79
.LBB8_46:                               ;   in Loop: Header=BB8_14 Depth=3
	s_or_b32 exec_lo, exec_lo, s78
.LBB8_47:                               ;   in Loop: Header=BB8_14 Depth=3
	s_or_b32 exec_lo, exec_lo, s77
.LBB8_48:                               ;   in Loop: Header=BB8_14 Depth=3
	s_or_b32 exec_lo, exec_lo, s76
                                        ; implicit-def: $vgpr15
.LBB8_49:                               ;   in Loop: Header=BB8_14 Depth=3
	s_andn2_saveexec_b32 s15, s15
	s_cbranch_execz .LBB8_62
; %bb.50:                               ;   in Loop: Header=BB8_14 Depth=3
	s_mov_b32 s76, exec_lo
	v_cmpx_lt_i32_e64 v1, v31
	s_cbranch_execz .LBB8_61
; %bb.51:                               ;   in Loop: Header=BB8_14 Depth=3
	v_mov_b32_e32 v16, v1
	s_mov_b32 s77, 0
                                        ; implicit-def: $sgpr78
                                        ; implicit-def: $sgpr80
                                        ; implicit-def: $sgpr79
	s_inst_prefetch 0x1
	s_branch .LBB8_53
	.p2align	6
.LBB8_52:                               ;   in Loop: Header=BB8_53 Depth=4
	s_or_b32 exec_lo, exec_lo, s81
	s_and_b32 s81, exec_lo, s80
	s_or_b32 s77, s81, s77
	s_andn2_b32 s78, s78, exec_lo
	s_and_b32 s81, s79, exec_lo
	s_or_b32 s78, s78, s81
	s_andn2_b32 exec_lo, exec_lo, s77
	s_cbranch_execz .LBB8_55
.LBB8_53:                               ;   Parent Loop BB8_5 Depth=1
                                        ;     Parent Loop BB8_9 Depth=2
                                        ;       Parent Loop BB8_14 Depth=3
                                        ; =>      This Inner Loop Header: Depth=4
	v_add_nc_u32_e32 v12, v6, v16
	s_or_b32 s79, s79, exec_lo
	s_or_b32 s80, s80, exec_lo
	s_mov_b32 s81, exec_lo
	v_ashrrev_i32_e32 v13, 31, v12
	v_lshlrev_b64 v[12:13], 2, v[12:13]
	v_add_co_u32 v17, vcc_lo, s28, v12
	v_add_co_ci_u32_e64 v18, null, s29, v13, vcc_lo
	global_load_dword v17, v[17:18], off
	s_waitcnt vmcnt(0)
	v_subrev_nc_u32_e32 v17, s64, v17
	v_cmpx_ne_u32_e64 v17, v9
	s_cbranch_execz .LBB8_52
; %bb.54:                               ;   in Loop: Header=BB8_53 Depth=4
	v_add_nc_u32_e32 v16, 1, v16
	s_andn2_b32 s80, s80, exec_lo
	s_andn2_b32 s79, s79, exec_lo
	v_cmp_ge_i32_e32 vcc_lo, v16, v31
	s_and_b32 s82, vcc_lo, exec_lo
	s_or_b32 s80, s80, s82
	s_branch .LBB8_52
.LBB8_55:                               ;   in Loop: Header=BB8_14 Depth=3
	s_inst_prefetch 0x2
	s_or_b32 exec_lo, exec_lo, s77
	s_and_saveexec_b32 s77, s78
	s_xor_b32 s77, exec_lo, s77
	s_cbranch_execz .LBB8_60
; %bb.56:                               ;   in Loop: Header=BB8_14 Depth=3
	v_add_co_u32 v16, vcc_lo, s56, v12
	v_add_co_ci_u32_e64 v17, null, s57, v13, vcc_lo
	s_andn2_b32 vcc_lo, exec_lo, s60
	global_store_dword v[16:17], v15, off
	s_cbranch_vccnz .LBB8_60
; %bb.57:                               ;   in Loop: Header=BB8_14 Depth=3
	v_add_co_u32 v12, vcc_lo, s30, v12
	v_add_co_ci_u32_e64 v13, null, s31, v13, vcc_lo
	global_load_dword v12, v[12:13], off
	s_waitcnt vmcnt(0)
	v_sub_f32_e32 v12, v12, v15
	v_cmp_class_f32_e64 s79, v12, 0x1f8
	s_and_saveexec_b32 s78, s79
; %bb.58:                               ;   in Loop: Header=BB8_14 Depth=3
	v_cmp_lt_f32_e64 s79, v22, |v12|
	v_cndmask_b32_e64 v22, v22, |v12|, s79
; %bb.59:                               ;   in Loop: Header=BB8_14 Depth=3
	s_or_b32 exec_lo, exec_lo, s78
.LBB8_60:                               ;   in Loop: Header=BB8_14 Depth=3
	s_or_b32 exec_lo, exec_lo, s77
.LBB8_61:                               ;   in Loop: Header=BB8_14 Depth=3
	s_or_b32 exec_lo, exec_lo, s76
.LBB8_62:                               ;   in Loop: Header=BB8_14 Depth=3
	s_or_b32 exec_lo, exec_lo, s15
	s_or_b32 exec_lo, exec_lo, s75
	s_and_b32 s74, s33, s74
	s_and_saveexec_b32 s15, s74
	s_cbranch_execz .LBB8_13
.LBB8_63:                               ;   in Loop: Header=BB8_14 Depth=3
	s_mov_b32 s74, exec_lo
	v_cmpx_ge_i32_e64 v11, v36
	s_xor_b32 s74, exec_lo, s74
	s_cbranch_execnz .LBB8_69
; %bb.64:                               ;   in Loop: Header=BB8_14 Depth=3
	s_andn2_saveexec_b32 s74, s74
	s_cbranch_execnz .LBB8_78
.LBB8_65:                               ;   in Loop: Header=BB8_14 Depth=3
	s_or_b32 exec_lo, exec_lo, s74
	s_mov_b32 s74, exec_lo
	v_cmpx_eq_u32_e64 v3, v9
	s_cbranch_execz .LBB8_67
.LBB8_66:                               ;   in Loop: Header=BB8_14 Depth=3
	v_add_co_u32 v7, vcc_lo, s48, v7
	v_add_co_ci_u32_e64 v8, null, s49, v8, vcc_lo
	global_load_dword v1, v[7:8], off
	s_waitcnt vmcnt(0)
	v_add_f32_e32 v5, v5, v1
.LBB8_67:                               ;   in Loop: Header=BB8_14 Depth=3
	s_or_b32 exec_lo, exec_lo, s74
	v_sub_f32_e32 v1, v14, v5
	v_cmp_class_f32_e64 s75, v1, 0x1f8
	s_and_saveexec_b32 s74, s75
	s_cbranch_execz .LBB8_12
; %bb.68:                               ;   in Loop: Header=BB8_14 Depth=3
	v_cmp_lt_f32_e64 s75, v20, |v1|
	v_cndmask_b32_e64 v20, v20, |v1|, s75
	s_branch .LBB8_12
.LBB8_69:                               ;   in Loop: Header=BB8_14 Depth=3
	s_mov_b32 s75, exec_lo
	v_cmpx_lt_i32_e64 v1, v31
	s_cbranch_execz .LBB8_77
; %bb.70:                               ;   in Loop: Header=BB8_14 Depth=3
	s_mov_b32 s76, 0
                                        ; implicit-def: $sgpr77
                                        ; implicit-def: $sgpr79
                                        ; implicit-def: $sgpr78
	s_inst_prefetch 0x1
	s_branch .LBB8_72
	.p2align	6
.LBB8_71:                               ;   in Loop: Header=BB8_72 Depth=4
	s_or_b32 exec_lo, exec_lo, s80
	s_and_b32 s80, exec_lo, s79
	s_or_b32 s76, s80, s76
	s_andn2_b32 s77, s77, exec_lo
	s_and_b32 s80, s78, exec_lo
	s_or_b32 s77, s77, s80
	s_andn2_b32 exec_lo, exec_lo, s76
	s_cbranch_execz .LBB8_74
.LBB8_72:                               ;   Parent Loop BB8_5 Depth=1
                                        ;     Parent Loop BB8_9 Depth=2
                                        ;       Parent Loop BB8_14 Depth=3
                                        ; =>      This Inner Loop Header: Depth=4
	v_add_nc_u32_e32 v10, v6, v1
	s_or_b32 s78, s78, exec_lo
	s_or_b32 s79, s79, exec_lo
	s_mov_b32 s80, exec_lo
	v_ashrrev_i32_e32 v11, 31, v10
	v_lshlrev_b64 v[10:11], 2, v[10:11]
	v_add_co_u32 v12, vcc_lo, s28, v10
	v_add_co_ci_u32_e64 v13, null, s29, v11, vcc_lo
	global_load_dword v12, v[12:13], off
	s_waitcnt vmcnt(0)
	v_subrev_nc_u32_e32 v12, s64, v12
	v_cmpx_ne_u32_e64 v12, v9
	s_cbranch_execz .LBB8_71
; %bb.73:                               ;   in Loop: Header=BB8_72 Depth=4
	v_add_nc_u32_e32 v1, 1, v1
	s_andn2_b32 s79, s79, exec_lo
	s_andn2_b32 s78, s78, exec_lo
	v_cmp_ge_i32_e32 vcc_lo, v1, v31
	s_and_b32 s81, vcc_lo, exec_lo
	s_or_b32 s79, s79, s81
	s_branch .LBB8_71
.LBB8_74:                               ;   in Loop: Header=BB8_14 Depth=3
	s_inst_prefetch 0x2
	s_or_b32 exec_lo, exec_lo, s76
	s_and_saveexec_b32 s76, s77
	s_xor_b32 s76, exec_lo, s76
	s_cbranch_execz .LBB8_76
; %bb.75:                               ;   in Loop: Header=BB8_14 Depth=3
	v_add_co_u32 v10, vcc_lo, s30, v10
	v_add_co_ci_u32_e64 v11, null, s31, v11, vcc_lo
	v_add_co_u32 v12, vcc_lo, s48, v7
	v_add_co_ci_u32_e64 v13, null, s49, v8, vcc_lo
	global_load_dword v1, v[10:11], off
	global_load_dword v10, v[12:13], off
	s_waitcnt vmcnt(0)
	v_fmac_f32_e32 v5, v1, v10
.LBB8_76:                               ;   in Loop: Header=BB8_14 Depth=3
	s_or_b32 exec_lo, exec_lo, s76
.LBB8_77:                               ;   in Loop: Header=BB8_14 Depth=3
	s_or_b32 exec_lo, exec_lo, s75
                                        ; implicit-def: $vgpr11
                                        ; implicit-def: $vgpr10
                                        ; implicit-def: $vgpr36
	s_andn2_saveexec_b32 s74, s74
	s_cbranch_execz .LBB8_65
.LBB8_78:                               ;   in Loop: Header=BB8_14 Depth=3
	s_mov_b32 s75, 0
                                        ; implicit-def: $sgpr76
                                        ; implicit-def: $sgpr78
                                        ; implicit-def: $sgpr77
	s_inst_prefetch 0x1
	s_branch .LBB8_80
	.p2align	6
.LBB8_79:                               ;   in Loop: Header=BB8_80 Depth=4
	s_or_b32 exec_lo, exec_lo, s79
	s_and_b32 s79, exec_lo, s78
	s_or_b32 s75, s79, s75
	s_andn2_b32 s76, s76, exec_lo
	s_and_b32 s79, s77, exec_lo
	s_or_b32 s76, s76, s79
	s_andn2_b32 exec_lo, exec_lo, s75
	s_cbranch_execz .LBB8_82
.LBB8_80:                               ;   Parent Loop BB8_5 Depth=1
                                        ;     Parent Loop BB8_9 Depth=2
                                        ;       Parent Loop BB8_14 Depth=3
                                        ; =>      This Inner Loop Header: Depth=4
	v_add_nc_u32_e32 v12, v10, v11
	s_or_b32 s77, s77, exec_lo
	s_or_b32 s78, s78, exec_lo
	s_mov_b32 s79, exec_lo
	v_ashrrev_i32_e32 v13, 31, v12
	v_lshlrev_b64 v[12:13], 2, v[12:13]
	v_add_co_u32 v15, vcc_lo, s20, v12
	v_add_co_ci_u32_e64 v16, null, s21, v13, vcc_lo
	global_load_dword v1, v[15:16], off
	s_waitcnt vmcnt(0)
	v_subrev_nc_u32_e32 v1, s65, v1
	v_cmpx_ne_u32_e64 v1, v3
	s_cbranch_execz .LBB8_79
; %bb.81:                               ;   in Loop: Header=BB8_80 Depth=4
	v_add_nc_u32_e32 v11, 1, v11
	s_andn2_b32 s78, s78, exec_lo
	s_andn2_b32 s77, s77, exec_lo
	v_cmp_ge_i32_e32 vcc_lo, v11, v36
	s_and_b32 s80, vcc_lo, exec_lo
	s_or_b32 s78, s78, s80
	s_branch .LBB8_79
.LBB8_82:                               ;   in Loop: Header=BB8_14 Depth=3
	s_inst_prefetch 0x2
	s_or_b32 exec_lo, exec_lo, s75
	s_and_saveexec_b32 s75, s76
	s_xor_b32 s75, exec_lo, s75
	s_cbranch_execz .LBB8_84
; %bb.83:                               ;   in Loop: Header=BB8_14 Depth=3
	v_add_co_u32 v10, vcc_lo, s22, v12
	v_add_co_ci_u32_e64 v11, null, s23, v13, vcc_lo
	global_load_dword v1, v[10:11], off
	s_waitcnt vmcnt(0)
	v_add_f32_e32 v5, v5, v1
.LBB8_84:                               ;   in Loop: Header=BB8_14 Depth=3
	s_or_b32 exec_lo, exec_lo, s75
	s_or_b32 exec_lo, exec_lo, s74
	s_mov_b32 s74, exec_lo
	v_cmpx_eq_u32_e64 v3, v9
	s_cbranch_execnz .LBB8_66
	s_branch .LBB8_67
.LBB8_85:                               ;   in Loop: Header=BB8_5 Depth=1
	v_xor_b32_e32 v1, 1, v24
	s_and_b32 vcc_lo, exec_lo, s60
	s_cbranch_vccnz .LBB8_88
; %bb.86:                               ;   in Loop: Header=BB8_5 Depth=1
	s_andn2_b32 vcc_lo, exec_lo, s33
	s_cbranch_vccz .LBB8_109
.LBB8_87:                               ;   in Loop: Header=BB8_5 Depth=1
	s_and_saveexec_b32 s15, s9
	s_cbranch_execnz .LBB8_130
	s_branch .LBB8_141
.LBB8_88:                               ;   in Loop: Header=BB8_5 Depth=1
	v_cmp_gt_i32_e32 vcc_lo, 32, v1
	v_cndmask_b32_e32 v3, v24, v1, vcc_lo
	v_lshlrev_b32_e32 v3, 2, v3
	ds_bpermute_b32 v3, v3, v22
	s_and_saveexec_b32 s14, s1
	s_cbranch_execz .LBB8_90
; %bb.89:                               ;   in Loop: Header=BB8_5 Depth=1
	s_waitcnt lgkmcnt(0)
	v_cmp_lt_f32_e32 vcc_lo, v22, v3
	v_cndmask_b32_e32 v3, v22, v3, vcc_lo
	ds_write_b32 v26, v3
.LBB8_90:                               ;   in Loop: Header=BB8_5 Depth=1
	s_or_b32 exec_lo, exec_lo, s14
	s_waitcnt lgkmcnt(0)
	s_waitcnt_vscnt null, 0x0
	s_barrier
	buffer_gl0_inv
	s_and_saveexec_b32 s14, s2
	s_cbranch_execz .LBB8_92
; %bb.91:                               ;   in Loop: Header=BB8_5 Depth=1
	ds_read2st64_b32 v[3:4], v19 offset1:4
	s_waitcnt lgkmcnt(0)
	v_cmp_lt_f32_e32 vcc_lo, v3, v4
	v_cndmask_b32_e32 v3, v3, v4, vcc_lo
	ds_write_b32 v19, v3
.LBB8_92:                               ;   in Loop: Header=BB8_5 Depth=1
	s_or_b32 exec_lo, exec_lo, s14
	s_waitcnt lgkmcnt(0)
	s_barrier
	buffer_gl0_inv
	s_and_saveexec_b32 s14, s3
	s_cbranch_execz .LBB8_94
; %bb.93:                               ;   in Loop: Header=BB8_5 Depth=1
	ds_read2st64_b32 v[3:4], v19 offset1:2
	s_waitcnt lgkmcnt(0)
	v_cmp_lt_f32_e32 vcc_lo, v3, v4
	v_cndmask_b32_e32 v3, v3, v4, vcc_lo
	ds_write_b32 v19, v3
.LBB8_94:                               ;   in Loop: Header=BB8_5 Depth=1
	s_or_b32 exec_lo, exec_lo, s14
	s_waitcnt lgkmcnt(0)
	s_barrier
	buffer_gl0_inv
	s_and_saveexec_b32 s14, s6
	s_cbranch_execz .LBB8_96
; %bb.95:                               ;   in Loop: Header=BB8_5 Depth=1
	ds_read2st64_b32 v[3:4], v19 offset1:1
	s_waitcnt lgkmcnt(0)
	v_cmp_lt_f32_e32 vcc_lo, v3, v4
	v_cndmask_b32_e32 v3, v3, v4, vcc_lo
	ds_write_b32 v19, v3
.LBB8_96:                               ;   in Loop: Header=BB8_5 Depth=1
	s_or_b32 exec_lo, exec_lo, s14
	s_waitcnt lgkmcnt(0)
	s_barrier
	buffer_gl0_inv
	s_and_saveexec_b32 s14, s7
	s_cbranch_execz .LBB8_98
; %bb.97:                               ;   in Loop: Header=BB8_5 Depth=1
	ds_read2_b32 v[3:4], v19 offset1:32
	s_waitcnt lgkmcnt(0)
	v_cmp_lt_f32_e32 vcc_lo, v3, v4
	v_cndmask_b32_e32 v3, v3, v4, vcc_lo
	ds_write_b32 v19, v3
.LBB8_98:                               ;   in Loop: Header=BB8_5 Depth=1
	s_or_b32 exec_lo, exec_lo, s14
	s_waitcnt lgkmcnt(0)
	s_barrier
	buffer_gl0_inv
	s_and_saveexec_b32 s14, s8
	s_cbranch_execz .LBB8_100
; %bb.99:                               ;   in Loop: Header=BB8_5 Depth=1
	ds_read2_b32 v[3:4], v19 offset1:16
	s_waitcnt lgkmcnt(0)
	v_cmp_lt_f32_e32 vcc_lo, v3, v4
	v_cndmask_b32_e32 v3, v3, v4, vcc_lo
	ds_write_b32 v19, v3
.LBB8_100:                              ;   in Loop: Header=BB8_5 Depth=1
	s_or_b32 exec_lo, exec_lo, s14
	s_waitcnt lgkmcnt(0)
	s_barrier
	buffer_gl0_inv
	s_and_saveexec_b32 s14, s10
	s_cbranch_execz .LBB8_102
; %bb.101:                              ;   in Loop: Header=BB8_5 Depth=1
	ds_read2_b32 v[3:4], v19 offset1:8
	s_waitcnt lgkmcnt(0)
	v_cmp_lt_f32_e32 vcc_lo, v3, v4
	v_cndmask_b32_e32 v3, v3, v4, vcc_lo
	ds_write_b32 v19, v3
.LBB8_102:                              ;   in Loop: Header=BB8_5 Depth=1
	s_or_b32 exec_lo, exec_lo, s14
	s_waitcnt lgkmcnt(0)
	s_barrier
	buffer_gl0_inv
	s_and_saveexec_b32 s14, s11
	s_cbranch_execz .LBB8_104
; %bb.103:                              ;   in Loop: Header=BB8_5 Depth=1
	ds_read2_b32 v[3:4], v19 offset1:4
	s_waitcnt lgkmcnt(0)
	v_cmp_lt_f32_e32 vcc_lo, v3, v4
	v_cndmask_b32_e32 v3, v3, v4, vcc_lo
	ds_write_b32 v19, v3
.LBB8_104:                              ;   in Loop: Header=BB8_5 Depth=1
	;; [unrolled: 13-line block ×3, first 2 shown]
	s_or_b32 exec_lo, exec_lo, s14
	s_waitcnt lgkmcnt(0)
	s_barrier
	buffer_gl0_inv
	s_and_saveexec_b32 s14, s13
	s_cbranch_execz .LBB8_108
; %bb.107:                              ;   in Loop: Header=BB8_5 Depth=1
	ds_read_b64 v[3:4], v2
	s_waitcnt lgkmcnt(0)
	v_cmp_lt_f32_e32 vcc_lo, v3, v4
	v_cndmask_b32_e32 v3, v3, v4, vcc_lo
	ds_write_b32 v2, v3
.LBB8_108:                              ;   in Loop: Header=BB8_5 Depth=1
	s_or_b32 exec_lo, exec_lo, s14
	s_waitcnt lgkmcnt(0)
	s_barrier
	buffer_gl0_inv
	ds_read_b32 v3, v2
	s_load_dword s14, s[54:55], 0x0
	s_waitcnt lgkmcnt(0)
	v_div_scale_f32 v4, null, s14, s14, v3
	v_rcp_f32_e32 v5, v4
	v_fma_f32 v6, -v4, v5, 1.0
	v_fmac_f32_e32 v5, v6, v5
	v_div_scale_f32 v6, vcc_lo, v3, s14, v3
	v_mul_f32_e32 v7, v6, v5
	v_fma_f32 v8, -v4, v7, v6
	v_fmac_f32_e32 v7, v8, v5
	v_fma_f32 v4, -v4, v7, v6
	v_div_fmas_f32 v4, v4, v5, v7
	v_div_fixup_f32 v22, v4, s14, v3
	s_andn2_b32 vcc_lo, exec_lo, s33
	s_cbranch_vccnz .LBB8_87
.LBB8_109:                              ;   in Loop: Header=BB8_5 Depth=1
	v_cmp_gt_i32_e32 vcc_lo, 32, v1
	v_cndmask_b32_e32 v1, v24, v1, vcc_lo
	v_lshlrev_b32_e32 v1, 2, v1
	ds_bpermute_b32 v1, v1, v20
	s_and_saveexec_b32 s14, s1
	s_cbranch_execz .LBB8_111
; %bb.110:                              ;   in Loop: Header=BB8_5 Depth=1
	s_waitcnt lgkmcnt(0)
	v_cmp_lt_f32_e32 vcc_lo, v20, v1
	v_cndmask_b32_e32 v1, v20, v1, vcc_lo
	ds_write_b32 v26, v1
.LBB8_111:                              ;   in Loop: Header=BB8_5 Depth=1
	s_or_b32 exec_lo, exec_lo, s14
	s_waitcnt lgkmcnt(0)
	s_waitcnt_vscnt null, 0x0
	s_barrier
	buffer_gl0_inv
	s_and_saveexec_b32 s14, s2
	s_cbranch_execz .LBB8_113
; %bb.112:                              ;   in Loop: Header=BB8_5 Depth=1
	ds_read2st64_b32 v[3:4], v19 offset1:4
	s_waitcnt lgkmcnt(0)
	v_cmp_lt_f32_e32 vcc_lo, v3, v4
	v_cndmask_b32_e32 v1, v3, v4, vcc_lo
	ds_write_b32 v19, v1
.LBB8_113:                              ;   in Loop: Header=BB8_5 Depth=1
	s_or_b32 exec_lo, exec_lo, s14
	s_waitcnt lgkmcnt(0)
	s_barrier
	buffer_gl0_inv
	s_and_saveexec_b32 s14, s3
	s_cbranch_execz .LBB8_115
; %bb.114:                              ;   in Loop: Header=BB8_5 Depth=1
	ds_read2st64_b32 v[3:4], v19 offset1:2
	s_waitcnt lgkmcnt(0)
	v_cmp_lt_f32_e32 vcc_lo, v3, v4
	v_cndmask_b32_e32 v1, v3, v4, vcc_lo
	ds_write_b32 v19, v1
.LBB8_115:                              ;   in Loop: Header=BB8_5 Depth=1
	s_or_b32 exec_lo, exec_lo, s14
	s_waitcnt lgkmcnt(0)
	;; [unrolled: 13-line block ×3, first 2 shown]
	s_barrier
	buffer_gl0_inv
	s_and_saveexec_b32 s14, s7
	s_cbranch_execz .LBB8_119
; %bb.118:                              ;   in Loop: Header=BB8_5 Depth=1
	ds_read2_b32 v[3:4], v19 offset1:32
	s_waitcnt lgkmcnt(0)
	v_cmp_lt_f32_e32 vcc_lo, v3, v4
	v_cndmask_b32_e32 v1, v3, v4, vcc_lo
	ds_write_b32 v19, v1
.LBB8_119:                              ;   in Loop: Header=BB8_5 Depth=1
	s_or_b32 exec_lo, exec_lo, s14
	s_waitcnt lgkmcnt(0)
	s_barrier
	buffer_gl0_inv
	s_and_saveexec_b32 s14, s8
	s_cbranch_execz .LBB8_121
; %bb.120:                              ;   in Loop: Header=BB8_5 Depth=1
	ds_read2_b32 v[3:4], v19 offset1:16
	s_waitcnt lgkmcnt(0)
	v_cmp_lt_f32_e32 vcc_lo, v3, v4
	v_cndmask_b32_e32 v1, v3, v4, vcc_lo
	ds_write_b32 v19, v1
.LBB8_121:                              ;   in Loop: Header=BB8_5 Depth=1
	s_or_b32 exec_lo, exec_lo, s14
	s_waitcnt lgkmcnt(0)
	;; [unrolled: 13-line block ×5, first 2 shown]
	s_barrier
	buffer_gl0_inv
	s_and_saveexec_b32 s14, s13
	s_cbranch_execz .LBB8_129
; %bb.128:                              ;   in Loop: Header=BB8_5 Depth=1
	ds_read_b64 v[3:4], v2
	s_waitcnt lgkmcnt(0)
	v_cmp_lt_f32_e32 vcc_lo, v3, v4
	v_cndmask_b32_e32 v1, v3, v4, vcc_lo
	ds_write_b32 v2, v1
.LBB8_129:                              ;   in Loop: Header=BB8_5 Depth=1
	s_or_b32 exec_lo, exec_lo, s14
	s_waitcnt lgkmcnt(0)
	s_barrier
	buffer_gl0_inv
	ds_read_b32 v1, v2
	s_load_dword s14, s[54:55], 0x0
	s_waitcnt lgkmcnt(0)
	v_div_scale_f32 v3, null, s14, s14, v1
	v_rcp_f32_e32 v4, v3
	v_fma_f32 v5, -v3, v4, 1.0
	v_fmac_f32_e32 v4, v5, v4
	v_div_scale_f32 v5, vcc_lo, v1, s14, v1
	v_mul_f32_e32 v6, v5, v4
	v_fma_f32 v7, -v3, v6, v5
	v_fmac_f32_e32 v6, v7, v4
	v_fma_f32 v3, -v3, v6, v5
	v_div_fmas_f32 v3, v3, v4, v6
	v_div_fixup_f32 v20, v3, s14, v1
	s_and_saveexec_b32 s15, s9
	s_cbranch_execz .LBB8_141
.LBB8_130:                              ;   in Loop: Header=BB8_5 Depth=1
	v_mov_b32_e32 v3, v25
	s_branch .LBB8_132
.LBB8_131:                              ;   in Loop: Header=BB8_132 Depth=2
	s_or_b32 exec_lo, exec_lo, s71
	v_add_nc_u32_e32 v3, 0x200, v3
	v_cmp_le_u32_e32 vcc_lo, s66, v3
	s_or_b32 s70, vcc_lo, s70
	s_andn2_b32 exec_lo, exec_lo, s70
	s_cbranch_execz .LBB8_141
.LBB8_132:                              ;   Parent Loop BB8_5 Depth=1
                                        ; =>  This Loop Header: Depth=2
                                        ;       Child Loop BB8_135 Depth 3
                                        ;       Child Loop BB8_138 Depth 3
	s_mov_b32 s71, exec_lo
	v_cmpx_gt_i32_e64 s53, v3
	s_cbranch_execz .LBB8_131
; %bb.133:                              ;   in Loop: Header=BB8_132 Depth=2
	v_ashrrev_i32_e32 v4, 31, v3
	s_mov_b32 s72, exec_lo
	v_lshlrev_b64 v[4:5], 2, v[3:4]
	v_add_co_u32 v6, vcc_lo, s24, v4
	v_add_co_ci_u32_e64 v7, null, s25, v5, vcc_lo
	v_add_co_u32 v8, vcc_lo, s26, v4
	v_add_co_ci_u32_e64 v9, null, s27, v5, vcc_lo
	global_load_dword v1, v[6:7], off
	global_load_dword v7, v[8:9], off
	s_waitcnt vmcnt(1)
	v_add_nc_u32_e32 v6, v28, v1
	s_waitcnt vmcnt(0)
	v_subrev_nc_u32_e32 v1, s64, v7
	v_cmpx_lt_i32_e64 v6, v1
	s_cbranch_execz .LBB8_136
; %bb.134:                              ;   in Loop: Header=BB8_132 Depth=2
	v_ashrrev_i32_e32 v7, 31, v6
	s_mov_b32 s73, 0
	v_lshlrev_b64 v[9:10], 2, v[6:7]
	v_add_co_u32 v7, vcc_lo, s56, v9
	v_add_co_ci_u32_e64 v8, null, s57, v10, vcc_lo
	v_add_co_u32 v9, vcc_lo, s30, v9
	v_add_co_ci_u32_e64 v10, null, s31, v10, vcc_lo
	.p2align	6
.LBB8_135:                              ;   Parent Loop BB8_5 Depth=1
                                        ;     Parent Loop BB8_132 Depth=2
                                        ; =>    This Inner Loop Header: Depth=3
	global_load_dword v11, v[7:8], off
	v_add_nc_u32_e32 v6, 2, v6
	v_add_co_u32 v7, vcc_lo, v7, 8
	v_add_co_ci_u32_e64 v8, null, 0, v8, vcc_lo
	v_cmp_ge_i32_e32 vcc_lo, v6, v1
	s_or_b32 s73, vcc_lo, s73
	s_waitcnt vmcnt(0)
	global_store_dword v[9:10], v11, off
	v_add_co_u32 v9, s14, v9, 8
	v_add_co_ci_u32_e64 v10, null, 0, v10, s14
	s_andn2_b32 exec_lo, exec_lo, s73
	s_cbranch_execnz .LBB8_135
.LBB8_136:                              ;   in Loop: Header=BB8_132 Depth=2
	s_or_b32 exec_lo, exec_lo, s72
	v_add_co_u32 v6, vcc_lo, s16, v4
	v_add_co_ci_u32_e64 v7, null, s17, v5, vcc_lo
	v_add_co_u32 v8, vcc_lo, s18, v4
	v_add_co_ci_u32_e64 v9, null, s19, v5, vcc_lo
	global_load_dword v1, v[6:7], off
	global_load_dword v7, v[8:9], off
	s_mov_b32 s72, exec_lo
	s_waitcnt vmcnt(1)
	v_add_nc_u32_e32 v6, v29, v1
	s_waitcnt vmcnt(0)
	v_subrev_nc_u32_e32 v1, s65, v7
	v_cmpx_lt_i32_e64 v6, v1
	s_cbranch_execz .LBB8_139
; %bb.137:                              ;   in Loop: Header=BB8_132 Depth=2
	v_ashrrev_i32_e32 v7, 31, v6
	s_mov_b32 s73, 0
	v_lshlrev_b64 v[9:10], 2, v[6:7]
	v_add_co_u32 v7, vcc_lo, s58, v9
	v_add_co_ci_u32_e64 v8, null, s59, v10, vcc_lo
	v_add_co_u32 v9, vcc_lo, s22, v9
	v_add_co_ci_u32_e64 v10, null, s23, v10, vcc_lo
	.p2align	6
.LBB8_138:                              ;   Parent Loop BB8_5 Depth=1
                                        ;     Parent Loop BB8_132 Depth=2
                                        ; =>    This Inner Loop Header: Depth=3
	global_load_dword v11, v[7:8], off
	v_add_nc_u32_e32 v6, 2, v6
	v_add_co_u32 v7, vcc_lo, v7, 8
	v_add_co_ci_u32_e64 v8, null, 0, v8, vcc_lo
	v_cmp_ge_i32_e32 vcc_lo, v6, v1
	s_or_b32 s73, vcc_lo, s73
	s_waitcnt vmcnt(0)
	global_store_dword v[9:10], v11, off
	v_add_co_u32 v9, s14, v9, 8
	v_add_co_ci_u32_e64 v10, null, 0, v10, s14
	s_andn2_b32 exec_lo, exec_lo, s73
	s_cbranch_execnz .LBB8_138
.LBB8_139:                              ;   in Loop: Header=BB8_132 Depth=2
	s_or_b32 exec_lo, exec_lo, s72
	s_and_b32 exec_lo, exec_lo, s0
	s_cbranch_execz .LBB8_131
; %bb.140:                              ;   in Loop: Header=BB8_132 Depth=2
	v_add_co_u32 v6, vcc_lo, s50, v4
	v_add_co_ci_u32_e64 v7, null, s51, v5, vcc_lo
	v_add_co_u32 v4, vcc_lo, s48, v4
	v_add_co_ci_u32_e64 v5, null, s49, v5, vcc_lo
	global_load_dword v1, v[6:7], off
	s_waitcnt vmcnt(0)
	global_store_dword v[4:5], v1, off
	s_branch .LBB8_131
.LBB8_141:                              ;   in Loop: Header=BB8_5 Depth=1
	s_or_b32 exec_lo, exec_lo, s15
	s_mov_b32 s15, -1
	s_and_b32 vcc_lo, exec_lo, s61
	s_mov_b32 s70, -1
	s_cbranch_vccz .LBB8_151
; %bb.142:                              ;   in Loop: Header=BB8_5 Depth=1
	s_and_b32 vcc_lo, exec_lo, s68
	s_mov_b32 s14, -1
                                        ; implicit-def: $sgpr70
	s_cbranch_vccz .LBB8_148
; %bb.143:                              ;   in Loop: Header=BB8_5 Depth=1
	s_and_b32 vcc_lo, exec_lo, s67
                                        ; implicit-def: $sgpr70
	s_cbranch_vccz .LBB8_145
; %bb.144:                              ;   in Loop: Header=BB8_5 Depth=1
	v_cmp_ge_f32_e64 s70, s52, v20
	s_mov_b32 s14, 0
.LBB8_145:                              ;   in Loop: Header=BB8_5 Depth=1
	s_andn2_b32 vcc_lo, exec_lo, s14
	s_cbranch_vccnz .LBB8_147
; %bb.146:                              ;   in Loop: Header=BB8_5 Depth=1
	v_cmp_ge_f32_e32 vcc_lo, s52, v22
	s_andn2_b32 s14, s70, exec_lo
	s_and_b32 s70, vcc_lo, exec_lo
	s_or_b32 s70, s14, s70
.LBB8_147:                              ;   in Loop: Header=BB8_5 Depth=1
	s_mov_b32 s14, 0
.LBB8_148:                              ;   in Loop: Header=BB8_5 Depth=1
	s_andn2_b32 vcc_lo, exec_lo, s14
	s_cbranch_vccnz .LBB8_150
; %bb.149:                              ;   in Loop: Header=BB8_5 Depth=1
	v_cmp_ge_f32_e32 vcc_lo, s52, v22
	v_cmp_ge_f32_e64 s14, s52, v20
	s_andn2_b32 s70, s70, exec_lo
	s_and_b32 s14, vcc_lo, s14
	s_and_b32 s14, s14, exec_lo
	s_or_b32 s70, s70, s14
.LBB8_150:                              ;   in Loop: Header=BB8_5 Depth=1
	s_xor_b32 s70, s70, -1
.LBB8_151:                              ;   in Loop: Header=BB8_5 Depth=1
	v_mov_b32_e32 v1, s69
	s_and_saveexec_b32 s14, s70
	s_cbranch_execz .LBB8_4
; %bb.152:                              ;   in Loop: Header=BB8_5 Depth=1
	s_add_i32 s69, s69, 1
	v_mov_b32_e32 v1, s35
	s_cmp_eq_u32 s69, s35
	s_cselect_b32 s15, -1, 0
	s_orn2_b32 s15, s15, exec_lo
	s_branch .LBB8_4
.LBB8_153:
	s_or_b32 exec_lo, exec_lo, s34
	s_or_b32 exec_lo, exec_lo, s62
	s_andn2_b32 vcc_lo, exec_lo, s61
	s_cbranch_vccnz .LBB8_2
.LBB8_154:
	v_xor_b32_e32 v2, 1, v24
	s_mov_b32 s0, exec_lo
	v_cmp_gt_i32_e32 vcc_lo, 32, v2
	v_cndmask_b32_e32 v2, v24, v2, vcc_lo
	v_lshlrev_b32_e32 v2, 2, v2
	ds_bpermute_b32 v2, v2, v1
	v_cmpx_ne_u32_e32 0, v23
	s_cbranch_execz .LBB8_156
; %bb.155:
	v_lshlrev_b32_e32 v3, 2, v21
	s_waitcnt lgkmcnt(0)
	v_max_i32_e32 v1, v1, v2
	ds_write_b32 v3, v1 offset:2048
.LBB8_156:
	s_or_b32 exec_lo, exec_lo, s0
	s_mov_b32 s0, exec_lo
	s_waitcnt lgkmcnt(0)
	s_waitcnt_vscnt null, 0x0
	s_barrier
	buffer_gl0_inv
	v_cmpx_gt_u32_e32 0x100, v0
	s_cbranch_execz .LBB8_158
; %bb.157:
	ds_read2st64_b32 v[1:2], v19 offset0:8 offset1:12
	s_waitcnt lgkmcnt(0)
	v_max_i32_e32 v1, v1, v2
	ds_write_b32 v19, v1 offset:2048
.LBB8_158:
	s_or_b32 exec_lo, exec_lo, s0
	s_mov_b32 s0, exec_lo
	s_waitcnt lgkmcnt(0)
	s_barrier
	buffer_gl0_inv
	v_cmpx_gt_u32_e32 0x80, v0
	s_cbranch_execz .LBB8_160
; %bb.159:
	ds_read2st64_b32 v[1:2], v19 offset0:8 offset1:10
	s_waitcnt lgkmcnt(0)
	v_max_i32_e32 v1, v1, v2
	ds_write_b32 v19, v1 offset:2048
.LBB8_160:
	s_or_b32 exec_lo, exec_lo, s0
	s_mov_b32 s0, exec_lo
	s_waitcnt lgkmcnt(0)
	;; [unrolled: 13-line block ×3, first 2 shown]
	s_barrier
	buffer_gl0_inv
	v_cmpx_gt_u32_e32 32, v0
	s_cbranch_execz .LBB8_164
; %bb.163:
	v_add_nc_u32_e32 v1, 0x800, v19
	ds_read2_b32 v[1:2], v1 offset1:32
	s_waitcnt lgkmcnt(0)
	v_max_i32_e32 v1, v1, v2
	ds_write_b32 v19, v1 offset:2048
.LBB8_164:
	s_or_b32 exec_lo, exec_lo, s0
	s_mov_b32 s0, exec_lo
	s_waitcnt lgkmcnt(0)
	s_barrier
	buffer_gl0_inv
	v_cmpx_gt_u32_e32 16, v0
	s_cbranch_execz .LBB8_166
; %bb.165:
	v_add_nc_u32_e32 v1, 0x800, v19
	ds_read2_b32 v[1:2], v1 offset1:16
	s_waitcnt lgkmcnt(0)
	v_max_i32_e32 v1, v1, v2
	ds_write_b32 v19, v1 offset:2048
.LBB8_166:
	s_or_b32 exec_lo, exec_lo, s0
	s_mov_b32 s0, exec_lo
	s_waitcnt lgkmcnt(0)
	;; [unrolled: 14-line block ×4, first 2 shown]
	s_barrier
	buffer_gl0_inv
	v_cmpx_gt_u32_e32 2, v0
	s_cbranch_execz .LBB8_172
; %bb.171:
	v_add_nc_u32_e32 v1, 0x800, v19
	ds_read2_b32 v[1:2], v1 offset1:2
	s_waitcnt lgkmcnt(0)
	v_max_i32_e32 v1, v1, v2
	ds_write_b32 v19, v1 offset:2048
.LBB8_172:
	s_or_b32 exec_lo, exec_lo, s0
	v_cmp_eq_u32_e32 vcc_lo, 0, v0
	s_waitcnt lgkmcnt(0)
	s_barrier
	buffer_gl0_inv
	s_and_saveexec_b32 s0, vcc_lo
	s_cbranch_execz .LBB8_174
; %bb.173:
	v_mov_b32_e32 v3, 0
	ds_read_b64 v[1:2], v3 offset:2048
	s_waitcnt lgkmcnt(0)
	v_max_i32_e32 v1, v1, v2
	ds_write_b32 v3, v1 offset:2048
.LBB8_174:
	s_or_b32 exec_lo, exec_lo, s0
	s_waitcnt lgkmcnt(0)
	s_barrier
	buffer_gl0_inv
	s_and_saveexec_b32 s0, vcc_lo
	s_cbranch_execz .LBB8_177
; %bb.175:
	v_mbcnt_lo_u32_b32 v1, exec_lo, 0
	v_cmp_eq_u32_e32 vcc_lo, 0, v1
	s_and_b32 exec_lo, exec_lo, vcc_lo
	s_cbranch_execz .LBB8_177
; %bb.176:
	v_mov_b32_e32 v1, 0
	s_load_dwordx2 s[2:3], s[4:5], 0x8
	ds_read_b32 v2, v1 offset:2048
	s_waitcnt lgkmcnt(0)
	v_add_nc_u32_e32 v2, 1, v2
	global_atomic_smax v1, v2, s[2:3]
.LBB8_177:
	s_or_b32 exec_lo, exec_lo, s0
	v_cmp_eq_u32_e32 vcc_lo, 0, v0
	s_and_b32 s0, vcc_lo, s60
	s_and_saveexec_b32 s1, s0
	s_cbranch_execz .LBB8_184
.LBB8_178:
	v_mov_b32_e32 v0, 0x7fc00000
	s_mov_b32 s0, exec_lo
.LBB8_179:                              ; =>This Inner Loop Header: Depth=1
	s_ff1_i32_b32 s2, s0
	v_max_f32_e32 v0, v0, v0
	v_readlane_b32 s3, v22, s2
	s_lshl_b32 s2, 1, s2
	s_andn2_b32 s0, s0, s2
	s_cmp_lg_u32 s0, 0
	v_max_f32_e64 v1, s3, s3
	v_max_f32_e32 v0, v0, v1
	s_cbranch_scc1 .LBB8_179
; %bb.180:
	v_mbcnt_lo_u32_b32 v1, exec_lo, 0
	s_mov_b32 s2, 0
	s_mov_b32 s3, exec_lo
	v_cmpx_eq_u32_e32 0, v1
	s_xor_b32 s3, exec_lo, s3
	s_cbranch_execz .LBB8_184
; %bb.181:
	v_mov_b32_e32 v2, 0
	v_max_f32_e32 v3, v0, v0
	global_load_dword v1, v2, s[44:45]
.LBB8_182:                              ; =>This Inner Loop Header: Depth=1
	s_waitcnt vmcnt(0)
	v_max_f32_e32 v0, v1, v1
	v_max_f32_e32 v0, v0, v3
	global_atomic_cmpswap v0, v2, v[0:1], s[44:45] glc
	s_waitcnt vmcnt(0)
	v_cmp_eq_u32_e64 s0, v0, v1
	v_mov_b32_e32 v1, v0
	s_or_b32 s2, s0, s2
	s_andn2_b32 exec_lo, exec_lo, s2
	s_cbranch_execnz .LBB8_182
; %bb.183:
	s_or_b32 exec_lo, exec_lo, s2
.LBB8_184:
	s_or_b32 exec_lo, exec_lo, s1
	s_and_b32 s0, vcc_lo, s33
	s_and_saveexec_b32 s1, s0
	s_cbranch_execz .LBB8_190
; %bb.185:
	v_mov_b32_e32 v0, 0x7fc00000
	s_mov_b32 s0, exec_lo
.LBB8_186:                              ; =>This Inner Loop Header: Depth=1
	s_ff1_i32_b32 s1, s0
	v_max_f32_e32 v0, v0, v0
	v_readlane_b32 s2, v20, s1
	s_lshl_b32 s1, 1, s1
	s_andn2_b32 s0, s0, s1
	s_cmp_lg_u32 s0, 0
	v_max_f32_e64 v1, s2, s2
	v_max_f32_e32 v0, v0, v1
	s_cbranch_scc1 .LBB8_186
; %bb.187:
	v_mbcnt_lo_u32_b32 v1, exec_lo, 0
	s_mov_b32 s0, 0
	s_mov_b32 s1, exec_lo
	v_cmpx_eq_u32_e32 0, v1
	s_xor_b32 s1, exec_lo, s1
	s_cbranch_execz .LBB8_190
; %bb.188:
	v_mov_b32_e32 v2, 0
	v_max_f32_e32 v3, v0, v0
	global_load_dword v1, v2, s[46:47]
.LBB8_189:                              ; =>This Inner Loop Header: Depth=1
	s_waitcnt vmcnt(0)
	v_max_f32_e32 v0, v1, v1
	v_max_f32_e32 v0, v0, v3
	global_atomic_cmpswap v0, v2, v[0:1], s[46:47] glc
	s_waitcnt vmcnt(0)
	v_cmp_eq_u32_e32 vcc_lo, v0, v1
	v_mov_b32_e32 v1, v0
	s_or_b32 s0, vcc_lo, s0
	s_andn2_b32 exec_lo, exec_lo, s0
	s_cbranch_execnz .LBB8_189
.LBB8_190:
	s_endpgm
	.section	.rodata,"a",@progbits
	.p2align	6, 0x0
	.amdhsa_kernel _ZN9rocsparseL6kernelILi1024ELi2EfiiEEvbbbT3_PS1_NS_15floating_traitsIT1_E6data_tES1_T2_PKS7_S9_PKS1_PKS4_21rocsparse_index_base_S9_S9_SB_PS4_SF_SE_S9_S9_SB_SF_SF_SE_SF_SF_PS6_SG_PKS6_
		.amdhsa_group_segment_fixed_size 4096
		.amdhsa_private_segment_fixed_size 0
		.amdhsa_kernarg_size 208
		.amdhsa_user_sgpr_count 6
		.amdhsa_user_sgpr_private_segment_buffer 1
		.amdhsa_user_sgpr_dispatch_ptr 0
		.amdhsa_user_sgpr_queue_ptr 0
		.amdhsa_user_sgpr_kernarg_segment_ptr 1
		.amdhsa_user_sgpr_dispatch_id 0
		.amdhsa_user_sgpr_flat_scratch_init 0
		.amdhsa_user_sgpr_private_segment_size 0
		.amdhsa_wavefront_size32 1
		.amdhsa_uses_dynamic_stack 0
		.amdhsa_system_sgpr_private_segment_wavefront_offset 0
		.amdhsa_system_sgpr_workgroup_id_x 1
		.amdhsa_system_sgpr_workgroup_id_y 0
		.amdhsa_system_sgpr_workgroup_id_z 0
		.amdhsa_system_sgpr_workgroup_info 0
		.amdhsa_system_vgpr_workitem_id 0
		.amdhsa_next_free_vgpr 45
		.amdhsa_next_free_sgpr 84
		.amdhsa_reserve_vcc 1
		.amdhsa_reserve_flat_scratch 0
		.amdhsa_float_round_mode_32 0
		.amdhsa_float_round_mode_16_64 0
		.amdhsa_float_denorm_mode_32 3
		.amdhsa_float_denorm_mode_16_64 3
		.amdhsa_dx10_clamp 1
		.amdhsa_ieee_mode 1
		.amdhsa_fp16_overflow 0
		.amdhsa_workgroup_processor_mode 1
		.amdhsa_memory_ordered 1
		.amdhsa_forward_progress 1
		.amdhsa_shared_vgpr_count 0
		.amdhsa_exception_fp_ieee_invalid_op 0
		.amdhsa_exception_fp_denorm_src 0
		.amdhsa_exception_fp_ieee_div_zero 0
		.amdhsa_exception_fp_ieee_overflow 0
		.amdhsa_exception_fp_ieee_underflow 0
		.amdhsa_exception_fp_ieee_inexact 0
		.amdhsa_exception_int_div_zero 0
	.end_amdhsa_kernel
	.section	.text._ZN9rocsparseL6kernelILi1024ELi2EfiiEEvbbbT3_PS1_NS_15floating_traitsIT1_E6data_tES1_T2_PKS7_S9_PKS1_PKS4_21rocsparse_index_base_S9_S9_SB_PS4_SF_SE_S9_S9_SB_SF_SF_SE_SF_SF_PS6_SG_PKS6_,"axG",@progbits,_ZN9rocsparseL6kernelILi1024ELi2EfiiEEvbbbT3_PS1_NS_15floating_traitsIT1_E6data_tES1_T2_PKS7_S9_PKS1_PKS4_21rocsparse_index_base_S9_S9_SB_PS4_SF_SE_S9_S9_SB_SF_SF_SE_SF_SF_PS6_SG_PKS6_,comdat
.Lfunc_end8:
	.size	_ZN9rocsparseL6kernelILi1024ELi2EfiiEEvbbbT3_PS1_NS_15floating_traitsIT1_E6data_tES1_T2_PKS7_S9_PKS1_PKS4_21rocsparse_index_base_S9_S9_SB_PS4_SF_SE_S9_S9_SB_SF_SF_SE_SF_SF_PS6_SG_PKS6_, .Lfunc_end8-_ZN9rocsparseL6kernelILi1024ELi2EfiiEEvbbbT3_PS1_NS_15floating_traitsIT1_E6data_tES1_T2_PKS7_S9_PKS1_PKS4_21rocsparse_index_base_S9_S9_SB_PS4_SF_SE_S9_S9_SB_SF_SF_SE_SF_SF_PS6_SG_PKS6_
                                        ; -- End function
	.set _ZN9rocsparseL6kernelILi1024ELi2EfiiEEvbbbT3_PS1_NS_15floating_traitsIT1_E6data_tES1_T2_PKS7_S9_PKS1_PKS4_21rocsparse_index_base_S9_S9_SB_PS4_SF_SE_S9_S9_SB_SF_SF_SE_SF_SF_PS6_SG_PKS6_.num_vgpr, 45
	.set _ZN9rocsparseL6kernelILi1024ELi2EfiiEEvbbbT3_PS1_NS_15floating_traitsIT1_E6data_tES1_T2_PKS7_S9_PKS1_PKS4_21rocsparse_index_base_S9_S9_SB_PS4_SF_SE_S9_S9_SB_SF_SF_SE_SF_SF_PS6_SG_PKS6_.num_agpr, 0
	.set _ZN9rocsparseL6kernelILi1024ELi2EfiiEEvbbbT3_PS1_NS_15floating_traitsIT1_E6data_tES1_T2_PKS7_S9_PKS1_PKS4_21rocsparse_index_base_S9_S9_SB_PS4_SF_SE_S9_S9_SB_SF_SF_SE_SF_SF_PS6_SG_PKS6_.numbered_sgpr, 84
	.set _ZN9rocsparseL6kernelILi1024ELi2EfiiEEvbbbT3_PS1_NS_15floating_traitsIT1_E6data_tES1_T2_PKS7_S9_PKS1_PKS4_21rocsparse_index_base_S9_S9_SB_PS4_SF_SE_S9_S9_SB_SF_SF_SE_SF_SF_PS6_SG_PKS6_.num_named_barrier, 0
	.set _ZN9rocsparseL6kernelILi1024ELi2EfiiEEvbbbT3_PS1_NS_15floating_traitsIT1_E6data_tES1_T2_PKS7_S9_PKS1_PKS4_21rocsparse_index_base_S9_S9_SB_PS4_SF_SE_S9_S9_SB_SF_SF_SE_SF_SF_PS6_SG_PKS6_.private_seg_size, 0
	.set _ZN9rocsparseL6kernelILi1024ELi2EfiiEEvbbbT3_PS1_NS_15floating_traitsIT1_E6data_tES1_T2_PKS7_S9_PKS1_PKS4_21rocsparse_index_base_S9_S9_SB_PS4_SF_SE_S9_S9_SB_SF_SF_SE_SF_SF_PS6_SG_PKS6_.uses_vcc, 1
	.set _ZN9rocsparseL6kernelILi1024ELi2EfiiEEvbbbT3_PS1_NS_15floating_traitsIT1_E6data_tES1_T2_PKS7_S9_PKS1_PKS4_21rocsparse_index_base_S9_S9_SB_PS4_SF_SE_S9_S9_SB_SF_SF_SE_SF_SF_PS6_SG_PKS6_.uses_flat_scratch, 0
	.set _ZN9rocsparseL6kernelILi1024ELi2EfiiEEvbbbT3_PS1_NS_15floating_traitsIT1_E6data_tES1_T2_PKS7_S9_PKS1_PKS4_21rocsparse_index_base_S9_S9_SB_PS4_SF_SE_S9_S9_SB_SF_SF_SE_SF_SF_PS6_SG_PKS6_.has_dyn_sized_stack, 0
	.set _ZN9rocsparseL6kernelILi1024ELi2EfiiEEvbbbT3_PS1_NS_15floating_traitsIT1_E6data_tES1_T2_PKS7_S9_PKS1_PKS4_21rocsparse_index_base_S9_S9_SB_PS4_SF_SE_S9_S9_SB_SF_SF_SE_SF_SF_PS6_SG_PKS6_.has_recursion, 0
	.set _ZN9rocsparseL6kernelILi1024ELi2EfiiEEvbbbT3_PS1_NS_15floating_traitsIT1_E6data_tES1_T2_PKS7_S9_PKS1_PKS4_21rocsparse_index_base_S9_S9_SB_PS4_SF_SE_S9_S9_SB_SF_SF_SE_SF_SF_PS6_SG_PKS6_.has_indirect_call, 0
	.section	.AMDGPU.csdata,"",@progbits
; Kernel info:
; codeLenInByte = 6084
; TotalNumSgprs: 86
; NumVgprs: 45
; ScratchSize: 0
; MemoryBound: 0
; FloatMode: 240
; IeeeMode: 1
; LDSByteSize: 4096 bytes/workgroup (compile time only)
; SGPRBlocks: 0
; VGPRBlocks: 5
; NumSGPRsForWavesPerEU: 86
; NumVGPRsForWavesPerEU: 45
; Occupancy: 16
; WaveLimiterHint : 1
; COMPUTE_PGM_RSRC2:SCRATCH_EN: 0
; COMPUTE_PGM_RSRC2:USER_SGPR: 6
; COMPUTE_PGM_RSRC2:TRAP_HANDLER: 0
; COMPUTE_PGM_RSRC2:TGID_X_EN: 1
; COMPUTE_PGM_RSRC2:TGID_Y_EN: 0
; COMPUTE_PGM_RSRC2:TGID_Z_EN: 0
; COMPUTE_PGM_RSRC2:TIDIG_COMP_CNT: 0
	.section	.text._ZN9rocsparseL6kernelILi1024ELi4EfiiEEvbbbT3_PS1_NS_15floating_traitsIT1_E6data_tES1_T2_PKS7_S9_PKS1_PKS4_21rocsparse_index_base_S9_S9_SB_PS4_SF_SE_S9_S9_SB_SF_SF_SE_SF_SF_PS6_SG_PKS6_,"axG",@progbits,_ZN9rocsparseL6kernelILi1024ELi4EfiiEEvbbbT3_PS1_NS_15floating_traitsIT1_E6data_tES1_T2_PKS7_S9_PKS1_PKS4_21rocsparse_index_base_S9_S9_SB_PS4_SF_SE_S9_S9_SB_SF_SF_SE_SF_SF_PS6_SG_PKS6_,comdat
	.globl	_ZN9rocsparseL6kernelILi1024ELi4EfiiEEvbbbT3_PS1_NS_15floating_traitsIT1_E6data_tES1_T2_PKS7_S9_PKS1_PKS4_21rocsparse_index_base_S9_S9_SB_PS4_SF_SE_S9_S9_SB_SF_SF_SE_SF_SF_PS6_SG_PKS6_ ; -- Begin function _ZN9rocsparseL6kernelILi1024ELi4EfiiEEvbbbT3_PS1_NS_15floating_traitsIT1_E6data_tES1_T2_PKS7_S9_PKS1_PKS4_21rocsparse_index_base_S9_S9_SB_PS4_SF_SE_S9_S9_SB_SF_SF_SE_SF_SF_PS6_SG_PKS6_
	.p2align	8
	.type	_ZN9rocsparseL6kernelILi1024ELi4EfiiEEvbbbT3_PS1_NS_15floating_traitsIT1_E6data_tES1_T2_PKS7_S9_PKS1_PKS4_21rocsparse_index_base_S9_S9_SB_PS4_SF_SE_S9_S9_SB_SF_SF_SE_SF_SF_PS6_SG_PKS6_,@function
_ZN9rocsparseL6kernelILi1024ELi4EfiiEEvbbbT3_PS1_NS_15floating_traitsIT1_E6data_tES1_T2_PKS7_S9_PKS1_PKS4_21rocsparse_index_base_S9_S9_SB_PS4_SF_SE_S9_S9_SB_SF_SF_SE_SF_SF_PS6_SG_PKS6_: ; @_ZN9rocsparseL6kernelILi1024ELi4EfiiEEvbbbT3_PS1_NS_15floating_traitsIT1_E6data_tES1_T2_PKS7_S9_PKS1_PKS4_21rocsparse_index_base_S9_S9_SB_PS4_SF_SE_S9_S9_SB_SF_SF_SE_SF_SF_PS6_SG_PKS6_
; %bb.0:
	s_clause 0x3
	s_load_dword s0, s[4:5], 0x0
	s_load_dwordx2 s[14:15], s[4:5], 0x0
	s_load_dwordx2 s[34:35], s[4:5], 0x10
	s_load_dwordx4 s[44:47], s[4:5], 0xb8
	v_lshrrev_b32_e32 v21, 2, v0
	v_mov_b32_e32 v20, 0
	v_lshlrev_b32_e32 v19, 2, v0
	v_and_b32_e32 v22, 3, v0
	v_mbcnt_lo_u32_b32 v24, -1, 0
	v_mov_b32_e32 v23, 0
	v_mov_b32_e32 v1, 0
	s_mov_b32 s60, 0
	ds_write_b32 v19, v20
	s_waitcnt lgkmcnt(0)
	s_barrier
	buffer_gl0_inv
	s_bitcmp1_b32 s0, 0
	s_cselect_b32 s59, -1, 0
	s_bitcmp1_b32 s0, 8
	s_cselect_b32 s58, -1, 0
	;; [unrolled: 2-line block ×3, first 2 shown]
	s_lshl_b32 s65, s6, 10
	s_cmp_gt_i32 s15, 0
	v_or_b32_e32 v25, s65, v21
	s_cselect_b32 s0, -1, 0
	v_cmp_gt_i32_e32 vcc_lo, s35, v25
	s_and_b32 s0, s0, vcc_lo
	s_and_saveexec_b32 s61, s0
	s_cbranch_execnz .LBB9_3
; %bb.1:
	s_or_b32 exec_lo, exec_lo, s61
	s_andn2_b32 vcc_lo, exec_lo, s59
	s_cbranch_vccz .LBB9_150
.LBB9_2:
	v_cmp_eq_u32_e32 vcc_lo, 0, v0
	s_and_b32 s0, vcc_lo, s58
	s_and_saveexec_b32 s1, s0
	s_cbranch_execnz .LBB9_172
	s_branch .LBB9_178
.LBB9_3:
	s_clause 0x9
	s_load_dword s62, s[4:5], 0x40
	s_load_dwordx2 s[52:53], s[4:5], 0x68
	s_load_dword s63, s[4:5], 0x70
	s_load_dwordx2 s[54:55], s[4:5], 0x98
	;; [unrolled: 2-line block ×3, first 2 shown]
	s_load_dwordx4 s[48:51], s[4:5], 0xa8
	s_load_dwordx8 s[16:23], s[4:5], 0x78
	s_load_dwordx8 s[24:31], s[4:5], 0x48
	;; [unrolled: 1-line block ×3, first 2 shown]
	s_addk_i32 s65, 0x400
	v_cmp_eq_u32_e64 s0, 3, v22
	v_lshlrev_b32_e32 v26, 2, v21
	v_cmp_gt_u32_e64 s1, 0x80, v0
	v_cmp_gt_u32_e64 s2, 64, v0
	;; [unrolled: 1-line block ×7, first 2 shown]
	s_waitcnt lgkmcnt(0)
	v_subrev_nc_u32_e32 v27, s62, v22
	v_cmp_gt_u32_e64 s10, 2, v0
	v_cmp_eq_u32_e64 s11, 0, v0
	v_subrev_nc_u32_e32 v28, s63, v22
	v_subrev_nc_u32_e32 v29, s64, v22
	v_cmp_eq_u32_e64 s12, 0, v22
	v_mov_b32_e32 v2, 0
	v_mov_b32_e32 v23, 0
	;; [unrolled: 1-line block ×3, first 2 shown]
	s_and_b32 s13, s58, s33
	s_xor_b32 s66, s58, -1
	s_xor_b32 s67, s13, -1
	s_mov_b32 s68, 0
	s_branch .LBB9_5
.LBB9_4:                                ;   in Loop: Header=BB9_5 Depth=1
	s_or_b32 exec_lo, exec_lo, s13
	s_and_b32 s13, exec_lo, s14
	s_or_b32 s60, s13, s60
	s_andn2_b32 exec_lo, exec_lo, s60
	s_cbranch_execz .LBB9_149
.LBB9_5:                                ; =>This Loop Header: Depth=1
                                        ;     Child Loop BB9_9 Depth 2
                                        ;       Child Loop BB9_14 Depth 3
                                        ;         Child Loop BB9_18 Depth 4
                                        ;         Child Loop BB9_39 Depth 4
	;; [unrolled: 1-line block ×5, first 2 shown]
                                        ;     Child Loop BB9_128 Depth 2
                                        ;       Child Loop BB9_131 Depth 3
                                        ;       Child Loop BB9_134 Depth 3
	v_cndmask_b32_e64 v23, v23, 0, s58
	v_cndmask_b32_e64 v20, v20, 0, s33
	s_mov_b32 s69, 0
	s_branch .LBB9_9
.LBB9_6:                                ;   in Loop: Header=BB9_9 Depth=2
	s_or_b32 exec_lo, exec_lo, s72
.LBB9_7:                                ;   in Loop: Header=BB9_9 Depth=2
	s_or_b32 exec_lo, exec_lo, s71
.LBB9_8:                                ;   in Loop: Header=BB9_9 Depth=2
	s_or_b32 exec_lo, exec_lo, s70
	s_add_i32 s69, s69, 1
	s_cmp_eq_u32 s69, 4
	s_cbranch_scc1 .LBB9_85
.LBB9_9:                                ;   Parent Loop BB9_5 Depth=1
                                        ; =>  This Loop Header: Depth=2
                                        ;       Child Loop BB9_14 Depth 3
                                        ;         Child Loop BB9_18 Depth 4
                                        ;         Child Loop BB9_39 Depth 4
	;; [unrolled: 1-line block ×5, first 2 shown]
	v_lshl_add_u32 v3, s69, 8, v25
	s_mov_b32 s70, exec_lo
	v_cmpx_gt_i32_e64 s35, v3
	s_cbranch_execz .LBB9_8
; %bb.10:                               ;   in Loop: Header=BB9_9 Depth=2
	v_ashrrev_i32_e32 v4, 31, v3
	s_mov_b32 s71, exec_lo
	v_lshlrev_b64 v[5:6], 2, v[3:4]
	v_add_co_u32 v7, vcc_lo, s36, v5
	v_add_co_ci_u32_e64 v8, null, s37, v6, vcc_lo
	v_add_co_u32 v9, vcc_lo, s38, v5
	v_add_co_ci_u32_e64 v10, null, s39, v6, vcc_lo
	global_load_dword v1, v[7:8], off
	global_load_dword v7, v[9:10], off
	s_waitcnt vmcnt(1)
	v_add_nc_u32_e32 v4, v27, v1
	s_waitcnt vmcnt(0)
	v_subrev_nc_u32_e32 v30, s62, v7
	v_cmpx_lt_i32_e64 v4, v30
	s_cbranch_execz .LBB9_7
; %bb.11:                               ;   in Loop: Header=BB9_9 Depth=2
	v_add_co_u32 v7, vcc_lo, s24, v5
	v_add_co_ci_u32_e64 v8, null, s25, v6, vcc_lo
	v_add_co_u32 v5, vcc_lo, s26, v5
	v_add_co_ci_u32_e64 v6, null, s27, v6, vcc_lo
	global_load_dword v1, v[7:8], off
	s_mov_b32 s72, 0
	global_load_dword v5, v[5:6], off
	s_waitcnt vmcnt(1)
	v_subrev_nc_u32_e32 v6, s63, v1
	s_waitcnt vmcnt(0)
	v_sub_nc_u32_e32 v31, v5, v1
	v_ashrrev_i32_e32 v7, 31, v6
	v_cmp_lt_i32_e64 s13, 0, v31
	v_lshlrev_b64 v[7:8], 2, v[6:7]
	v_add_co_u32 v32, vcc_lo, s28, v7
	v_add_co_ci_u32_e64 v33, null, s29, v8, vcc_lo
	v_add_co_u32 v34, vcc_lo, s30, v7
	v_add_co_ci_u32_e64 v35, null, s31, v8, vcc_lo
	s_branch .LBB9_14
.LBB9_12:                               ;   in Loop: Header=BB9_14 Depth=3
	s_or_b32 exec_lo, exec_lo, s73
.LBB9_13:                               ;   in Loop: Header=BB9_14 Depth=3
	s_or_b32 exec_lo, exec_lo, s14
	v_add_nc_u32_e32 v4, 4, v4
	v_cmp_ge_i32_e32 vcc_lo, v4, v30
	s_or_b32 s72, vcc_lo, s72
	s_andn2_b32 exec_lo, exec_lo, s72
	s_cbranch_execz .LBB9_6
.LBB9_14:                               ;   Parent Loop BB9_5 Depth=1
                                        ;     Parent Loop BB9_9 Depth=2
                                        ; =>    This Loop Header: Depth=3
                                        ;         Child Loop BB9_18 Depth 4
                                        ;         Child Loop BB9_39 Depth 4
	;; [unrolled: 1-line block ×5, first 2 shown]
	v_ashrrev_i32_e32 v5, 31, v4
	v_lshlrev_b64 v[13:14], 2, v[4:5]
	v_mov_b32_e32 v5, 0
	v_add_co_u32 v7, vcc_lo, s40, v13
	v_add_co_ci_u32_e64 v8, null, s41, v14, vcc_lo
	global_load_dword v1, v[7:8], off
	s_waitcnt vmcnt(0)
	v_subrev_nc_u32_e32 v9, s62, v1
	v_ashrrev_i32_e32 v10, 31, v9
	v_lshlrev_b64 v[7:8], 2, v[9:10]
	v_add_co_u32 v10, vcc_lo, s16, v7
	v_add_co_ci_u32_e64 v11, null, s17, v8, vcc_lo
	v_add_co_u32 v15, vcc_lo, s18, v7
	v_add_co_ci_u32_e64 v16, null, s19, v8, vcc_lo
	global_load_dword v1, v[10:11], off
	global_load_dword v12, v[15:16], off
	v_mov_b32_e32 v11, 0
	s_waitcnt vmcnt(1)
	v_subrev_nc_u32_e32 v10, s64, v1
	s_waitcnt vmcnt(0)
	v_sub_nc_u32_e32 v36, v12, v1
	v_mov_b32_e32 v1, v11
	s_and_saveexec_b32 s73, s13
	s_cbranch_execz .LBB9_22
; %bb.15:                               ;   in Loop: Header=BB9_14 Depth=3
	v_ashrrev_i32_e32 v11, 31, v10
	v_mov_b32_e32 v5, 0
	v_mov_b32_e32 v1, 0
	s_mov_b32 s74, 0
                                        ; implicit-def: $sgpr75
	v_lshlrev_b64 v[11:12], 2, v[10:11]
	v_add_co_u32 v37, vcc_lo, s20, v11
	v_add_co_ci_u32_e64 v38, null, s21, v12, vcc_lo
	v_add_co_u32 v39, vcc_lo, s22, v11
	v_add_co_ci_u32_e64 v40, null, s23, v12, vcc_lo
	v_mov_b32_e32 v11, 0
	s_branch .LBB9_18
.LBB9_16:                               ;   in Loop: Header=BB9_18 Depth=4
	s_or_b32 exec_lo, exec_lo, s14
	v_cmp_le_i32_e32 vcc_lo, v12, v41
	v_cmp_ge_i32_e64 s14, v12, v41
	v_add_co_ci_u32_e64 v1, null, 0, v1, vcc_lo
	v_add_co_ci_u32_e64 v11, null, 0, v11, s14
	s_andn2_b32 s14, s75, exec_lo
	v_cmp_ge_i32_e32 vcc_lo, v1, v31
	s_and_b32 s75, vcc_lo, exec_lo
	s_or_b32 s75, s14, s75
.LBB9_17:                               ;   in Loop: Header=BB9_18 Depth=4
	s_or_b32 exec_lo, exec_lo, s76
	s_and_b32 s14, exec_lo, s75
	s_or_b32 s74, s14, s74
	s_andn2_b32 exec_lo, exec_lo, s74
	s_cbranch_execz .LBB9_21
.LBB9_18:                               ;   Parent Loop BB9_5 Depth=1
                                        ;     Parent Loop BB9_9 Depth=2
                                        ;       Parent Loop BB9_14 Depth=3
                                        ; =>      This Inner Loop Header: Depth=4
	s_or_b32 s75, s75, exec_lo
	s_mov_b32 s76, exec_lo
	v_cmpx_lt_i32_e64 v11, v36
	s_cbranch_execz .LBB9_17
; %bb.19:                               ;   in Loop: Header=BB9_18 Depth=4
	v_mov_b32_e32 v12, v2
	v_lshlrev_b64 v[17:18], 2, v[1:2]
	s_mov_b32 s14, exec_lo
	v_lshlrev_b64 v[15:16], 2, v[11:12]
	v_add_co_u32 v41, vcc_lo, v32, v17
	v_add_co_ci_u32_e64 v42, null, v33, v18, vcc_lo
	v_add_co_u32 v43, vcc_lo, v37, v15
	v_add_co_ci_u32_e64 v44, null, v38, v16, vcc_lo
	global_load_dword v12, v[41:42], off
	global_load_dword v41, v[43:44], off
	s_waitcnt vmcnt(1)
	v_subrev_nc_u32_e32 v12, s63, v12
	s_waitcnt vmcnt(0)
	v_subrev_nc_u32_e32 v41, s64, v41
	v_cmpx_eq_u32_e64 v12, v41
	s_cbranch_execz .LBB9_16
; %bb.20:                               ;   in Loop: Header=BB9_18 Depth=4
	v_add_co_u32 v17, vcc_lo, v34, v17
	v_add_co_ci_u32_e64 v18, null, v35, v18, vcc_lo
	v_add_co_u32 v15, vcc_lo, v39, v15
	v_add_co_ci_u32_e64 v16, null, v40, v16, vcc_lo
	global_load_dword v17, v[17:18], off
	global_load_dword v15, v[15:16], off
	s_waitcnt vmcnt(0)
	v_fmac_f32_e32 v5, v17, v15
	s_branch .LBB9_16
.LBB9_21:                               ;   in Loop: Header=BB9_14 Depth=3
	s_or_b32 exec_lo, exec_lo, s74
.LBB9_22:                               ;   in Loop: Header=BB9_14 Depth=3
	s_or_b32 exec_lo, exec_lo, s73
	v_add_co_u32 v12, vcc_lo, s42, v13
	v_add_co_ci_u32_e64 v13, null, s43, v14, vcc_lo
	v_cmp_le_i32_e64 s14, v3, v9
	s_mov_b32 s73, exec_lo
	global_load_dword v14, v[12:13], off
	s_waitcnt vmcnt(0)
	v_sub_f32_e32 v15, v14, v5
	v_cmpx_gt_i32_e64 v3, v9
	s_cbranch_execnz .LBB9_25
; %bb.23:                               ;   in Loop: Header=BB9_14 Depth=3
	s_or_b32 exec_lo, exec_lo, s73
	v_cmp_class_f32_e64 s73, v15, 0x1f8
	s_and_saveexec_b32 s74, s73
	s_cbranch_execnz .LBB9_28
.LBB9_24:                               ;   in Loop: Header=BB9_14 Depth=3
	s_or_b32 exec_lo, exec_lo, s74
	s_and_b32 s73, s33, s73
	s_and_saveexec_b32 s14, s73
	s_cbranch_execz .LBB9_13
	s_branch .LBB9_63
.LBB9_25:                               ;   in Loop: Header=BB9_14 Depth=3
	v_add_co_u32 v12, vcc_lo, s48, v7
	v_add_co_ci_u32_e64 v13, null, s49, v8, vcc_lo
	s_mov_b32 s74, exec_lo
	global_load_dword v12, v[12:13], off
	v_mov_b32_e32 v13, 0
	s_waitcnt vmcnt(0)
	v_cmpx_lg_f32_e32 0, v12
	s_cbranch_execz .LBB9_27
; %bb.26:                               ;   in Loop: Header=BB9_14 Depth=3
	v_div_scale_f32 v13, null, v12, v12, v15
	v_rcp_f32_e32 v16, v13
	v_fma_f32 v17, -v13, v16, 1.0
	v_fmac_f32_e32 v16, v17, v16
	v_div_scale_f32 v17, vcc_lo, v15, v12, v15
	v_mul_f32_e32 v18, v17, v16
	v_fma_f32 v37, -v13, v18, v17
	v_fmac_f32_e32 v18, v37, v16
	v_fma_f32 v13, -v13, v18, v17
	v_div_fmas_f32 v13, v13, v16, v18
	v_div_fixup_f32 v13, v13, v12, v15
.LBB9_27:                               ;   in Loop: Header=BB9_14 Depth=3
	s_or_b32 exec_lo, exec_lo, s74
	v_mov_b32_e32 v15, v13
	s_or_b32 exec_lo, exec_lo, s73
	v_cmp_class_f32_e64 s73, v15, 0x1f8
	s_and_saveexec_b32 s74, s73
	s_cbranch_execz .LBB9_24
.LBB9_28:                               ;   in Loop: Header=BB9_14 Depth=3
	s_and_saveexec_b32 s75, s14
	s_xor_b32 s14, exec_lo, s75
	s_cbranch_execz .LBB9_49
; %bb.29:                               ;   in Loop: Header=BB9_14 Depth=3
	s_mov_b32 s75, exec_lo
	v_cmpx_ge_i32_e64 v3, v9
	s_xor_b32 s75, exec_lo, s75
	s_cbranch_execz .LBB9_35
; %bb.30:                               ;   in Loop: Header=BB9_14 Depth=3
	v_add_co_u32 v12, vcc_lo, s50, v7
	v_add_co_ci_u32_e64 v13, null, s51, v8, vcc_lo
	s_andn2_b32 vcc_lo, exec_lo, s58
	global_store_dword v[12:13], v15, off
	s_cbranch_vccnz .LBB9_34
; %bb.31:                               ;   in Loop: Header=BB9_14 Depth=3
	v_add_co_u32 v12, vcc_lo, s48, v7
	v_add_co_ci_u32_e64 v13, null, s49, v8, vcc_lo
	global_load_dword v12, v[12:13], off
	s_waitcnt vmcnt(0)
	v_sub_f32_e32 v12, v12, v15
	v_cmp_class_f32_e64 s77, v12, 0x1f8
	s_and_saveexec_b32 s76, s77
; %bb.32:                               ;   in Loop: Header=BB9_14 Depth=3
	v_cmp_lt_f32_e64 s77, v23, |v12|
	v_cndmask_b32_e64 v23, v23, |v12|, s77
; %bb.33:                               ;   in Loop: Header=BB9_14 Depth=3
	s_or_b32 exec_lo, exec_lo, s76
.LBB9_34:                               ;   in Loop: Header=BB9_14 Depth=3
                                        ; implicit-def: $vgpr15
.LBB9_35:                               ;   in Loop: Header=BB9_14 Depth=3
	s_andn2_saveexec_b32 s75, s75
	s_cbranch_execz .LBB9_48
; %bb.36:                               ;   in Loop: Header=BB9_14 Depth=3
	s_mov_b32 s76, exec_lo
	v_cmpx_lt_i32_e64 v11, v36
	s_cbranch_execz .LBB9_47
; %bb.37:                               ;   in Loop: Header=BB9_14 Depth=3
	v_mov_b32_e32 v16, v11
	s_mov_b32 s77, 0
                                        ; implicit-def: $sgpr78
                                        ; implicit-def: $sgpr80
                                        ; implicit-def: $sgpr79
	s_inst_prefetch 0x1
	s_branch .LBB9_39
	.p2align	6
.LBB9_38:                               ;   in Loop: Header=BB9_39 Depth=4
	s_or_b32 exec_lo, exec_lo, s81
	s_and_b32 s81, exec_lo, s80
	s_or_b32 s77, s81, s77
	s_andn2_b32 s78, s78, exec_lo
	s_and_b32 s81, s79, exec_lo
	s_or_b32 s78, s78, s81
	s_andn2_b32 exec_lo, exec_lo, s77
	s_cbranch_execz .LBB9_41
.LBB9_39:                               ;   Parent Loop BB9_5 Depth=1
                                        ;     Parent Loop BB9_9 Depth=2
                                        ;       Parent Loop BB9_14 Depth=3
                                        ; =>      This Inner Loop Header: Depth=4
	v_add_nc_u32_e32 v12, v10, v16
	s_or_b32 s79, s79, exec_lo
	s_or_b32 s80, s80, exec_lo
	s_mov_b32 s81, exec_lo
	v_ashrrev_i32_e32 v13, 31, v12
	v_lshlrev_b64 v[12:13], 2, v[12:13]
	v_add_co_u32 v17, vcc_lo, s20, v12
	v_add_co_ci_u32_e64 v18, null, s21, v13, vcc_lo
	global_load_dword v17, v[17:18], off
	s_waitcnt vmcnt(0)
	v_subrev_nc_u32_e32 v17, s64, v17
	v_cmpx_ne_u32_e64 v17, v3
	s_cbranch_execz .LBB9_38
; %bb.40:                               ;   in Loop: Header=BB9_39 Depth=4
	v_add_nc_u32_e32 v16, 1, v16
	s_andn2_b32 s80, s80, exec_lo
	s_andn2_b32 s79, s79, exec_lo
	v_cmp_ge_i32_e32 vcc_lo, v16, v36
	s_and_b32 s82, vcc_lo, exec_lo
	s_or_b32 s80, s80, s82
	s_branch .LBB9_38
.LBB9_41:                               ;   in Loop: Header=BB9_14 Depth=3
	s_inst_prefetch 0x2
	s_or_b32 exec_lo, exec_lo, s77
	s_and_saveexec_b32 s77, s78
	s_xor_b32 s77, exec_lo, s77
	s_cbranch_execz .LBB9_46
; %bb.42:                               ;   in Loop: Header=BB9_14 Depth=3
	v_add_co_u32 v16, vcc_lo, s54, v12
	v_add_co_ci_u32_e64 v17, null, s55, v13, vcc_lo
	s_andn2_b32 vcc_lo, exec_lo, s58
	global_store_dword v[16:17], v15, off
	s_cbranch_vccnz .LBB9_46
; %bb.43:                               ;   in Loop: Header=BB9_14 Depth=3
	v_add_co_u32 v12, vcc_lo, s22, v12
	v_add_co_ci_u32_e64 v13, null, s23, v13, vcc_lo
	global_load_dword v12, v[12:13], off
	s_waitcnt vmcnt(0)
	v_sub_f32_e32 v12, v12, v15
	v_cmp_class_f32_e64 s79, v12, 0x1f8
	s_and_saveexec_b32 s78, s79
; %bb.44:                               ;   in Loop: Header=BB9_14 Depth=3
	v_cmp_lt_f32_e64 s79, v23, |v12|
	v_cndmask_b32_e64 v23, v23, |v12|, s79
; %bb.45:                               ;   in Loop: Header=BB9_14 Depth=3
	s_or_b32 exec_lo, exec_lo, s78
.LBB9_46:                               ;   in Loop: Header=BB9_14 Depth=3
	s_or_b32 exec_lo, exec_lo, s77
.LBB9_47:                               ;   in Loop: Header=BB9_14 Depth=3
	s_or_b32 exec_lo, exec_lo, s76
.LBB9_48:                               ;   in Loop: Header=BB9_14 Depth=3
	s_or_b32 exec_lo, exec_lo, s75
                                        ; implicit-def: $vgpr15
.LBB9_49:                               ;   in Loop: Header=BB9_14 Depth=3
	s_andn2_saveexec_b32 s14, s14
	s_cbranch_execz .LBB9_62
; %bb.50:                               ;   in Loop: Header=BB9_14 Depth=3
	s_mov_b32 s75, exec_lo
	v_cmpx_lt_i32_e64 v1, v31
	s_cbranch_execz .LBB9_61
; %bb.51:                               ;   in Loop: Header=BB9_14 Depth=3
	v_mov_b32_e32 v16, v1
	s_mov_b32 s76, 0
                                        ; implicit-def: $sgpr77
                                        ; implicit-def: $sgpr79
                                        ; implicit-def: $sgpr78
	s_inst_prefetch 0x1
	s_branch .LBB9_53
	.p2align	6
.LBB9_52:                               ;   in Loop: Header=BB9_53 Depth=4
	s_or_b32 exec_lo, exec_lo, s80
	s_and_b32 s80, exec_lo, s79
	s_or_b32 s76, s80, s76
	s_andn2_b32 s77, s77, exec_lo
	s_and_b32 s80, s78, exec_lo
	s_or_b32 s77, s77, s80
	s_andn2_b32 exec_lo, exec_lo, s76
	s_cbranch_execz .LBB9_55
.LBB9_53:                               ;   Parent Loop BB9_5 Depth=1
                                        ;     Parent Loop BB9_9 Depth=2
                                        ;       Parent Loop BB9_14 Depth=3
                                        ; =>      This Inner Loop Header: Depth=4
	v_add_nc_u32_e32 v12, v6, v16
	s_or_b32 s78, s78, exec_lo
	s_or_b32 s79, s79, exec_lo
	s_mov_b32 s80, exec_lo
	v_ashrrev_i32_e32 v13, 31, v12
	v_lshlrev_b64 v[12:13], 2, v[12:13]
	v_add_co_u32 v17, vcc_lo, s28, v12
	v_add_co_ci_u32_e64 v18, null, s29, v13, vcc_lo
	global_load_dword v17, v[17:18], off
	s_waitcnt vmcnt(0)
	v_subrev_nc_u32_e32 v17, s63, v17
	v_cmpx_ne_u32_e64 v17, v9
	s_cbranch_execz .LBB9_52
; %bb.54:                               ;   in Loop: Header=BB9_53 Depth=4
	v_add_nc_u32_e32 v16, 1, v16
	s_andn2_b32 s79, s79, exec_lo
	s_andn2_b32 s78, s78, exec_lo
	v_cmp_ge_i32_e32 vcc_lo, v16, v31
	s_and_b32 s81, vcc_lo, exec_lo
	s_or_b32 s79, s79, s81
	s_branch .LBB9_52
.LBB9_55:                               ;   in Loop: Header=BB9_14 Depth=3
	s_inst_prefetch 0x2
	s_or_b32 exec_lo, exec_lo, s76
	s_and_saveexec_b32 s76, s77
	s_xor_b32 s76, exec_lo, s76
	s_cbranch_execz .LBB9_60
; %bb.56:                               ;   in Loop: Header=BB9_14 Depth=3
	v_add_co_u32 v16, vcc_lo, s52, v12
	v_add_co_ci_u32_e64 v17, null, s53, v13, vcc_lo
	s_andn2_b32 vcc_lo, exec_lo, s58
	global_store_dword v[16:17], v15, off
	s_cbranch_vccnz .LBB9_60
; %bb.57:                               ;   in Loop: Header=BB9_14 Depth=3
	v_add_co_u32 v12, vcc_lo, s30, v12
	v_add_co_ci_u32_e64 v13, null, s31, v13, vcc_lo
	global_load_dword v12, v[12:13], off
	s_waitcnt vmcnt(0)
	v_sub_f32_e32 v12, v12, v15
	v_cmp_class_f32_e64 s78, v12, 0x1f8
	s_and_saveexec_b32 s77, s78
; %bb.58:                               ;   in Loop: Header=BB9_14 Depth=3
	v_cmp_lt_f32_e64 s78, v23, |v12|
	v_cndmask_b32_e64 v23, v23, |v12|, s78
; %bb.59:                               ;   in Loop: Header=BB9_14 Depth=3
	s_or_b32 exec_lo, exec_lo, s77
.LBB9_60:                               ;   in Loop: Header=BB9_14 Depth=3
	s_or_b32 exec_lo, exec_lo, s76
.LBB9_61:                               ;   in Loop: Header=BB9_14 Depth=3
	s_or_b32 exec_lo, exec_lo, s75
.LBB9_62:                               ;   in Loop: Header=BB9_14 Depth=3
	s_or_b32 exec_lo, exec_lo, s14
	s_or_b32 exec_lo, exec_lo, s74
	s_and_b32 s73, s33, s73
	s_and_saveexec_b32 s14, s73
	s_cbranch_execz .LBB9_13
.LBB9_63:                               ;   in Loop: Header=BB9_14 Depth=3
	s_mov_b32 s73, exec_lo
	v_cmpx_ge_i32_e64 v11, v36
	s_xor_b32 s73, exec_lo, s73
	s_cbranch_execnz .LBB9_69
; %bb.64:                               ;   in Loop: Header=BB9_14 Depth=3
	s_andn2_saveexec_b32 s73, s73
	s_cbranch_execnz .LBB9_78
.LBB9_65:                               ;   in Loop: Header=BB9_14 Depth=3
	s_or_b32 exec_lo, exec_lo, s73
	s_mov_b32 s73, exec_lo
	v_cmpx_eq_u32_e64 v3, v9
	s_cbranch_execz .LBB9_67
.LBB9_66:                               ;   in Loop: Header=BB9_14 Depth=3
	v_add_co_u32 v7, vcc_lo, s48, v7
	v_add_co_ci_u32_e64 v8, null, s49, v8, vcc_lo
	global_load_dword v1, v[7:8], off
	s_waitcnt vmcnt(0)
	v_add_f32_e32 v5, v5, v1
.LBB9_67:                               ;   in Loop: Header=BB9_14 Depth=3
	s_or_b32 exec_lo, exec_lo, s73
	v_sub_f32_e32 v1, v14, v5
	v_cmp_class_f32_e64 s74, v1, 0x1f8
	s_and_saveexec_b32 s73, s74
	s_cbranch_execz .LBB9_12
; %bb.68:                               ;   in Loop: Header=BB9_14 Depth=3
	v_cmp_lt_f32_e64 s74, v20, |v1|
	v_cndmask_b32_e64 v20, v20, |v1|, s74
	s_branch .LBB9_12
.LBB9_69:                               ;   in Loop: Header=BB9_14 Depth=3
	s_mov_b32 s74, exec_lo
	v_cmpx_lt_i32_e64 v1, v31
	s_cbranch_execz .LBB9_77
; %bb.70:                               ;   in Loop: Header=BB9_14 Depth=3
	s_mov_b32 s75, 0
                                        ; implicit-def: $sgpr76
                                        ; implicit-def: $sgpr78
                                        ; implicit-def: $sgpr77
	s_inst_prefetch 0x1
	s_branch .LBB9_72
	.p2align	6
.LBB9_71:                               ;   in Loop: Header=BB9_72 Depth=4
	s_or_b32 exec_lo, exec_lo, s79
	s_and_b32 s79, exec_lo, s78
	s_or_b32 s75, s79, s75
	s_andn2_b32 s76, s76, exec_lo
	s_and_b32 s79, s77, exec_lo
	s_or_b32 s76, s76, s79
	s_andn2_b32 exec_lo, exec_lo, s75
	s_cbranch_execz .LBB9_74
.LBB9_72:                               ;   Parent Loop BB9_5 Depth=1
                                        ;     Parent Loop BB9_9 Depth=2
                                        ;       Parent Loop BB9_14 Depth=3
                                        ; =>      This Inner Loop Header: Depth=4
	v_add_nc_u32_e32 v10, v6, v1
	s_or_b32 s77, s77, exec_lo
	s_or_b32 s78, s78, exec_lo
	s_mov_b32 s79, exec_lo
	v_ashrrev_i32_e32 v11, 31, v10
	v_lshlrev_b64 v[10:11], 2, v[10:11]
	v_add_co_u32 v12, vcc_lo, s28, v10
	v_add_co_ci_u32_e64 v13, null, s29, v11, vcc_lo
	global_load_dword v12, v[12:13], off
	s_waitcnt vmcnt(0)
	v_subrev_nc_u32_e32 v12, s63, v12
	v_cmpx_ne_u32_e64 v12, v9
	s_cbranch_execz .LBB9_71
; %bb.73:                               ;   in Loop: Header=BB9_72 Depth=4
	v_add_nc_u32_e32 v1, 1, v1
	s_andn2_b32 s78, s78, exec_lo
	s_andn2_b32 s77, s77, exec_lo
	v_cmp_ge_i32_e32 vcc_lo, v1, v31
	s_and_b32 s80, vcc_lo, exec_lo
	s_or_b32 s78, s78, s80
	s_branch .LBB9_71
.LBB9_74:                               ;   in Loop: Header=BB9_14 Depth=3
	s_inst_prefetch 0x2
	s_or_b32 exec_lo, exec_lo, s75
	s_and_saveexec_b32 s75, s76
	s_xor_b32 s75, exec_lo, s75
	s_cbranch_execz .LBB9_76
; %bb.75:                               ;   in Loop: Header=BB9_14 Depth=3
	v_add_co_u32 v10, vcc_lo, s30, v10
	v_add_co_ci_u32_e64 v11, null, s31, v11, vcc_lo
	v_add_co_u32 v12, vcc_lo, s48, v7
	v_add_co_ci_u32_e64 v13, null, s49, v8, vcc_lo
	global_load_dword v1, v[10:11], off
	global_load_dword v10, v[12:13], off
	s_waitcnt vmcnt(0)
	v_fmac_f32_e32 v5, v1, v10
.LBB9_76:                               ;   in Loop: Header=BB9_14 Depth=3
	s_or_b32 exec_lo, exec_lo, s75
.LBB9_77:                               ;   in Loop: Header=BB9_14 Depth=3
	s_or_b32 exec_lo, exec_lo, s74
                                        ; implicit-def: $vgpr11
                                        ; implicit-def: $vgpr10
                                        ; implicit-def: $vgpr36
	s_andn2_saveexec_b32 s73, s73
	s_cbranch_execz .LBB9_65
.LBB9_78:                               ;   in Loop: Header=BB9_14 Depth=3
	s_mov_b32 s74, 0
                                        ; implicit-def: $sgpr75
                                        ; implicit-def: $sgpr77
                                        ; implicit-def: $sgpr76
	s_inst_prefetch 0x1
	s_branch .LBB9_80
	.p2align	6
.LBB9_79:                               ;   in Loop: Header=BB9_80 Depth=4
	s_or_b32 exec_lo, exec_lo, s78
	s_and_b32 s78, exec_lo, s77
	s_or_b32 s74, s78, s74
	s_andn2_b32 s75, s75, exec_lo
	s_and_b32 s78, s76, exec_lo
	s_or_b32 s75, s75, s78
	s_andn2_b32 exec_lo, exec_lo, s74
	s_cbranch_execz .LBB9_82
.LBB9_80:                               ;   Parent Loop BB9_5 Depth=1
                                        ;     Parent Loop BB9_9 Depth=2
                                        ;       Parent Loop BB9_14 Depth=3
                                        ; =>      This Inner Loop Header: Depth=4
	v_add_nc_u32_e32 v12, v10, v11
	s_or_b32 s76, s76, exec_lo
	s_or_b32 s77, s77, exec_lo
	s_mov_b32 s78, exec_lo
	v_ashrrev_i32_e32 v13, 31, v12
	v_lshlrev_b64 v[12:13], 2, v[12:13]
	v_add_co_u32 v15, vcc_lo, s20, v12
	v_add_co_ci_u32_e64 v16, null, s21, v13, vcc_lo
	global_load_dword v1, v[15:16], off
	s_waitcnt vmcnt(0)
	v_subrev_nc_u32_e32 v1, s64, v1
	v_cmpx_ne_u32_e64 v1, v3
	s_cbranch_execz .LBB9_79
; %bb.81:                               ;   in Loop: Header=BB9_80 Depth=4
	v_add_nc_u32_e32 v11, 1, v11
	s_andn2_b32 s77, s77, exec_lo
	s_andn2_b32 s76, s76, exec_lo
	v_cmp_ge_i32_e32 vcc_lo, v11, v36
	s_and_b32 s79, vcc_lo, exec_lo
	s_or_b32 s77, s77, s79
	s_branch .LBB9_79
.LBB9_82:                               ;   in Loop: Header=BB9_14 Depth=3
	s_inst_prefetch 0x2
	s_or_b32 exec_lo, exec_lo, s74
	s_and_saveexec_b32 s74, s75
	s_xor_b32 s74, exec_lo, s74
	s_cbranch_execz .LBB9_84
; %bb.83:                               ;   in Loop: Header=BB9_14 Depth=3
	v_add_co_u32 v10, vcc_lo, s22, v12
	v_add_co_ci_u32_e64 v11, null, s23, v13, vcc_lo
	global_load_dword v1, v[10:11], off
	s_waitcnt vmcnt(0)
	v_add_f32_e32 v5, v5, v1
.LBB9_84:                               ;   in Loop: Header=BB9_14 Depth=3
	s_or_b32 exec_lo, exec_lo, s74
	s_or_b32 exec_lo, exec_lo, s73
	s_mov_b32 s73, exec_lo
	v_cmpx_eq_u32_e64 v3, v9
	s_cbranch_execnz .LBB9_66
	s_branch .LBB9_67
.LBB9_85:                               ;   in Loop: Header=BB9_5 Depth=1
	v_xor_b32_e32 v3, 2, v24
	v_xor_b32_e32 v1, 1, v24
	s_and_b32 vcc_lo, exec_lo, s58
	s_cbranch_vccnz .LBB9_88
; %bb.86:                               ;   in Loop: Header=BB9_5 Depth=1
	s_andn2_b32 vcc_lo, exec_lo, s33
	s_cbranch_vccz .LBB9_107
.LBB9_87:                               ;   in Loop: Header=BB9_5 Depth=1
	s_and_saveexec_b32 s14, s9
	s_cbranch_execnz .LBB9_126
	s_branch .LBB9_137
.LBB9_88:                               ;   in Loop: Header=BB9_5 Depth=1
	v_cmp_gt_i32_e32 vcc_lo, 32, v3
	v_cndmask_b32_e32 v4, v24, v3, vcc_lo
	v_cmp_gt_i32_e32 vcc_lo, 32, v1
	v_lshlrev_b32_e32 v4, 2, v4
	v_cndmask_b32_e32 v5, v24, v1, vcc_lo
	ds_bpermute_b32 v4, v4, v23
	v_lshlrev_b32_e32 v5, 2, v5
	s_waitcnt lgkmcnt(0)
	v_cmp_lt_f32_e32 vcc_lo, v23, v4
	v_cndmask_b32_e32 v4, v23, v4, vcc_lo
	ds_bpermute_b32 v5, v5, v4
	s_and_saveexec_b32 s13, s0
	s_cbranch_execz .LBB9_90
; %bb.89:                               ;   in Loop: Header=BB9_5 Depth=1
	s_waitcnt lgkmcnt(0)
	v_cmp_lt_f32_e32 vcc_lo, v4, v5
	v_cndmask_b32_e32 v4, v4, v5, vcc_lo
	ds_write_b32 v26, v4
.LBB9_90:                               ;   in Loop: Header=BB9_5 Depth=1
	s_or_b32 exec_lo, exec_lo, s13
	s_waitcnt lgkmcnt(0)
	s_waitcnt_vscnt null, 0x0
	s_barrier
	buffer_gl0_inv
	s_and_saveexec_b32 s13, s1
	s_cbranch_execz .LBB9_92
; %bb.91:                               ;   in Loop: Header=BB9_5 Depth=1
	ds_read2st64_b32 v[4:5], v19 offset1:2
	s_waitcnt lgkmcnt(0)
	v_cmp_lt_f32_e32 vcc_lo, v4, v5
	v_cndmask_b32_e32 v4, v4, v5, vcc_lo
	ds_write_b32 v19, v4
.LBB9_92:                               ;   in Loop: Header=BB9_5 Depth=1
	s_or_b32 exec_lo, exec_lo, s13
	s_waitcnt lgkmcnt(0)
	s_barrier
	buffer_gl0_inv
	s_and_saveexec_b32 s13, s2
	s_cbranch_execz .LBB9_94
; %bb.93:                               ;   in Loop: Header=BB9_5 Depth=1
	ds_read2st64_b32 v[4:5], v19 offset1:1
	s_waitcnt lgkmcnt(0)
	v_cmp_lt_f32_e32 vcc_lo, v4, v5
	v_cndmask_b32_e32 v4, v4, v5, vcc_lo
	ds_write_b32 v19, v4
.LBB9_94:                               ;   in Loop: Header=BB9_5 Depth=1
	s_or_b32 exec_lo, exec_lo, s13
	s_waitcnt lgkmcnt(0)
	s_barrier
	buffer_gl0_inv
	s_and_saveexec_b32 s13, s3
	s_cbranch_execz .LBB9_96
; %bb.95:                               ;   in Loop: Header=BB9_5 Depth=1
	ds_read2_b32 v[4:5], v19 offset1:32
	s_waitcnt lgkmcnt(0)
	v_cmp_lt_f32_e32 vcc_lo, v4, v5
	v_cndmask_b32_e32 v4, v4, v5, vcc_lo
	ds_write_b32 v19, v4
.LBB9_96:                               ;   in Loop: Header=BB9_5 Depth=1
	s_or_b32 exec_lo, exec_lo, s13
	s_waitcnt lgkmcnt(0)
	s_barrier
	buffer_gl0_inv
	s_and_saveexec_b32 s13, s6
	s_cbranch_execz .LBB9_98
; %bb.97:                               ;   in Loop: Header=BB9_5 Depth=1
	ds_read2_b32 v[4:5], v19 offset1:16
	s_waitcnt lgkmcnt(0)
	v_cmp_lt_f32_e32 vcc_lo, v4, v5
	v_cndmask_b32_e32 v4, v4, v5, vcc_lo
	ds_write_b32 v19, v4
.LBB9_98:                               ;   in Loop: Header=BB9_5 Depth=1
	s_or_b32 exec_lo, exec_lo, s13
	s_waitcnt lgkmcnt(0)
	s_barrier
	buffer_gl0_inv
	s_and_saveexec_b32 s13, s7
	s_cbranch_execz .LBB9_100
; %bb.99:                               ;   in Loop: Header=BB9_5 Depth=1
	ds_read2_b32 v[4:5], v19 offset1:8
	s_waitcnt lgkmcnt(0)
	v_cmp_lt_f32_e32 vcc_lo, v4, v5
	v_cndmask_b32_e32 v4, v4, v5, vcc_lo
	ds_write_b32 v19, v4
.LBB9_100:                              ;   in Loop: Header=BB9_5 Depth=1
	s_or_b32 exec_lo, exec_lo, s13
	s_waitcnt lgkmcnt(0)
	s_barrier
	buffer_gl0_inv
	s_and_saveexec_b32 s13, s8
	s_cbranch_execz .LBB9_102
; %bb.101:                              ;   in Loop: Header=BB9_5 Depth=1
	ds_read2_b32 v[4:5], v19 offset1:4
	s_waitcnt lgkmcnt(0)
	v_cmp_lt_f32_e32 vcc_lo, v4, v5
	v_cndmask_b32_e32 v4, v4, v5, vcc_lo
	ds_write_b32 v19, v4
.LBB9_102:                              ;   in Loop: Header=BB9_5 Depth=1
	s_or_b32 exec_lo, exec_lo, s13
	s_waitcnt lgkmcnt(0)
	s_barrier
	buffer_gl0_inv
	s_and_saveexec_b32 s13, s10
	s_cbranch_execz .LBB9_104
; %bb.103:                              ;   in Loop: Header=BB9_5 Depth=1
	ds_read2_b32 v[4:5], v19 offset1:2
	s_waitcnt lgkmcnt(0)
	v_cmp_lt_f32_e32 vcc_lo, v4, v5
	v_cndmask_b32_e32 v4, v4, v5, vcc_lo
	ds_write_b32 v19, v4
.LBB9_104:                              ;   in Loop: Header=BB9_5 Depth=1
	s_or_b32 exec_lo, exec_lo, s13
	s_waitcnt lgkmcnt(0)
	s_barrier
	buffer_gl0_inv
	s_and_saveexec_b32 s13, s11
	s_cbranch_execz .LBB9_106
; %bb.105:                              ;   in Loop: Header=BB9_5 Depth=1
	ds_read_b64 v[4:5], v2
	s_waitcnt lgkmcnt(0)
	v_cmp_lt_f32_e32 vcc_lo, v4, v5
	v_cndmask_b32_e32 v4, v4, v5, vcc_lo
	ds_write_b32 v2, v4
.LBB9_106:                              ;   in Loop: Header=BB9_5 Depth=1
	s_or_b32 exec_lo, exec_lo, s13
	s_waitcnt lgkmcnt(0)
	s_barrier
	buffer_gl0_inv
	ds_read_b32 v4, v2
	s_load_dword s13, s[56:57], 0x0
	s_waitcnt lgkmcnt(0)
	v_div_scale_f32 v5, null, s13, s13, v4
	v_rcp_f32_e32 v6, v5
	v_fma_f32 v7, -v5, v6, 1.0
	v_fmac_f32_e32 v6, v7, v6
	v_div_scale_f32 v7, vcc_lo, v4, s13, v4
	v_mul_f32_e32 v8, v7, v6
	v_fma_f32 v9, -v5, v8, v7
	v_fmac_f32_e32 v8, v9, v6
	v_fma_f32 v5, -v5, v8, v7
	v_div_fmas_f32 v5, v5, v6, v8
	v_div_fixup_f32 v23, v5, s13, v4
	s_andn2_b32 vcc_lo, exec_lo, s33
	s_cbranch_vccnz .LBB9_87
.LBB9_107:                              ;   in Loop: Header=BB9_5 Depth=1
	v_cmp_gt_i32_e32 vcc_lo, 32, v3
	v_cndmask_b32_e32 v3, v24, v3, vcc_lo
	v_cmp_gt_i32_e32 vcc_lo, 32, v1
	v_lshlrev_b32_e32 v3, 2, v3
	v_cndmask_b32_e32 v4, v24, v1, vcc_lo
	ds_bpermute_b32 v3, v3, v20
	s_waitcnt lgkmcnt(0)
	v_cmp_lt_f32_e32 vcc_lo, v20, v3
	v_cndmask_b32_e32 v1, v20, v3, vcc_lo
	v_lshlrev_b32_e32 v3, 2, v4
	ds_bpermute_b32 v3, v3, v1
	s_and_saveexec_b32 s13, s0
	s_cbranch_execz .LBB9_109
; %bb.108:                              ;   in Loop: Header=BB9_5 Depth=1
	s_waitcnt lgkmcnt(0)
	v_cmp_lt_f32_e32 vcc_lo, v1, v3
	v_cndmask_b32_e32 v1, v1, v3, vcc_lo
	ds_write_b32 v26, v1
.LBB9_109:                              ;   in Loop: Header=BB9_5 Depth=1
	s_or_b32 exec_lo, exec_lo, s13
	s_waitcnt lgkmcnt(0)
	s_waitcnt_vscnt null, 0x0
	s_barrier
	buffer_gl0_inv
	s_and_saveexec_b32 s13, s1
	s_cbranch_execz .LBB9_111
; %bb.110:                              ;   in Loop: Header=BB9_5 Depth=1
	ds_read2st64_b32 v[3:4], v19 offset1:2
	s_waitcnt lgkmcnt(0)
	v_cmp_lt_f32_e32 vcc_lo, v3, v4
	v_cndmask_b32_e32 v1, v3, v4, vcc_lo
	ds_write_b32 v19, v1
.LBB9_111:                              ;   in Loop: Header=BB9_5 Depth=1
	s_or_b32 exec_lo, exec_lo, s13
	s_waitcnt lgkmcnt(0)
	s_barrier
	buffer_gl0_inv
	s_and_saveexec_b32 s13, s2
	s_cbranch_execz .LBB9_113
; %bb.112:                              ;   in Loop: Header=BB9_5 Depth=1
	ds_read2st64_b32 v[3:4], v19 offset1:1
	s_waitcnt lgkmcnt(0)
	v_cmp_lt_f32_e32 vcc_lo, v3, v4
	v_cndmask_b32_e32 v1, v3, v4, vcc_lo
	ds_write_b32 v19, v1
.LBB9_113:                              ;   in Loop: Header=BB9_5 Depth=1
	s_or_b32 exec_lo, exec_lo, s13
	s_waitcnt lgkmcnt(0)
	s_barrier
	buffer_gl0_inv
	s_and_saveexec_b32 s13, s3
	s_cbranch_execz .LBB9_115
; %bb.114:                              ;   in Loop: Header=BB9_5 Depth=1
	ds_read2_b32 v[3:4], v19 offset1:32
	s_waitcnt lgkmcnt(0)
	v_cmp_lt_f32_e32 vcc_lo, v3, v4
	v_cndmask_b32_e32 v1, v3, v4, vcc_lo
	ds_write_b32 v19, v1
.LBB9_115:                              ;   in Loop: Header=BB9_5 Depth=1
	s_or_b32 exec_lo, exec_lo, s13
	s_waitcnt lgkmcnt(0)
	s_barrier
	buffer_gl0_inv
	s_and_saveexec_b32 s13, s6
	s_cbranch_execz .LBB9_117
; %bb.116:                              ;   in Loop: Header=BB9_5 Depth=1
	ds_read2_b32 v[3:4], v19 offset1:16
	s_waitcnt lgkmcnt(0)
	v_cmp_lt_f32_e32 vcc_lo, v3, v4
	v_cndmask_b32_e32 v1, v3, v4, vcc_lo
	ds_write_b32 v19, v1
.LBB9_117:                              ;   in Loop: Header=BB9_5 Depth=1
	;; [unrolled: 13-line block ×5, first 2 shown]
	s_or_b32 exec_lo, exec_lo, s13
	s_waitcnt lgkmcnt(0)
	s_barrier
	buffer_gl0_inv
	s_and_saveexec_b32 s13, s11
	s_cbranch_execz .LBB9_125
; %bb.124:                              ;   in Loop: Header=BB9_5 Depth=1
	ds_read_b64 v[3:4], v2
	s_waitcnt lgkmcnt(0)
	v_cmp_lt_f32_e32 vcc_lo, v3, v4
	v_cndmask_b32_e32 v1, v3, v4, vcc_lo
	ds_write_b32 v2, v1
.LBB9_125:                              ;   in Loop: Header=BB9_5 Depth=1
	s_or_b32 exec_lo, exec_lo, s13
	s_waitcnt lgkmcnt(0)
	s_barrier
	buffer_gl0_inv
	ds_read_b32 v1, v2
	s_load_dword s13, s[56:57], 0x0
	s_waitcnt lgkmcnt(0)
	v_div_scale_f32 v3, null, s13, s13, v1
	v_rcp_f32_e32 v4, v3
	v_fma_f32 v5, -v3, v4, 1.0
	v_fmac_f32_e32 v4, v5, v4
	v_div_scale_f32 v5, vcc_lo, v1, s13, v1
	v_mul_f32_e32 v6, v5, v4
	v_fma_f32 v7, -v3, v6, v5
	v_fmac_f32_e32 v6, v7, v4
	v_fma_f32 v3, -v3, v6, v5
	v_div_fmas_f32 v3, v3, v4, v6
	v_div_fixup_f32 v20, v3, s13, v1
	s_and_saveexec_b32 s14, s9
	s_cbranch_execz .LBB9_137
.LBB9_126:                              ;   in Loop: Header=BB9_5 Depth=1
	v_mov_b32_e32 v3, v25
	s_mov_b32 s69, 0
	s_branch .LBB9_128
.LBB9_127:                              ;   in Loop: Header=BB9_128 Depth=2
	s_or_b32 exec_lo, exec_lo, s70
	v_add_nc_u32_e32 v3, 0x100, v3
	v_cmp_le_u32_e32 vcc_lo, s65, v3
	s_or_b32 s69, vcc_lo, s69
	s_andn2_b32 exec_lo, exec_lo, s69
	s_cbranch_execz .LBB9_137
.LBB9_128:                              ;   Parent Loop BB9_5 Depth=1
                                        ; =>  This Loop Header: Depth=2
                                        ;       Child Loop BB9_131 Depth 3
                                        ;       Child Loop BB9_134 Depth 3
	s_mov_b32 s70, exec_lo
	v_cmpx_gt_i32_e64 s35, v3
	s_cbranch_execz .LBB9_127
; %bb.129:                              ;   in Loop: Header=BB9_128 Depth=2
	v_ashrrev_i32_e32 v4, 31, v3
	s_mov_b32 s71, exec_lo
	v_lshlrev_b64 v[4:5], 2, v[3:4]
	v_add_co_u32 v6, vcc_lo, s24, v4
	v_add_co_ci_u32_e64 v7, null, s25, v5, vcc_lo
	v_add_co_u32 v8, vcc_lo, s26, v4
	v_add_co_ci_u32_e64 v9, null, s27, v5, vcc_lo
	global_load_dword v1, v[6:7], off
	global_load_dword v7, v[8:9], off
	s_waitcnt vmcnt(1)
	v_add_nc_u32_e32 v6, v28, v1
	s_waitcnt vmcnt(0)
	v_subrev_nc_u32_e32 v1, s63, v7
	v_cmpx_lt_i32_e64 v6, v1
	s_cbranch_execz .LBB9_132
; %bb.130:                              ;   in Loop: Header=BB9_128 Depth=2
	v_ashrrev_i32_e32 v7, 31, v6
	s_mov_b32 s72, 0
	v_lshlrev_b64 v[9:10], 2, v[6:7]
	v_add_co_u32 v7, vcc_lo, s52, v9
	v_add_co_ci_u32_e64 v8, null, s53, v10, vcc_lo
	v_add_co_u32 v9, vcc_lo, s30, v9
	v_add_co_ci_u32_e64 v10, null, s31, v10, vcc_lo
	.p2align	6
.LBB9_131:                              ;   Parent Loop BB9_5 Depth=1
                                        ;     Parent Loop BB9_128 Depth=2
                                        ; =>    This Inner Loop Header: Depth=3
	global_load_dword v11, v[7:8], off
	v_add_nc_u32_e32 v6, 4, v6
	v_add_co_u32 v7, vcc_lo, v7, 16
	v_add_co_ci_u32_e64 v8, null, 0, v8, vcc_lo
	v_cmp_ge_i32_e32 vcc_lo, v6, v1
	s_or_b32 s72, vcc_lo, s72
	s_waitcnt vmcnt(0)
	global_store_dword v[9:10], v11, off
	v_add_co_u32 v9, s13, v9, 16
	v_add_co_ci_u32_e64 v10, null, 0, v10, s13
	s_andn2_b32 exec_lo, exec_lo, s72
	s_cbranch_execnz .LBB9_131
.LBB9_132:                              ;   in Loop: Header=BB9_128 Depth=2
	s_or_b32 exec_lo, exec_lo, s71
	v_add_co_u32 v6, vcc_lo, s16, v4
	v_add_co_ci_u32_e64 v7, null, s17, v5, vcc_lo
	v_add_co_u32 v8, vcc_lo, s18, v4
	v_add_co_ci_u32_e64 v9, null, s19, v5, vcc_lo
	global_load_dword v1, v[6:7], off
	global_load_dword v7, v[8:9], off
	s_mov_b32 s71, exec_lo
	s_waitcnt vmcnt(1)
	v_add_nc_u32_e32 v6, v29, v1
	s_waitcnt vmcnt(0)
	v_subrev_nc_u32_e32 v1, s64, v7
	v_cmpx_lt_i32_e64 v6, v1
	s_cbranch_execz .LBB9_135
; %bb.133:                              ;   in Loop: Header=BB9_128 Depth=2
	v_ashrrev_i32_e32 v7, 31, v6
	s_mov_b32 s72, 0
	v_lshlrev_b64 v[9:10], 2, v[6:7]
	v_add_co_u32 v7, vcc_lo, s54, v9
	v_add_co_ci_u32_e64 v8, null, s55, v10, vcc_lo
	v_add_co_u32 v9, vcc_lo, s22, v9
	v_add_co_ci_u32_e64 v10, null, s23, v10, vcc_lo
	.p2align	6
.LBB9_134:                              ;   Parent Loop BB9_5 Depth=1
                                        ;     Parent Loop BB9_128 Depth=2
                                        ; =>    This Inner Loop Header: Depth=3
	global_load_dword v11, v[7:8], off
	v_add_nc_u32_e32 v6, 4, v6
	v_add_co_u32 v7, vcc_lo, v7, 16
	v_add_co_ci_u32_e64 v8, null, 0, v8, vcc_lo
	v_cmp_ge_i32_e32 vcc_lo, v6, v1
	s_or_b32 s72, vcc_lo, s72
	s_waitcnt vmcnt(0)
	global_store_dword v[9:10], v11, off
	v_add_co_u32 v9, s13, v9, 16
	v_add_co_ci_u32_e64 v10, null, 0, v10, s13
	s_andn2_b32 exec_lo, exec_lo, s72
	s_cbranch_execnz .LBB9_134
.LBB9_135:                              ;   in Loop: Header=BB9_128 Depth=2
	s_or_b32 exec_lo, exec_lo, s71
	s_and_b32 exec_lo, exec_lo, s12
	s_cbranch_execz .LBB9_127
; %bb.136:                              ;   in Loop: Header=BB9_128 Depth=2
	v_add_co_u32 v6, vcc_lo, s50, v4
	v_add_co_ci_u32_e64 v7, null, s51, v5, vcc_lo
	v_add_co_u32 v4, vcc_lo, s48, v4
	v_add_co_ci_u32_e64 v5, null, s49, v5, vcc_lo
	global_load_dword v1, v[6:7], off
	s_waitcnt vmcnt(0)
	global_store_dword v[4:5], v1, off
	s_branch .LBB9_127
.LBB9_137:                              ;   in Loop: Header=BB9_5 Depth=1
	s_or_b32 exec_lo, exec_lo, s14
	s_mov_b32 s14, -1
	s_and_b32 vcc_lo, exec_lo, s59
	s_mov_b32 s69, -1
	s_cbranch_vccz .LBB9_147
; %bb.138:                              ;   in Loop: Header=BB9_5 Depth=1
	s_and_b32 vcc_lo, exec_lo, s67
	s_mov_b32 s13, -1
                                        ; implicit-def: $sgpr69
	s_cbranch_vccz .LBB9_144
; %bb.139:                              ;   in Loop: Header=BB9_5 Depth=1
	s_and_b32 vcc_lo, exec_lo, s66
                                        ; implicit-def: $sgpr69
	s_cbranch_vccz .LBB9_141
; %bb.140:                              ;   in Loop: Header=BB9_5 Depth=1
	v_cmp_ge_f32_e64 s69, s34, v20
	s_mov_b32 s13, 0
.LBB9_141:                              ;   in Loop: Header=BB9_5 Depth=1
	s_andn2_b32 vcc_lo, exec_lo, s13
	s_cbranch_vccnz .LBB9_143
; %bb.142:                              ;   in Loop: Header=BB9_5 Depth=1
	v_cmp_ge_f32_e32 vcc_lo, s34, v23
	s_andn2_b32 s13, s69, exec_lo
	s_and_b32 s69, vcc_lo, exec_lo
	s_or_b32 s69, s13, s69
.LBB9_143:                              ;   in Loop: Header=BB9_5 Depth=1
	s_mov_b32 s13, 0
.LBB9_144:                              ;   in Loop: Header=BB9_5 Depth=1
	s_andn2_b32 vcc_lo, exec_lo, s13
	s_cbranch_vccnz .LBB9_146
; %bb.145:                              ;   in Loop: Header=BB9_5 Depth=1
	v_cmp_ge_f32_e32 vcc_lo, s34, v23
	v_cmp_ge_f32_e64 s13, s34, v20
	s_andn2_b32 s69, s69, exec_lo
	s_and_b32 s13, vcc_lo, s13
	s_and_b32 s13, s13, exec_lo
	s_or_b32 s69, s69, s13
.LBB9_146:                              ;   in Loop: Header=BB9_5 Depth=1
	s_xor_b32 s69, s69, -1
.LBB9_147:                              ;   in Loop: Header=BB9_5 Depth=1
	v_mov_b32_e32 v1, s68
	s_and_saveexec_b32 s13, s69
	s_cbranch_execz .LBB9_4
; %bb.148:                              ;   in Loop: Header=BB9_5 Depth=1
	s_add_i32 s68, s68, 1
	v_mov_b32_e32 v1, s15
	s_cmp_eq_u32 s68, s15
	s_cselect_b32 s14, -1, 0
	s_orn2_b32 s14, s14, exec_lo
	s_branch .LBB9_4
.LBB9_149:
	s_or_b32 exec_lo, exec_lo, s60
	s_or_b32 exec_lo, exec_lo, s61
	s_andn2_b32 vcc_lo, exec_lo, s59
	s_cbranch_vccnz .LBB9_2
.LBB9_150:
	v_xor_b32_e32 v2, 2, v24
	v_xor_b32_e32 v3, 1, v24
	s_mov_b32 s0, exec_lo
	v_cmp_gt_i32_e32 vcc_lo, 32, v2
	v_cndmask_b32_e32 v2, v24, v2, vcc_lo
	v_cmp_gt_i32_e32 vcc_lo, 32, v3
	v_lshlrev_b32_e32 v2, 2, v2
	v_cndmask_b32_e32 v3, v24, v3, vcc_lo
	ds_bpermute_b32 v2, v2, v1
	s_waitcnt lgkmcnt(0)
	v_max_i32_e32 v1, v1, v2
	v_lshlrev_b32_e32 v2, 2, v3
	ds_bpermute_b32 v2, v2, v1
	v_cmpx_eq_u32_e32 3, v22
	s_cbranch_execz .LBB9_152
; %bb.151:
	v_lshlrev_b32_e32 v3, 2, v21
	s_waitcnt lgkmcnt(0)
	v_max_i32_e32 v1, v1, v2
	ds_write_b32 v3, v1 offset:1024
.LBB9_152:
	s_or_b32 exec_lo, exec_lo, s0
	s_mov_b32 s0, exec_lo
	s_waitcnt lgkmcnt(0)
	s_waitcnt_vscnt null, 0x0
	s_barrier
	buffer_gl0_inv
	v_cmpx_gt_u32_e32 0x80, v0
	s_cbranch_execz .LBB9_154
; %bb.153:
	ds_read2st64_b32 v[1:2], v19 offset0:4 offset1:6
	s_waitcnt lgkmcnt(0)
	v_max_i32_e32 v1, v1, v2
	ds_write_b32 v19, v1 offset:1024
.LBB9_154:
	s_or_b32 exec_lo, exec_lo, s0
	s_mov_b32 s0, exec_lo
	s_waitcnt lgkmcnt(0)
	s_barrier
	buffer_gl0_inv
	v_cmpx_gt_u32_e32 64, v0
	s_cbranch_execz .LBB9_156
; %bb.155:
	ds_read2st64_b32 v[1:2], v19 offset0:4 offset1:5
	s_waitcnt lgkmcnt(0)
	v_max_i32_e32 v1, v1, v2
	ds_write_b32 v19, v1 offset:1024
.LBB9_156:
	s_or_b32 exec_lo, exec_lo, s0
	s_mov_b32 s0, exec_lo
	s_waitcnt lgkmcnt(0)
	s_barrier
	buffer_gl0_inv
	v_cmpx_gt_u32_e32 32, v0
	s_cbranch_execz .LBB9_158
; %bb.157:
	v_add_nc_u32_e32 v1, 0x400, v19
	ds_read2_b32 v[1:2], v1 offset1:32
	s_waitcnt lgkmcnt(0)
	v_max_i32_e32 v1, v1, v2
	ds_write_b32 v19, v1 offset:1024
.LBB9_158:
	s_or_b32 exec_lo, exec_lo, s0
	s_mov_b32 s0, exec_lo
	s_waitcnt lgkmcnt(0)
	s_barrier
	buffer_gl0_inv
	v_cmpx_gt_u32_e32 16, v0
	s_cbranch_execz .LBB9_160
; %bb.159:
	v_add_nc_u32_e32 v1, 0x400, v19
	ds_read2_b32 v[1:2], v1 offset1:16
	s_waitcnt lgkmcnt(0)
	v_max_i32_e32 v1, v1, v2
	ds_write_b32 v19, v1 offset:1024
.LBB9_160:
	;; [unrolled: 14-line block ×5, first 2 shown]
	s_or_b32 exec_lo, exec_lo, s0
	v_cmp_eq_u32_e32 vcc_lo, 0, v0
	s_waitcnt lgkmcnt(0)
	s_barrier
	buffer_gl0_inv
	s_and_saveexec_b32 s0, vcc_lo
	s_cbranch_execz .LBB9_168
; %bb.167:
	v_mov_b32_e32 v3, 0
	ds_read_b64 v[1:2], v3 offset:1024
	s_waitcnt lgkmcnt(0)
	v_max_i32_e32 v1, v1, v2
	ds_write_b32 v3, v1 offset:1024
.LBB9_168:
	s_or_b32 exec_lo, exec_lo, s0
	s_waitcnt lgkmcnt(0)
	s_barrier
	buffer_gl0_inv
	s_and_saveexec_b32 s0, vcc_lo
	s_cbranch_execz .LBB9_171
; %bb.169:
	v_mbcnt_lo_u32_b32 v1, exec_lo, 0
	v_cmp_eq_u32_e32 vcc_lo, 0, v1
	s_and_b32 exec_lo, exec_lo, vcc_lo
	s_cbranch_execz .LBB9_171
; %bb.170:
	v_mov_b32_e32 v1, 0
	s_load_dwordx2 s[2:3], s[4:5], 0x8
	ds_read_b32 v2, v1 offset:1024
	s_waitcnt lgkmcnt(0)
	v_add_nc_u32_e32 v2, 1, v2
	global_atomic_smax v1, v2, s[2:3]
.LBB9_171:
	s_or_b32 exec_lo, exec_lo, s0
	v_cmp_eq_u32_e32 vcc_lo, 0, v0
	s_and_b32 s0, vcc_lo, s58
	s_and_saveexec_b32 s1, s0
	s_cbranch_execz .LBB9_178
.LBB9_172:
	v_mov_b32_e32 v0, 0x7fc00000
	s_mov_b32 s0, exec_lo
.LBB9_173:                              ; =>This Inner Loop Header: Depth=1
	s_ff1_i32_b32 s2, s0
	v_max_f32_e32 v0, v0, v0
	v_readlane_b32 s3, v23, s2
	s_lshl_b32 s2, 1, s2
	s_andn2_b32 s0, s0, s2
	s_cmp_lg_u32 s0, 0
	v_max_f32_e64 v1, s3, s3
	v_max_f32_e32 v0, v0, v1
	s_cbranch_scc1 .LBB9_173
; %bb.174:
	v_mbcnt_lo_u32_b32 v1, exec_lo, 0
	s_mov_b32 s2, 0
	s_mov_b32 s3, exec_lo
	v_cmpx_eq_u32_e32 0, v1
	s_xor_b32 s3, exec_lo, s3
	s_cbranch_execz .LBB9_178
; %bb.175:
	v_mov_b32_e32 v2, 0
	v_max_f32_e32 v3, v0, v0
	global_load_dword v1, v2, s[44:45]
.LBB9_176:                              ; =>This Inner Loop Header: Depth=1
	s_waitcnt vmcnt(0)
	v_max_f32_e32 v0, v1, v1
	v_max_f32_e32 v0, v0, v3
	global_atomic_cmpswap v0, v2, v[0:1], s[44:45] glc
	s_waitcnt vmcnt(0)
	v_cmp_eq_u32_e64 s0, v0, v1
	v_mov_b32_e32 v1, v0
	s_or_b32 s2, s0, s2
	s_andn2_b32 exec_lo, exec_lo, s2
	s_cbranch_execnz .LBB9_176
; %bb.177:
	s_or_b32 exec_lo, exec_lo, s2
.LBB9_178:
	s_or_b32 exec_lo, exec_lo, s1
	s_and_b32 s0, vcc_lo, s33
	s_and_saveexec_b32 s1, s0
	s_cbranch_execz .LBB9_184
; %bb.179:
	v_mov_b32_e32 v0, 0x7fc00000
	s_mov_b32 s0, exec_lo
.LBB9_180:                              ; =>This Inner Loop Header: Depth=1
	s_ff1_i32_b32 s1, s0
	v_max_f32_e32 v0, v0, v0
	v_readlane_b32 s2, v20, s1
	s_lshl_b32 s1, 1, s1
	s_andn2_b32 s0, s0, s1
	s_cmp_lg_u32 s0, 0
	v_max_f32_e64 v1, s2, s2
	v_max_f32_e32 v0, v0, v1
	s_cbranch_scc1 .LBB9_180
; %bb.181:
	v_mbcnt_lo_u32_b32 v1, exec_lo, 0
	s_mov_b32 s0, 0
	s_mov_b32 s1, exec_lo
	v_cmpx_eq_u32_e32 0, v1
	s_xor_b32 s1, exec_lo, s1
	s_cbranch_execz .LBB9_184
; %bb.182:
	v_mov_b32_e32 v2, 0
	v_max_f32_e32 v3, v0, v0
	global_load_dword v1, v2, s[46:47]
.LBB9_183:                              ; =>This Inner Loop Header: Depth=1
	s_waitcnt vmcnt(0)
	v_max_f32_e32 v0, v1, v1
	v_max_f32_e32 v0, v0, v3
	global_atomic_cmpswap v0, v2, v[0:1], s[46:47] glc
	s_waitcnt vmcnt(0)
	v_cmp_eq_u32_e32 vcc_lo, v0, v1
	v_mov_b32_e32 v1, v0
	s_or_b32 s0, vcc_lo, s0
	s_andn2_b32 exec_lo, exec_lo, s0
	s_cbranch_execnz .LBB9_183
.LBB9_184:
	s_endpgm
	.section	.rodata,"a",@progbits
	.p2align	6, 0x0
	.amdhsa_kernel _ZN9rocsparseL6kernelILi1024ELi4EfiiEEvbbbT3_PS1_NS_15floating_traitsIT1_E6data_tES1_T2_PKS7_S9_PKS1_PKS4_21rocsparse_index_base_S9_S9_SB_PS4_SF_SE_S9_S9_SB_SF_SF_SE_SF_SF_PS6_SG_PKS6_
		.amdhsa_group_segment_fixed_size 2048
		.amdhsa_private_segment_fixed_size 0
		.amdhsa_kernarg_size 208
		.amdhsa_user_sgpr_count 6
		.amdhsa_user_sgpr_private_segment_buffer 1
		.amdhsa_user_sgpr_dispatch_ptr 0
		.amdhsa_user_sgpr_queue_ptr 0
		.amdhsa_user_sgpr_kernarg_segment_ptr 1
		.amdhsa_user_sgpr_dispatch_id 0
		.amdhsa_user_sgpr_flat_scratch_init 0
		.amdhsa_user_sgpr_private_segment_size 0
		.amdhsa_wavefront_size32 1
		.amdhsa_uses_dynamic_stack 0
		.amdhsa_system_sgpr_private_segment_wavefront_offset 0
		.amdhsa_system_sgpr_workgroup_id_x 1
		.amdhsa_system_sgpr_workgroup_id_y 0
		.amdhsa_system_sgpr_workgroup_id_z 0
		.amdhsa_system_sgpr_workgroup_info 0
		.amdhsa_system_vgpr_workitem_id 0
		.amdhsa_next_free_vgpr 45
		.amdhsa_next_free_sgpr 83
		.amdhsa_reserve_vcc 1
		.amdhsa_reserve_flat_scratch 0
		.amdhsa_float_round_mode_32 0
		.amdhsa_float_round_mode_16_64 0
		.amdhsa_float_denorm_mode_32 3
		.amdhsa_float_denorm_mode_16_64 3
		.amdhsa_dx10_clamp 1
		.amdhsa_ieee_mode 1
		.amdhsa_fp16_overflow 0
		.amdhsa_workgroup_processor_mode 1
		.amdhsa_memory_ordered 1
		.amdhsa_forward_progress 1
		.amdhsa_shared_vgpr_count 0
		.amdhsa_exception_fp_ieee_invalid_op 0
		.amdhsa_exception_fp_denorm_src 0
		.amdhsa_exception_fp_ieee_div_zero 0
		.amdhsa_exception_fp_ieee_overflow 0
		.amdhsa_exception_fp_ieee_underflow 0
		.amdhsa_exception_fp_ieee_inexact 0
		.amdhsa_exception_int_div_zero 0
	.end_amdhsa_kernel
	.section	.text._ZN9rocsparseL6kernelILi1024ELi4EfiiEEvbbbT3_PS1_NS_15floating_traitsIT1_E6data_tES1_T2_PKS7_S9_PKS1_PKS4_21rocsparse_index_base_S9_S9_SB_PS4_SF_SE_S9_S9_SB_SF_SF_SE_SF_SF_PS6_SG_PKS6_,"axG",@progbits,_ZN9rocsparseL6kernelILi1024ELi4EfiiEEvbbbT3_PS1_NS_15floating_traitsIT1_E6data_tES1_T2_PKS7_S9_PKS1_PKS4_21rocsparse_index_base_S9_S9_SB_PS4_SF_SE_S9_S9_SB_SF_SF_SE_SF_SF_PS6_SG_PKS6_,comdat
.Lfunc_end9:
	.size	_ZN9rocsparseL6kernelILi1024ELi4EfiiEEvbbbT3_PS1_NS_15floating_traitsIT1_E6data_tES1_T2_PKS7_S9_PKS1_PKS4_21rocsparse_index_base_S9_S9_SB_PS4_SF_SE_S9_S9_SB_SF_SF_SE_SF_SF_PS6_SG_PKS6_, .Lfunc_end9-_ZN9rocsparseL6kernelILi1024ELi4EfiiEEvbbbT3_PS1_NS_15floating_traitsIT1_E6data_tES1_T2_PKS7_S9_PKS1_PKS4_21rocsparse_index_base_S9_S9_SB_PS4_SF_SE_S9_S9_SB_SF_SF_SE_SF_SF_PS6_SG_PKS6_
                                        ; -- End function
	.set _ZN9rocsparseL6kernelILi1024ELi4EfiiEEvbbbT3_PS1_NS_15floating_traitsIT1_E6data_tES1_T2_PKS7_S9_PKS1_PKS4_21rocsparse_index_base_S9_S9_SB_PS4_SF_SE_S9_S9_SB_SF_SF_SE_SF_SF_PS6_SG_PKS6_.num_vgpr, 45
	.set _ZN9rocsparseL6kernelILi1024ELi4EfiiEEvbbbT3_PS1_NS_15floating_traitsIT1_E6data_tES1_T2_PKS7_S9_PKS1_PKS4_21rocsparse_index_base_S9_S9_SB_PS4_SF_SE_S9_S9_SB_SF_SF_SE_SF_SF_PS6_SG_PKS6_.num_agpr, 0
	.set _ZN9rocsparseL6kernelILi1024ELi4EfiiEEvbbbT3_PS1_NS_15floating_traitsIT1_E6data_tES1_T2_PKS7_S9_PKS1_PKS4_21rocsparse_index_base_S9_S9_SB_PS4_SF_SE_S9_S9_SB_SF_SF_SE_SF_SF_PS6_SG_PKS6_.numbered_sgpr, 83
	.set _ZN9rocsparseL6kernelILi1024ELi4EfiiEEvbbbT3_PS1_NS_15floating_traitsIT1_E6data_tES1_T2_PKS7_S9_PKS1_PKS4_21rocsparse_index_base_S9_S9_SB_PS4_SF_SE_S9_S9_SB_SF_SF_SE_SF_SF_PS6_SG_PKS6_.num_named_barrier, 0
	.set _ZN9rocsparseL6kernelILi1024ELi4EfiiEEvbbbT3_PS1_NS_15floating_traitsIT1_E6data_tES1_T2_PKS7_S9_PKS1_PKS4_21rocsparse_index_base_S9_S9_SB_PS4_SF_SE_S9_S9_SB_SF_SF_SE_SF_SF_PS6_SG_PKS6_.private_seg_size, 0
	.set _ZN9rocsparseL6kernelILi1024ELi4EfiiEEvbbbT3_PS1_NS_15floating_traitsIT1_E6data_tES1_T2_PKS7_S9_PKS1_PKS4_21rocsparse_index_base_S9_S9_SB_PS4_SF_SE_S9_S9_SB_SF_SF_SE_SF_SF_PS6_SG_PKS6_.uses_vcc, 1
	.set _ZN9rocsparseL6kernelILi1024ELi4EfiiEEvbbbT3_PS1_NS_15floating_traitsIT1_E6data_tES1_T2_PKS7_S9_PKS1_PKS4_21rocsparse_index_base_S9_S9_SB_PS4_SF_SE_S9_S9_SB_SF_SF_SE_SF_SF_PS6_SG_PKS6_.uses_flat_scratch, 0
	.set _ZN9rocsparseL6kernelILi1024ELi4EfiiEEvbbbT3_PS1_NS_15floating_traitsIT1_E6data_tES1_T2_PKS7_S9_PKS1_PKS4_21rocsparse_index_base_S9_S9_SB_PS4_SF_SE_S9_S9_SB_SF_SF_SE_SF_SF_PS6_SG_PKS6_.has_dyn_sized_stack, 0
	.set _ZN9rocsparseL6kernelILi1024ELi4EfiiEEvbbbT3_PS1_NS_15floating_traitsIT1_E6data_tES1_T2_PKS7_S9_PKS1_PKS4_21rocsparse_index_base_S9_S9_SB_PS4_SF_SE_S9_S9_SB_SF_SF_SE_SF_SF_PS6_SG_PKS6_.has_recursion, 0
	.set _ZN9rocsparseL6kernelILi1024ELi4EfiiEEvbbbT3_PS1_NS_15floating_traitsIT1_E6data_tES1_T2_PKS7_S9_PKS1_PKS4_21rocsparse_index_base_S9_S9_SB_PS4_SF_SE_S9_S9_SB_SF_SF_SE_SF_SF_PS6_SG_PKS6_.has_indirect_call, 0
	.section	.AMDGPU.csdata,"",@progbits
; Kernel info:
; codeLenInByte = 6056
; TotalNumSgprs: 85
; NumVgprs: 45
; ScratchSize: 0
; MemoryBound: 0
; FloatMode: 240
; IeeeMode: 1
; LDSByteSize: 2048 bytes/workgroup (compile time only)
; SGPRBlocks: 0
; VGPRBlocks: 5
; NumSGPRsForWavesPerEU: 85
; NumVGPRsForWavesPerEU: 45
; Occupancy: 16
; WaveLimiterHint : 1
; COMPUTE_PGM_RSRC2:SCRATCH_EN: 0
; COMPUTE_PGM_RSRC2:USER_SGPR: 6
; COMPUTE_PGM_RSRC2:TRAP_HANDLER: 0
; COMPUTE_PGM_RSRC2:TGID_X_EN: 1
; COMPUTE_PGM_RSRC2:TGID_Y_EN: 0
; COMPUTE_PGM_RSRC2:TGID_Z_EN: 0
; COMPUTE_PGM_RSRC2:TIDIG_COMP_CNT: 0
	.section	.text._ZN9rocsparseL6kernelILi1024ELi8EfiiEEvbbbT3_PS1_NS_15floating_traitsIT1_E6data_tES1_T2_PKS7_S9_PKS1_PKS4_21rocsparse_index_base_S9_S9_SB_PS4_SF_SE_S9_S9_SB_SF_SF_SE_SF_SF_PS6_SG_PKS6_,"axG",@progbits,_ZN9rocsparseL6kernelILi1024ELi8EfiiEEvbbbT3_PS1_NS_15floating_traitsIT1_E6data_tES1_T2_PKS7_S9_PKS1_PKS4_21rocsparse_index_base_S9_S9_SB_PS4_SF_SE_S9_S9_SB_SF_SF_SE_SF_SF_PS6_SG_PKS6_,comdat
	.globl	_ZN9rocsparseL6kernelILi1024ELi8EfiiEEvbbbT3_PS1_NS_15floating_traitsIT1_E6data_tES1_T2_PKS7_S9_PKS1_PKS4_21rocsparse_index_base_S9_S9_SB_PS4_SF_SE_S9_S9_SB_SF_SF_SE_SF_SF_PS6_SG_PKS6_ ; -- Begin function _ZN9rocsparseL6kernelILi1024ELi8EfiiEEvbbbT3_PS1_NS_15floating_traitsIT1_E6data_tES1_T2_PKS7_S9_PKS1_PKS4_21rocsparse_index_base_S9_S9_SB_PS4_SF_SE_S9_S9_SB_SF_SF_SE_SF_SF_PS6_SG_PKS6_
	.p2align	8
	.type	_ZN9rocsparseL6kernelILi1024ELi8EfiiEEvbbbT3_PS1_NS_15floating_traitsIT1_E6data_tES1_T2_PKS7_S9_PKS1_PKS4_21rocsparse_index_base_S9_S9_SB_PS4_SF_SE_S9_S9_SB_SF_SF_SE_SF_SF_PS6_SG_PKS6_,@function
_ZN9rocsparseL6kernelILi1024ELi8EfiiEEvbbbT3_PS1_NS_15floating_traitsIT1_E6data_tES1_T2_PKS7_S9_PKS1_PKS4_21rocsparse_index_base_S9_S9_SB_PS4_SF_SE_S9_S9_SB_SF_SF_SE_SF_SF_PS6_SG_PKS6_: ; @_ZN9rocsparseL6kernelILi1024ELi8EfiiEEvbbbT3_PS1_NS_15floating_traitsIT1_E6data_tES1_T2_PKS7_S9_PKS1_PKS4_21rocsparse_index_base_S9_S9_SB_PS4_SF_SE_S9_S9_SB_SF_SF_SE_SF_SF_PS6_SG_PKS6_
; %bb.0:
	s_clause 0x3
	s_load_dword s0, s[4:5], 0x0
	s_load_dwordx2 s[14:15], s[4:5], 0x0
	s_load_dwordx2 s[34:35], s[4:5], 0x10
	s_load_dwordx4 s[44:47], s[4:5], 0xb8
	v_lshrrev_b32_e32 v21, 3, v0
	v_mov_b32_e32 v20, 0
	v_lshlrev_b32_e32 v19, 2, v0
	v_and_b32_e32 v22, 7, v0
	v_mbcnt_lo_u32_b32 v23, -1, 0
	v_mov_b32_e32 v24, 0
	v_mov_b32_e32 v1, 0
	s_mov_b32 s59, 0
	ds_write_b32 v19, v20
	s_waitcnt lgkmcnt(0)
	s_barrier
	buffer_gl0_inv
	s_bitcmp1_b32 s0, 0
	s_cselect_b32 s58, -1, 0
	s_bitcmp1_b32 s0, 8
	s_cselect_b32 s33, -1, 0
	;; [unrolled: 2-line block ×3, first 2 shown]
	s_lshl_b32 s64, s6, 10
	s_cmp_gt_i32 s15, 0
	v_or_b32_e32 v25, s64, v21
	s_cselect_b32 s0, -1, 0
	v_cmp_gt_i32_e32 vcc_lo, s35, v25
	s_and_b32 s0, s0, vcc_lo
	s_and_saveexec_b32 s60, s0
	s_cbranch_execnz .LBB10_3
; %bb.1:
	s_or_b32 exec_lo, exec_lo, s60
	s_andn2_b32 vcc_lo, exec_lo, s58
	s_cbranch_vccz .LBB10_146
.LBB10_2:
	v_cmp_eq_u32_e32 vcc_lo, 0, v0
	s_and_b32 s0, vcc_lo, s33
	s_and_saveexec_b32 s1, s0
	s_cbranch_execnz .LBB10_166
	s_branch .LBB10_172
.LBB10_3:
	s_clause 0x9
	s_load_dword s61, s[4:5], 0x40
	s_load_dword s62, s[4:5], 0x70
	s_load_dwordx2 s[52:53], s[4:5], 0x98
	s_load_dword s63, s[4:5], 0xa0
	s_load_dwordx2 s[54:55], s[4:5], 0x68
	s_load_dwordx2 s[56:57], s[4:5], 0xc8
	s_load_dwordx4 s[48:51], s[4:5], 0xa8
	s_load_dwordx8 s[16:23], s[4:5], 0x78
	s_load_dwordx8 s[24:31], s[4:5], 0x48
	;; [unrolled: 1-line block ×3, first 2 shown]
	s_addk_i32 s64, 0x400
	v_cmp_eq_u32_e64 s0, 7, v22
	v_lshlrev_b32_e32 v26, 2, v21
	v_cmp_gt_u32_e64 s1, 64, v0
	v_cmp_gt_u32_e64 s2, 32, v0
	;; [unrolled: 1-line block ×7, first 2 shown]
	s_waitcnt lgkmcnt(0)
	v_subrev_nc_u32_e32 v27, s61, v22
	v_cmp_eq_u32_e64 s10, 0, v0
	v_subrev_nc_u32_e32 v28, s62, v22
	v_subrev_nc_u32_e32 v29, s63, v22
	v_cmp_eq_u32_e64 s11, 0, v22
	v_mov_b32_e32 v2, 0
	v_mov_b32_e32 v24, 0
	;; [unrolled: 1-line block ×3, first 2 shown]
	s_and_b32 s12, s33, s14
	s_xor_b32 s65, s33, -1
	s_xor_b32 s66, s12, -1
	s_mov_b32 s67, 0
	s_branch .LBB10_5
.LBB10_4:                               ;   in Loop: Header=BB10_5 Depth=1
	s_or_b32 exec_lo, exec_lo, s12
	s_and_b32 s12, exec_lo, s13
	s_or_b32 s59, s12, s59
	s_andn2_b32 exec_lo, exec_lo, s59
	s_cbranch_execz .LBB10_145
.LBB10_5:                               ; =>This Loop Header: Depth=1
                                        ;     Child Loop BB10_9 Depth 2
                                        ;       Child Loop BB10_14 Depth 3
                                        ;         Child Loop BB10_18 Depth 4
                                        ;         Child Loop BB10_39 Depth 4
	;; [unrolled: 1-line block ×5, first 2 shown]
                                        ;     Child Loop BB10_124 Depth 2
                                        ;       Child Loop BB10_127 Depth 3
                                        ;       Child Loop BB10_130 Depth 3
	v_cndmask_b32_e64 v24, v24, 0, s33
	v_cndmask_b32_e64 v20, v20, 0, s14
	s_mov_b32 s68, 0
	s_branch .LBB10_9
.LBB10_6:                               ;   in Loop: Header=BB10_9 Depth=2
	s_or_b32 exec_lo, exec_lo, s71
.LBB10_7:                               ;   in Loop: Header=BB10_9 Depth=2
	s_or_b32 exec_lo, exec_lo, s70
.LBB10_8:                               ;   in Loop: Header=BB10_9 Depth=2
	s_or_b32 exec_lo, exec_lo, s69
	s_add_i32 s68, s68, 1
	s_cmp_eq_u32 s68, 8
	s_cbranch_scc1 .LBB10_85
.LBB10_9:                               ;   Parent Loop BB10_5 Depth=1
                                        ; =>  This Loop Header: Depth=2
                                        ;       Child Loop BB10_14 Depth 3
                                        ;         Child Loop BB10_18 Depth 4
                                        ;         Child Loop BB10_39 Depth 4
	;; [unrolled: 1-line block ×5, first 2 shown]
	v_lshl_add_u32 v3, s68, 7, v25
	s_mov_b32 s69, exec_lo
	v_cmpx_gt_i32_e64 s35, v3
	s_cbranch_execz .LBB10_8
; %bb.10:                               ;   in Loop: Header=BB10_9 Depth=2
	v_ashrrev_i32_e32 v4, 31, v3
	s_mov_b32 s70, exec_lo
	v_lshlrev_b64 v[5:6], 2, v[3:4]
	v_add_co_u32 v7, vcc_lo, s36, v5
	v_add_co_ci_u32_e64 v8, null, s37, v6, vcc_lo
	v_add_co_u32 v9, vcc_lo, s38, v5
	v_add_co_ci_u32_e64 v10, null, s39, v6, vcc_lo
	global_load_dword v1, v[7:8], off
	global_load_dword v7, v[9:10], off
	s_waitcnt vmcnt(1)
	v_add_nc_u32_e32 v4, v27, v1
	s_waitcnt vmcnt(0)
	v_subrev_nc_u32_e32 v30, s61, v7
	v_cmpx_lt_i32_e64 v4, v30
	s_cbranch_execz .LBB10_7
; %bb.11:                               ;   in Loop: Header=BB10_9 Depth=2
	v_add_co_u32 v7, vcc_lo, s24, v5
	v_add_co_ci_u32_e64 v8, null, s25, v6, vcc_lo
	v_add_co_u32 v5, vcc_lo, s26, v5
	v_add_co_ci_u32_e64 v6, null, s27, v6, vcc_lo
	global_load_dword v1, v[7:8], off
	s_mov_b32 s71, 0
	global_load_dword v5, v[5:6], off
	s_waitcnt vmcnt(1)
	v_subrev_nc_u32_e32 v6, s62, v1
	s_waitcnt vmcnt(0)
	v_sub_nc_u32_e32 v31, v5, v1
	v_ashrrev_i32_e32 v7, 31, v6
	v_cmp_lt_i32_e64 s12, 0, v31
	v_lshlrev_b64 v[7:8], 2, v[6:7]
	v_add_co_u32 v32, vcc_lo, s28, v7
	v_add_co_ci_u32_e64 v33, null, s29, v8, vcc_lo
	v_add_co_u32 v34, vcc_lo, s30, v7
	v_add_co_ci_u32_e64 v35, null, s31, v8, vcc_lo
	s_branch .LBB10_14
.LBB10_12:                              ;   in Loop: Header=BB10_14 Depth=3
	s_or_b32 exec_lo, exec_lo, s72
.LBB10_13:                              ;   in Loop: Header=BB10_14 Depth=3
	s_or_b32 exec_lo, exec_lo, s13
	v_add_nc_u32_e32 v4, 8, v4
	v_cmp_ge_i32_e32 vcc_lo, v4, v30
	s_or_b32 s71, vcc_lo, s71
	s_andn2_b32 exec_lo, exec_lo, s71
	s_cbranch_execz .LBB10_6
.LBB10_14:                              ;   Parent Loop BB10_5 Depth=1
                                        ;     Parent Loop BB10_9 Depth=2
                                        ; =>    This Loop Header: Depth=3
                                        ;         Child Loop BB10_18 Depth 4
                                        ;         Child Loop BB10_39 Depth 4
	;; [unrolled: 1-line block ×5, first 2 shown]
	v_ashrrev_i32_e32 v5, 31, v4
	v_lshlrev_b64 v[13:14], 2, v[4:5]
	v_mov_b32_e32 v5, 0
	v_add_co_u32 v7, vcc_lo, s40, v13
	v_add_co_ci_u32_e64 v8, null, s41, v14, vcc_lo
	global_load_dword v1, v[7:8], off
	s_waitcnt vmcnt(0)
	v_subrev_nc_u32_e32 v9, s61, v1
	v_ashrrev_i32_e32 v10, 31, v9
	v_lshlrev_b64 v[7:8], 2, v[9:10]
	v_add_co_u32 v10, vcc_lo, s16, v7
	v_add_co_ci_u32_e64 v11, null, s17, v8, vcc_lo
	v_add_co_u32 v15, vcc_lo, s18, v7
	v_add_co_ci_u32_e64 v16, null, s19, v8, vcc_lo
	global_load_dword v1, v[10:11], off
	global_load_dword v12, v[15:16], off
	v_mov_b32_e32 v11, 0
	s_waitcnt vmcnt(1)
	v_subrev_nc_u32_e32 v10, s63, v1
	s_waitcnt vmcnt(0)
	v_sub_nc_u32_e32 v36, v12, v1
	v_mov_b32_e32 v1, v11
	s_and_saveexec_b32 s72, s12
	s_cbranch_execz .LBB10_22
; %bb.15:                               ;   in Loop: Header=BB10_14 Depth=3
	v_ashrrev_i32_e32 v11, 31, v10
	v_mov_b32_e32 v5, 0
	v_mov_b32_e32 v1, 0
	s_mov_b32 s73, 0
                                        ; implicit-def: $sgpr74
	v_lshlrev_b64 v[11:12], 2, v[10:11]
	v_add_co_u32 v37, vcc_lo, s20, v11
	v_add_co_ci_u32_e64 v38, null, s21, v12, vcc_lo
	v_add_co_u32 v39, vcc_lo, s22, v11
	v_add_co_ci_u32_e64 v40, null, s23, v12, vcc_lo
	v_mov_b32_e32 v11, 0
	s_branch .LBB10_18
.LBB10_16:                              ;   in Loop: Header=BB10_18 Depth=4
	s_or_b32 exec_lo, exec_lo, s13
	v_cmp_le_i32_e32 vcc_lo, v12, v41
	v_cmp_ge_i32_e64 s13, v12, v41
	v_add_co_ci_u32_e64 v1, null, 0, v1, vcc_lo
	v_add_co_ci_u32_e64 v11, null, 0, v11, s13
	s_andn2_b32 s13, s74, exec_lo
	v_cmp_ge_i32_e32 vcc_lo, v1, v31
	s_and_b32 s74, vcc_lo, exec_lo
	s_or_b32 s74, s13, s74
.LBB10_17:                              ;   in Loop: Header=BB10_18 Depth=4
	s_or_b32 exec_lo, exec_lo, s75
	s_and_b32 s13, exec_lo, s74
	s_or_b32 s73, s13, s73
	s_andn2_b32 exec_lo, exec_lo, s73
	s_cbranch_execz .LBB10_21
.LBB10_18:                              ;   Parent Loop BB10_5 Depth=1
                                        ;     Parent Loop BB10_9 Depth=2
                                        ;       Parent Loop BB10_14 Depth=3
                                        ; =>      This Inner Loop Header: Depth=4
	s_or_b32 s74, s74, exec_lo
	s_mov_b32 s75, exec_lo
	v_cmpx_lt_i32_e64 v11, v36
	s_cbranch_execz .LBB10_17
; %bb.19:                               ;   in Loop: Header=BB10_18 Depth=4
	v_mov_b32_e32 v12, v2
	v_lshlrev_b64 v[17:18], 2, v[1:2]
	s_mov_b32 s13, exec_lo
	v_lshlrev_b64 v[15:16], 2, v[11:12]
	v_add_co_u32 v41, vcc_lo, v32, v17
	v_add_co_ci_u32_e64 v42, null, v33, v18, vcc_lo
	v_add_co_u32 v43, vcc_lo, v37, v15
	v_add_co_ci_u32_e64 v44, null, v38, v16, vcc_lo
	global_load_dword v12, v[41:42], off
	global_load_dword v41, v[43:44], off
	s_waitcnt vmcnt(1)
	v_subrev_nc_u32_e32 v12, s62, v12
	s_waitcnt vmcnt(0)
	v_subrev_nc_u32_e32 v41, s63, v41
	v_cmpx_eq_u32_e64 v12, v41
	s_cbranch_execz .LBB10_16
; %bb.20:                               ;   in Loop: Header=BB10_18 Depth=4
	v_add_co_u32 v17, vcc_lo, v34, v17
	v_add_co_ci_u32_e64 v18, null, v35, v18, vcc_lo
	v_add_co_u32 v15, vcc_lo, v39, v15
	v_add_co_ci_u32_e64 v16, null, v40, v16, vcc_lo
	global_load_dword v17, v[17:18], off
	global_load_dword v15, v[15:16], off
	s_waitcnt vmcnt(0)
	v_fmac_f32_e32 v5, v17, v15
	s_branch .LBB10_16
.LBB10_21:                              ;   in Loop: Header=BB10_14 Depth=3
	s_or_b32 exec_lo, exec_lo, s73
.LBB10_22:                              ;   in Loop: Header=BB10_14 Depth=3
	s_or_b32 exec_lo, exec_lo, s72
	v_add_co_u32 v12, vcc_lo, s42, v13
	v_add_co_ci_u32_e64 v13, null, s43, v14, vcc_lo
	v_cmp_le_i32_e64 s13, v3, v9
	s_mov_b32 s72, exec_lo
	global_load_dword v14, v[12:13], off
	s_waitcnt vmcnt(0)
	v_sub_f32_e32 v15, v14, v5
	v_cmpx_gt_i32_e64 v3, v9
	s_cbranch_execnz .LBB10_25
; %bb.23:                               ;   in Loop: Header=BB10_14 Depth=3
	s_or_b32 exec_lo, exec_lo, s72
	v_cmp_class_f32_e64 s72, v15, 0x1f8
	s_and_saveexec_b32 s73, s72
	s_cbranch_execnz .LBB10_28
.LBB10_24:                              ;   in Loop: Header=BB10_14 Depth=3
	s_or_b32 exec_lo, exec_lo, s73
	s_and_b32 s72, s14, s72
	s_and_saveexec_b32 s13, s72
	s_cbranch_execz .LBB10_13
	s_branch .LBB10_63
.LBB10_25:                              ;   in Loop: Header=BB10_14 Depth=3
	v_add_co_u32 v12, vcc_lo, s48, v7
	v_add_co_ci_u32_e64 v13, null, s49, v8, vcc_lo
	s_mov_b32 s73, exec_lo
	global_load_dword v12, v[12:13], off
	v_mov_b32_e32 v13, 0
	s_waitcnt vmcnt(0)
	v_cmpx_lg_f32_e32 0, v12
	s_cbranch_execz .LBB10_27
; %bb.26:                               ;   in Loop: Header=BB10_14 Depth=3
	v_div_scale_f32 v13, null, v12, v12, v15
	v_rcp_f32_e32 v16, v13
	v_fma_f32 v17, -v13, v16, 1.0
	v_fmac_f32_e32 v16, v17, v16
	v_div_scale_f32 v17, vcc_lo, v15, v12, v15
	v_mul_f32_e32 v18, v17, v16
	v_fma_f32 v37, -v13, v18, v17
	v_fmac_f32_e32 v18, v37, v16
	v_fma_f32 v13, -v13, v18, v17
	v_div_fmas_f32 v13, v13, v16, v18
	v_div_fixup_f32 v13, v13, v12, v15
.LBB10_27:                              ;   in Loop: Header=BB10_14 Depth=3
	s_or_b32 exec_lo, exec_lo, s73
	v_mov_b32_e32 v15, v13
	s_or_b32 exec_lo, exec_lo, s72
	v_cmp_class_f32_e64 s72, v15, 0x1f8
	s_and_saveexec_b32 s73, s72
	s_cbranch_execz .LBB10_24
.LBB10_28:                              ;   in Loop: Header=BB10_14 Depth=3
	s_and_saveexec_b32 s74, s13
	s_xor_b32 s13, exec_lo, s74
	s_cbranch_execz .LBB10_49
; %bb.29:                               ;   in Loop: Header=BB10_14 Depth=3
	s_mov_b32 s74, exec_lo
	v_cmpx_ge_i32_e64 v3, v9
	s_xor_b32 s74, exec_lo, s74
	s_cbranch_execz .LBB10_35
; %bb.30:                               ;   in Loop: Header=BB10_14 Depth=3
	v_add_co_u32 v12, vcc_lo, s50, v7
	v_add_co_ci_u32_e64 v13, null, s51, v8, vcc_lo
	s_andn2_b32 vcc_lo, exec_lo, s33
	global_store_dword v[12:13], v15, off
	s_cbranch_vccnz .LBB10_34
; %bb.31:                               ;   in Loop: Header=BB10_14 Depth=3
	v_add_co_u32 v12, vcc_lo, s48, v7
	v_add_co_ci_u32_e64 v13, null, s49, v8, vcc_lo
	global_load_dword v12, v[12:13], off
	s_waitcnt vmcnt(0)
	v_sub_f32_e32 v12, v12, v15
	v_cmp_class_f32_e64 s76, v12, 0x1f8
	s_and_saveexec_b32 s75, s76
; %bb.32:                               ;   in Loop: Header=BB10_14 Depth=3
	v_cmp_lt_f32_e64 s76, v24, |v12|
	v_cndmask_b32_e64 v24, v24, |v12|, s76
; %bb.33:                               ;   in Loop: Header=BB10_14 Depth=3
	s_or_b32 exec_lo, exec_lo, s75
.LBB10_34:                              ;   in Loop: Header=BB10_14 Depth=3
                                        ; implicit-def: $vgpr15
.LBB10_35:                              ;   in Loop: Header=BB10_14 Depth=3
	s_andn2_saveexec_b32 s74, s74
	s_cbranch_execz .LBB10_48
; %bb.36:                               ;   in Loop: Header=BB10_14 Depth=3
	s_mov_b32 s75, exec_lo
	v_cmpx_lt_i32_e64 v11, v36
	s_cbranch_execz .LBB10_47
; %bb.37:                               ;   in Loop: Header=BB10_14 Depth=3
	v_mov_b32_e32 v16, v11
	s_mov_b32 s76, 0
                                        ; implicit-def: $sgpr77
                                        ; implicit-def: $sgpr79
                                        ; implicit-def: $sgpr78
	s_inst_prefetch 0x1
	s_branch .LBB10_39
	.p2align	6
.LBB10_38:                              ;   in Loop: Header=BB10_39 Depth=4
	s_or_b32 exec_lo, exec_lo, s80
	s_and_b32 s80, exec_lo, s79
	s_or_b32 s76, s80, s76
	s_andn2_b32 s77, s77, exec_lo
	s_and_b32 s80, s78, exec_lo
	s_or_b32 s77, s77, s80
	s_andn2_b32 exec_lo, exec_lo, s76
	s_cbranch_execz .LBB10_41
.LBB10_39:                              ;   Parent Loop BB10_5 Depth=1
                                        ;     Parent Loop BB10_9 Depth=2
                                        ;       Parent Loop BB10_14 Depth=3
                                        ; =>      This Inner Loop Header: Depth=4
	v_add_nc_u32_e32 v12, v10, v16
	s_or_b32 s78, s78, exec_lo
	s_or_b32 s79, s79, exec_lo
	s_mov_b32 s80, exec_lo
	v_ashrrev_i32_e32 v13, 31, v12
	v_lshlrev_b64 v[12:13], 2, v[12:13]
	v_add_co_u32 v17, vcc_lo, s20, v12
	v_add_co_ci_u32_e64 v18, null, s21, v13, vcc_lo
	global_load_dword v17, v[17:18], off
	s_waitcnt vmcnt(0)
	v_subrev_nc_u32_e32 v17, s63, v17
	v_cmpx_ne_u32_e64 v17, v3
	s_cbranch_execz .LBB10_38
; %bb.40:                               ;   in Loop: Header=BB10_39 Depth=4
	v_add_nc_u32_e32 v16, 1, v16
	s_andn2_b32 s79, s79, exec_lo
	s_andn2_b32 s78, s78, exec_lo
	v_cmp_ge_i32_e32 vcc_lo, v16, v36
	s_and_b32 s81, vcc_lo, exec_lo
	s_or_b32 s79, s79, s81
	s_branch .LBB10_38
.LBB10_41:                              ;   in Loop: Header=BB10_14 Depth=3
	s_inst_prefetch 0x2
	s_or_b32 exec_lo, exec_lo, s76
	s_and_saveexec_b32 s76, s77
	s_xor_b32 s76, exec_lo, s76
	s_cbranch_execz .LBB10_46
; %bb.42:                               ;   in Loop: Header=BB10_14 Depth=3
	v_add_co_u32 v16, vcc_lo, s52, v12
	v_add_co_ci_u32_e64 v17, null, s53, v13, vcc_lo
	s_andn2_b32 vcc_lo, exec_lo, s33
	global_store_dword v[16:17], v15, off
	s_cbranch_vccnz .LBB10_46
; %bb.43:                               ;   in Loop: Header=BB10_14 Depth=3
	v_add_co_u32 v12, vcc_lo, s22, v12
	v_add_co_ci_u32_e64 v13, null, s23, v13, vcc_lo
	global_load_dword v12, v[12:13], off
	s_waitcnt vmcnt(0)
	v_sub_f32_e32 v12, v12, v15
	v_cmp_class_f32_e64 s78, v12, 0x1f8
	s_and_saveexec_b32 s77, s78
; %bb.44:                               ;   in Loop: Header=BB10_14 Depth=3
	v_cmp_lt_f32_e64 s78, v24, |v12|
	v_cndmask_b32_e64 v24, v24, |v12|, s78
; %bb.45:                               ;   in Loop: Header=BB10_14 Depth=3
	s_or_b32 exec_lo, exec_lo, s77
.LBB10_46:                              ;   in Loop: Header=BB10_14 Depth=3
	s_or_b32 exec_lo, exec_lo, s76
.LBB10_47:                              ;   in Loop: Header=BB10_14 Depth=3
	s_or_b32 exec_lo, exec_lo, s75
.LBB10_48:                              ;   in Loop: Header=BB10_14 Depth=3
	s_or_b32 exec_lo, exec_lo, s74
                                        ; implicit-def: $vgpr15
.LBB10_49:                              ;   in Loop: Header=BB10_14 Depth=3
	s_andn2_saveexec_b32 s13, s13
	s_cbranch_execz .LBB10_62
; %bb.50:                               ;   in Loop: Header=BB10_14 Depth=3
	s_mov_b32 s74, exec_lo
	v_cmpx_lt_i32_e64 v1, v31
	s_cbranch_execz .LBB10_61
; %bb.51:                               ;   in Loop: Header=BB10_14 Depth=3
	v_mov_b32_e32 v16, v1
	s_mov_b32 s75, 0
                                        ; implicit-def: $sgpr76
                                        ; implicit-def: $sgpr78
                                        ; implicit-def: $sgpr77
	s_inst_prefetch 0x1
	s_branch .LBB10_53
	.p2align	6
.LBB10_52:                              ;   in Loop: Header=BB10_53 Depth=4
	s_or_b32 exec_lo, exec_lo, s79
	s_and_b32 s79, exec_lo, s78
	s_or_b32 s75, s79, s75
	s_andn2_b32 s76, s76, exec_lo
	s_and_b32 s79, s77, exec_lo
	s_or_b32 s76, s76, s79
	s_andn2_b32 exec_lo, exec_lo, s75
	s_cbranch_execz .LBB10_55
.LBB10_53:                              ;   Parent Loop BB10_5 Depth=1
                                        ;     Parent Loop BB10_9 Depth=2
                                        ;       Parent Loop BB10_14 Depth=3
                                        ; =>      This Inner Loop Header: Depth=4
	v_add_nc_u32_e32 v12, v6, v16
	s_or_b32 s77, s77, exec_lo
	s_or_b32 s78, s78, exec_lo
	s_mov_b32 s79, exec_lo
	v_ashrrev_i32_e32 v13, 31, v12
	v_lshlrev_b64 v[12:13], 2, v[12:13]
	v_add_co_u32 v17, vcc_lo, s28, v12
	v_add_co_ci_u32_e64 v18, null, s29, v13, vcc_lo
	global_load_dword v17, v[17:18], off
	s_waitcnt vmcnt(0)
	v_subrev_nc_u32_e32 v17, s62, v17
	v_cmpx_ne_u32_e64 v17, v9
	s_cbranch_execz .LBB10_52
; %bb.54:                               ;   in Loop: Header=BB10_53 Depth=4
	v_add_nc_u32_e32 v16, 1, v16
	s_andn2_b32 s78, s78, exec_lo
	s_andn2_b32 s77, s77, exec_lo
	v_cmp_ge_i32_e32 vcc_lo, v16, v31
	s_and_b32 s80, vcc_lo, exec_lo
	s_or_b32 s78, s78, s80
	s_branch .LBB10_52
.LBB10_55:                              ;   in Loop: Header=BB10_14 Depth=3
	s_inst_prefetch 0x2
	s_or_b32 exec_lo, exec_lo, s75
	s_and_saveexec_b32 s75, s76
	s_xor_b32 s75, exec_lo, s75
	s_cbranch_execz .LBB10_60
; %bb.56:                               ;   in Loop: Header=BB10_14 Depth=3
	v_add_co_u32 v16, vcc_lo, s54, v12
	v_add_co_ci_u32_e64 v17, null, s55, v13, vcc_lo
	s_andn2_b32 vcc_lo, exec_lo, s33
	global_store_dword v[16:17], v15, off
	s_cbranch_vccnz .LBB10_60
; %bb.57:                               ;   in Loop: Header=BB10_14 Depth=3
	v_add_co_u32 v12, vcc_lo, s30, v12
	v_add_co_ci_u32_e64 v13, null, s31, v13, vcc_lo
	global_load_dword v12, v[12:13], off
	s_waitcnt vmcnt(0)
	v_sub_f32_e32 v12, v12, v15
	v_cmp_class_f32_e64 s77, v12, 0x1f8
	s_and_saveexec_b32 s76, s77
; %bb.58:                               ;   in Loop: Header=BB10_14 Depth=3
	v_cmp_lt_f32_e64 s77, v24, |v12|
	v_cndmask_b32_e64 v24, v24, |v12|, s77
; %bb.59:                               ;   in Loop: Header=BB10_14 Depth=3
	s_or_b32 exec_lo, exec_lo, s76
.LBB10_60:                              ;   in Loop: Header=BB10_14 Depth=3
	s_or_b32 exec_lo, exec_lo, s75
.LBB10_61:                              ;   in Loop: Header=BB10_14 Depth=3
	s_or_b32 exec_lo, exec_lo, s74
.LBB10_62:                              ;   in Loop: Header=BB10_14 Depth=3
	s_or_b32 exec_lo, exec_lo, s13
	s_or_b32 exec_lo, exec_lo, s73
	s_and_b32 s72, s14, s72
	s_and_saveexec_b32 s13, s72
	s_cbranch_execz .LBB10_13
.LBB10_63:                              ;   in Loop: Header=BB10_14 Depth=3
	s_mov_b32 s72, exec_lo
	v_cmpx_ge_i32_e64 v11, v36
	s_xor_b32 s72, exec_lo, s72
	s_cbranch_execnz .LBB10_69
; %bb.64:                               ;   in Loop: Header=BB10_14 Depth=3
	s_andn2_saveexec_b32 s72, s72
	s_cbranch_execnz .LBB10_78
.LBB10_65:                              ;   in Loop: Header=BB10_14 Depth=3
	s_or_b32 exec_lo, exec_lo, s72
	s_mov_b32 s72, exec_lo
	v_cmpx_eq_u32_e64 v3, v9
	s_cbranch_execz .LBB10_67
.LBB10_66:                              ;   in Loop: Header=BB10_14 Depth=3
	v_add_co_u32 v7, vcc_lo, s48, v7
	v_add_co_ci_u32_e64 v8, null, s49, v8, vcc_lo
	global_load_dword v1, v[7:8], off
	s_waitcnt vmcnt(0)
	v_add_f32_e32 v5, v5, v1
.LBB10_67:                              ;   in Loop: Header=BB10_14 Depth=3
	s_or_b32 exec_lo, exec_lo, s72
	v_sub_f32_e32 v1, v14, v5
	v_cmp_class_f32_e64 s73, v1, 0x1f8
	s_and_saveexec_b32 s72, s73
	s_cbranch_execz .LBB10_12
; %bb.68:                               ;   in Loop: Header=BB10_14 Depth=3
	v_cmp_lt_f32_e64 s73, v20, |v1|
	v_cndmask_b32_e64 v20, v20, |v1|, s73
	s_branch .LBB10_12
.LBB10_69:                              ;   in Loop: Header=BB10_14 Depth=3
	s_mov_b32 s73, exec_lo
	v_cmpx_lt_i32_e64 v1, v31
	s_cbranch_execz .LBB10_77
; %bb.70:                               ;   in Loop: Header=BB10_14 Depth=3
	s_mov_b32 s74, 0
                                        ; implicit-def: $sgpr75
                                        ; implicit-def: $sgpr77
                                        ; implicit-def: $sgpr76
	s_inst_prefetch 0x1
	s_branch .LBB10_72
	.p2align	6
.LBB10_71:                              ;   in Loop: Header=BB10_72 Depth=4
	s_or_b32 exec_lo, exec_lo, s78
	s_and_b32 s78, exec_lo, s77
	s_or_b32 s74, s78, s74
	s_andn2_b32 s75, s75, exec_lo
	s_and_b32 s78, s76, exec_lo
	s_or_b32 s75, s75, s78
	s_andn2_b32 exec_lo, exec_lo, s74
	s_cbranch_execz .LBB10_74
.LBB10_72:                              ;   Parent Loop BB10_5 Depth=1
                                        ;     Parent Loop BB10_9 Depth=2
                                        ;       Parent Loop BB10_14 Depth=3
                                        ; =>      This Inner Loop Header: Depth=4
	v_add_nc_u32_e32 v10, v6, v1
	s_or_b32 s76, s76, exec_lo
	s_or_b32 s77, s77, exec_lo
	s_mov_b32 s78, exec_lo
	v_ashrrev_i32_e32 v11, 31, v10
	v_lshlrev_b64 v[10:11], 2, v[10:11]
	v_add_co_u32 v12, vcc_lo, s28, v10
	v_add_co_ci_u32_e64 v13, null, s29, v11, vcc_lo
	global_load_dword v12, v[12:13], off
	s_waitcnt vmcnt(0)
	v_subrev_nc_u32_e32 v12, s62, v12
	v_cmpx_ne_u32_e64 v12, v9
	s_cbranch_execz .LBB10_71
; %bb.73:                               ;   in Loop: Header=BB10_72 Depth=4
	v_add_nc_u32_e32 v1, 1, v1
	s_andn2_b32 s77, s77, exec_lo
	s_andn2_b32 s76, s76, exec_lo
	v_cmp_ge_i32_e32 vcc_lo, v1, v31
	s_and_b32 s79, vcc_lo, exec_lo
	s_or_b32 s77, s77, s79
	s_branch .LBB10_71
.LBB10_74:                              ;   in Loop: Header=BB10_14 Depth=3
	s_inst_prefetch 0x2
	s_or_b32 exec_lo, exec_lo, s74
	s_and_saveexec_b32 s74, s75
	s_xor_b32 s74, exec_lo, s74
	s_cbranch_execz .LBB10_76
; %bb.75:                               ;   in Loop: Header=BB10_14 Depth=3
	v_add_co_u32 v10, vcc_lo, s30, v10
	v_add_co_ci_u32_e64 v11, null, s31, v11, vcc_lo
	v_add_co_u32 v12, vcc_lo, s48, v7
	v_add_co_ci_u32_e64 v13, null, s49, v8, vcc_lo
	global_load_dword v1, v[10:11], off
	global_load_dword v10, v[12:13], off
	s_waitcnt vmcnt(0)
	v_fmac_f32_e32 v5, v1, v10
.LBB10_76:                              ;   in Loop: Header=BB10_14 Depth=3
	s_or_b32 exec_lo, exec_lo, s74
.LBB10_77:                              ;   in Loop: Header=BB10_14 Depth=3
	s_or_b32 exec_lo, exec_lo, s73
                                        ; implicit-def: $vgpr11
                                        ; implicit-def: $vgpr10
                                        ; implicit-def: $vgpr36
	s_andn2_saveexec_b32 s72, s72
	s_cbranch_execz .LBB10_65
.LBB10_78:                              ;   in Loop: Header=BB10_14 Depth=3
	s_mov_b32 s73, 0
                                        ; implicit-def: $sgpr74
                                        ; implicit-def: $sgpr76
                                        ; implicit-def: $sgpr75
	s_inst_prefetch 0x1
	s_branch .LBB10_80
	.p2align	6
.LBB10_79:                              ;   in Loop: Header=BB10_80 Depth=4
	s_or_b32 exec_lo, exec_lo, s77
	s_and_b32 s77, exec_lo, s76
	s_or_b32 s73, s77, s73
	s_andn2_b32 s74, s74, exec_lo
	s_and_b32 s77, s75, exec_lo
	s_or_b32 s74, s74, s77
	s_andn2_b32 exec_lo, exec_lo, s73
	s_cbranch_execz .LBB10_82
.LBB10_80:                              ;   Parent Loop BB10_5 Depth=1
                                        ;     Parent Loop BB10_9 Depth=2
                                        ;       Parent Loop BB10_14 Depth=3
                                        ; =>      This Inner Loop Header: Depth=4
	v_add_nc_u32_e32 v12, v10, v11
	s_or_b32 s75, s75, exec_lo
	s_or_b32 s76, s76, exec_lo
	s_mov_b32 s77, exec_lo
	v_ashrrev_i32_e32 v13, 31, v12
	v_lshlrev_b64 v[12:13], 2, v[12:13]
	v_add_co_u32 v15, vcc_lo, s20, v12
	v_add_co_ci_u32_e64 v16, null, s21, v13, vcc_lo
	global_load_dword v1, v[15:16], off
	s_waitcnt vmcnt(0)
	v_subrev_nc_u32_e32 v1, s63, v1
	v_cmpx_ne_u32_e64 v1, v3
	s_cbranch_execz .LBB10_79
; %bb.81:                               ;   in Loop: Header=BB10_80 Depth=4
	v_add_nc_u32_e32 v11, 1, v11
	s_andn2_b32 s76, s76, exec_lo
	s_andn2_b32 s75, s75, exec_lo
	v_cmp_ge_i32_e32 vcc_lo, v11, v36
	s_and_b32 s78, vcc_lo, exec_lo
	s_or_b32 s76, s76, s78
	s_branch .LBB10_79
.LBB10_82:                              ;   in Loop: Header=BB10_14 Depth=3
	s_inst_prefetch 0x2
	s_or_b32 exec_lo, exec_lo, s73
	s_and_saveexec_b32 s73, s74
	s_xor_b32 s73, exec_lo, s73
	s_cbranch_execz .LBB10_84
; %bb.83:                               ;   in Loop: Header=BB10_14 Depth=3
	v_add_co_u32 v10, vcc_lo, s22, v12
	v_add_co_ci_u32_e64 v11, null, s23, v13, vcc_lo
	global_load_dword v1, v[10:11], off
	s_waitcnt vmcnt(0)
	v_add_f32_e32 v5, v5, v1
.LBB10_84:                              ;   in Loop: Header=BB10_14 Depth=3
	s_or_b32 exec_lo, exec_lo, s73
	s_or_b32 exec_lo, exec_lo, s72
	s_mov_b32 s72, exec_lo
	v_cmpx_eq_u32_e64 v3, v9
	s_cbranch_execnz .LBB10_66
	s_branch .LBB10_67
.LBB10_85:                              ;   in Loop: Header=BB10_5 Depth=1
	v_xor_b32_e32 v4, 4, v23
	v_xor_b32_e32 v3, 2, v23
	;; [unrolled: 1-line block ×3, first 2 shown]
	s_and_b32 vcc_lo, exec_lo, s33
	s_cbranch_vccnz .LBB10_88
; %bb.86:                               ;   in Loop: Header=BB10_5 Depth=1
	s_andn2_b32 vcc_lo, exec_lo, s14
	s_cbranch_vccz .LBB10_105
.LBB10_87:                              ;   in Loop: Header=BB10_5 Depth=1
	s_and_saveexec_b32 s13, s9
	s_cbranch_execnz .LBB10_122
	s_branch .LBB10_133
.LBB10_88:                              ;   in Loop: Header=BB10_5 Depth=1
	v_cmp_gt_i32_e32 vcc_lo, 32, v4
	v_cndmask_b32_e32 v5, v23, v4, vcc_lo
	v_cmp_gt_i32_e32 vcc_lo, 32, v3
	v_lshlrev_b32_e32 v5, 2, v5
	v_cndmask_b32_e32 v6, v23, v3, vcc_lo
	ds_bpermute_b32 v5, v5, v24
	v_lshlrev_b32_e32 v6, 2, v6
	s_waitcnt lgkmcnt(0)
	v_cmp_lt_f32_e32 vcc_lo, v24, v5
	v_cndmask_b32_e32 v5, v24, v5, vcc_lo
	v_cmp_gt_i32_e32 vcc_lo, 32, v1
	ds_bpermute_b32 v6, v6, v5
	v_cndmask_b32_e32 v7, v23, v1, vcc_lo
	s_waitcnt lgkmcnt(0)
	v_cmp_lt_f32_e32 vcc_lo, v5, v6
	v_cndmask_b32_e32 v5, v5, v6, vcc_lo
	v_lshlrev_b32_e32 v6, 2, v7
	ds_bpermute_b32 v6, v6, v5
	s_and_saveexec_b32 s12, s0
	s_cbranch_execz .LBB10_90
; %bb.89:                               ;   in Loop: Header=BB10_5 Depth=1
	s_waitcnt lgkmcnt(0)
	v_cmp_lt_f32_e32 vcc_lo, v5, v6
	v_cndmask_b32_e32 v5, v5, v6, vcc_lo
	ds_write_b32 v26, v5
.LBB10_90:                              ;   in Loop: Header=BB10_5 Depth=1
	s_or_b32 exec_lo, exec_lo, s12
	s_waitcnt lgkmcnt(0)
	s_waitcnt_vscnt null, 0x0
	s_barrier
	buffer_gl0_inv
	s_and_saveexec_b32 s12, s1
	s_cbranch_execz .LBB10_92
; %bb.91:                               ;   in Loop: Header=BB10_5 Depth=1
	ds_read2st64_b32 v[5:6], v19 offset1:1
	s_waitcnt lgkmcnt(0)
	v_cmp_lt_f32_e32 vcc_lo, v5, v6
	v_cndmask_b32_e32 v5, v5, v6, vcc_lo
	ds_write_b32 v19, v5
.LBB10_92:                              ;   in Loop: Header=BB10_5 Depth=1
	s_or_b32 exec_lo, exec_lo, s12
	s_waitcnt lgkmcnt(0)
	s_barrier
	buffer_gl0_inv
	s_and_saveexec_b32 s12, s2
	s_cbranch_execz .LBB10_94
; %bb.93:                               ;   in Loop: Header=BB10_5 Depth=1
	ds_read2_b32 v[5:6], v19 offset1:32
	s_waitcnt lgkmcnt(0)
	v_cmp_lt_f32_e32 vcc_lo, v5, v6
	v_cndmask_b32_e32 v5, v5, v6, vcc_lo
	ds_write_b32 v19, v5
.LBB10_94:                              ;   in Loop: Header=BB10_5 Depth=1
	s_or_b32 exec_lo, exec_lo, s12
	s_waitcnt lgkmcnt(0)
	s_barrier
	buffer_gl0_inv
	s_and_saveexec_b32 s12, s3
	s_cbranch_execz .LBB10_96
; %bb.95:                               ;   in Loop: Header=BB10_5 Depth=1
	ds_read2_b32 v[5:6], v19 offset1:16
	s_waitcnt lgkmcnt(0)
	v_cmp_lt_f32_e32 vcc_lo, v5, v6
	v_cndmask_b32_e32 v5, v5, v6, vcc_lo
	ds_write_b32 v19, v5
.LBB10_96:                              ;   in Loop: Header=BB10_5 Depth=1
	;; [unrolled: 13-line block ×3, first 2 shown]
	s_or_b32 exec_lo, exec_lo, s12
	s_waitcnt lgkmcnt(0)
	s_barrier
	buffer_gl0_inv
	s_and_saveexec_b32 s12, s7
	s_cbranch_execz .LBB10_100
; %bb.99:                               ;   in Loop: Header=BB10_5 Depth=1
	ds_read2_b32 v[5:6], v19 offset1:4
	s_waitcnt lgkmcnt(0)
	v_cmp_lt_f32_e32 vcc_lo, v5, v6
	v_cndmask_b32_e32 v5, v5, v6, vcc_lo
	ds_write_b32 v19, v5
.LBB10_100:                             ;   in Loop: Header=BB10_5 Depth=1
	s_or_b32 exec_lo, exec_lo, s12
	s_waitcnt lgkmcnt(0)
	s_barrier
	buffer_gl0_inv
	s_and_saveexec_b32 s12, s8
	s_cbranch_execz .LBB10_102
; %bb.101:                              ;   in Loop: Header=BB10_5 Depth=1
	ds_read2_b32 v[5:6], v19 offset1:2
	s_waitcnt lgkmcnt(0)
	v_cmp_lt_f32_e32 vcc_lo, v5, v6
	v_cndmask_b32_e32 v5, v5, v6, vcc_lo
	ds_write_b32 v19, v5
.LBB10_102:                             ;   in Loop: Header=BB10_5 Depth=1
	s_or_b32 exec_lo, exec_lo, s12
	s_waitcnt lgkmcnt(0)
	s_barrier
	buffer_gl0_inv
	s_and_saveexec_b32 s12, s10
	s_cbranch_execz .LBB10_104
; %bb.103:                              ;   in Loop: Header=BB10_5 Depth=1
	ds_read_b64 v[5:6], v2
	s_waitcnt lgkmcnt(0)
	v_cmp_lt_f32_e32 vcc_lo, v5, v6
	v_cndmask_b32_e32 v5, v5, v6, vcc_lo
	ds_write_b32 v2, v5
.LBB10_104:                             ;   in Loop: Header=BB10_5 Depth=1
	s_or_b32 exec_lo, exec_lo, s12
	s_waitcnt lgkmcnt(0)
	s_barrier
	buffer_gl0_inv
	ds_read_b32 v5, v2
	s_load_dword s12, s[56:57], 0x0
	s_waitcnt lgkmcnt(0)
	v_div_scale_f32 v6, null, s12, s12, v5
	v_rcp_f32_e32 v7, v6
	v_fma_f32 v8, -v6, v7, 1.0
	v_fmac_f32_e32 v7, v8, v7
	v_div_scale_f32 v8, vcc_lo, v5, s12, v5
	v_mul_f32_e32 v9, v8, v7
	v_fma_f32 v10, -v6, v9, v8
	v_fmac_f32_e32 v9, v10, v7
	v_fma_f32 v6, -v6, v9, v8
	v_div_fmas_f32 v6, v6, v7, v9
	v_div_fixup_f32 v24, v6, s12, v5
	s_andn2_b32 vcc_lo, exec_lo, s14
	s_cbranch_vccnz .LBB10_87
.LBB10_105:                             ;   in Loop: Header=BB10_5 Depth=1
	v_cmp_gt_i32_e32 vcc_lo, 32, v4
	v_cndmask_b32_e32 v4, v23, v4, vcc_lo
	v_cmp_gt_i32_e32 vcc_lo, 32, v3
	v_lshlrev_b32_e32 v4, 2, v4
	v_cndmask_b32_e32 v3, v23, v3, vcc_lo
	ds_bpermute_b32 v4, v4, v20
	v_lshlrev_b32_e32 v3, 2, v3
	s_waitcnt lgkmcnt(0)
	v_cmp_lt_f32_e32 vcc_lo, v20, v4
	v_cndmask_b32_e32 v4, v20, v4, vcc_lo
	v_cmp_gt_i32_e32 vcc_lo, 32, v1
	ds_bpermute_b32 v3, v3, v4
	v_cndmask_b32_e32 v5, v23, v1, vcc_lo
	s_waitcnt lgkmcnt(0)
	v_cmp_lt_f32_e32 vcc_lo, v4, v3
	v_cndmask_b32_e32 v1, v4, v3, vcc_lo
	v_lshlrev_b32_e32 v3, 2, v5
	ds_bpermute_b32 v3, v3, v1
	s_and_saveexec_b32 s12, s0
	s_cbranch_execz .LBB10_107
; %bb.106:                              ;   in Loop: Header=BB10_5 Depth=1
	s_waitcnt lgkmcnt(0)
	v_cmp_lt_f32_e32 vcc_lo, v1, v3
	v_cndmask_b32_e32 v1, v1, v3, vcc_lo
	ds_write_b32 v26, v1
.LBB10_107:                             ;   in Loop: Header=BB10_5 Depth=1
	s_or_b32 exec_lo, exec_lo, s12
	s_waitcnt lgkmcnt(0)
	s_waitcnt_vscnt null, 0x0
	s_barrier
	buffer_gl0_inv
	s_and_saveexec_b32 s12, s1
	s_cbranch_execz .LBB10_109
; %bb.108:                              ;   in Loop: Header=BB10_5 Depth=1
	ds_read2st64_b32 v[3:4], v19 offset1:1
	s_waitcnt lgkmcnt(0)
	v_cmp_lt_f32_e32 vcc_lo, v3, v4
	v_cndmask_b32_e32 v1, v3, v4, vcc_lo
	ds_write_b32 v19, v1
.LBB10_109:                             ;   in Loop: Header=BB10_5 Depth=1
	s_or_b32 exec_lo, exec_lo, s12
	s_waitcnt lgkmcnt(0)
	s_barrier
	buffer_gl0_inv
	s_and_saveexec_b32 s12, s2
	s_cbranch_execz .LBB10_111
; %bb.110:                              ;   in Loop: Header=BB10_5 Depth=1
	ds_read2_b32 v[3:4], v19 offset1:32
	s_waitcnt lgkmcnt(0)
	v_cmp_lt_f32_e32 vcc_lo, v3, v4
	v_cndmask_b32_e32 v1, v3, v4, vcc_lo
	ds_write_b32 v19, v1
.LBB10_111:                             ;   in Loop: Header=BB10_5 Depth=1
	s_or_b32 exec_lo, exec_lo, s12
	s_waitcnt lgkmcnt(0)
	s_barrier
	buffer_gl0_inv
	s_and_saveexec_b32 s12, s3
	s_cbranch_execz .LBB10_113
; %bb.112:                              ;   in Loop: Header=BB10_5 Depth=1
	ds_read2_b32 v[3:4], v19 offset1:16
	s_waitcnt lgkmcnt(0)
	v_cmp_lt_f32_e32 vcc_lo, v3, v4
	v_cndmask_b32_e32 v1, v3, v4, vcc_lo
	ds_write_b32 v19, v1
.LBB10_113:                             ;   in Loop: Header=BB10_5 Depth=1
	;; [unrolled: 13-line block ×5, first 2 shown]
	s_or_b32 exec_lo, exec_lo, s12
	s_waitcnt lgkmcnt(0)
	s_barrier
	buffer_gl0_inv
	s_and_saveexec_b32 s12, s10
	s_cbranch_execz .LBB10_121
; %bb.120:                              ;   in Loop: Header=BB10_5 Depth=1
	ds_read_b64 v[3:4], v2
	s_waitcnt lgkmcnt(0)
	v_cmp_lt_f32_e32 vcc_lo, v3, v4
	v_cndmask_b32_e32 v1, v3, v4, vcc_lo
	ds_write_b32 v2, v1
.LBB10_121:                             ;   in Loop: Header=BB10_5 Depth=1
	s_or_b32 exec_lo, exec_lo, s12
	s_waitcnt lgkmcnt(0)
	s_barrier
	buffer_gl0_inv
	ds_read_b32 v1, v2
	s_load_dword s12, s[56:57], 0x0
	s_waitcnt lgkmcnt(0)
	v_div_scale_f32 v3, null, s12, s12, v1
	v_rcp_f32_e32 v4, v3
	v_fma_f32 v5, -v3, v4, 1.0
	v_fmac_f32_e32 v4, v5, v4
	v_div_scale_f32 v5, vcc_lo, v1, s12, v1
	v_mul_f32_e32 v6, v5, v4
	v_fma_f32 v7, -v3, v6, v5
	v_fmac_f32_e32 v6, v7, v4
	v_fma_f32 v3, -v3, v6, v5
	v_div_fmas_f32 v3, v3, v4, v6
	v_div_fixup_f32 v20, v3, s12, v1
	s_and_saveexec_b32 s13, s9
	s_cbranch_execz .LBB10_133
.LBB10_122:                             ;   in Loop: Header=BB10_5 Depth=1
	v_mov_b32_e32 v3, v25
	s_mov_b32 s68, 0
	s_branch .LBB10_124
.LBB10_123:                             ;   in Loop: Header=BB10_124 Depth=2
	s_or_b32 exec_lo, exec_lo, s69
	v_add_nc_u32_e32 v3, 0x80, v3
	v_cmp_le_u32_e32 vcc_lo, s64, v3
	s_or_b32 s68, vcc_lo, s68
	s_andn2_b32 exec_lo, exec_lo, s68
	s_cbranch_execz .LBB10_133
.LBB10_124:                             ;   Parent Loop BB10_5 Depth=1
                                        ; =>  This Loop Header: Depth=2
                                        ;       Child Loop BB10_127 Depth 3
                                        ;       Child Loop BB10_130 Depth 3
	s_mov_b32 s69, exec_lo
	v_cmpx_gt_i32_e64 s35, v3
	s_cbranch_execz .LBB10_123
; %bb.125:                              ;   in Loop: Header=BB10_124 Depth=2
	v_ashrrev_i32_e32 v4, 31, v3
	s_mov_b32 s70, exec_lo
	v_lshlrev_b64 v[4:5], 2, v[3:4]
	v_add_co_u32 v6, vcc_lo, s24, v4
	v_add_co_ci_u32_e64 v7, null, s25, v5, vcc_lo
	v_add_co_u32 v8, vcc_lo, s26, v4
	v_add_co_ci_u32_e64 v9, null, s27, v5, vcc_lo
	global_load_dword v1, v[6:7], off
	global_load_dword v7, v[8:9], off
	s_waitcnt vmcnt(1)
	v_add_nc_u32_e32 v6, v28, v1
	s_waitcnt vmcnt(0)
	v_subrev_nc_u32_e32 v1, s62, v7
	v_cmpx_lt_i32_e64 v6, v1
	s_cbranch_execz .LBB10_128
; %bb.126:                              ;   in Loop: Header=BB10_124 Depth=2
	v_ashrrev_i32_e32 v7, 31, v6
	s_mov_b32 s71, 0
	v_lshlrev_b64 v[9:10], 2, v[6:7]
	v_add_co_u32 v7, vcc_lo, s54, v9
	v_add_co_ci_u32_e64 v8, null, s55, v10, vcc_lo
	v_add_co_u32 v9, vcc_lo, s30, v9
	v_add_co_ci_u32_e64 v10, null, s31, v10, vcc_lo
	.p2align	6
.LBB10_127:                             ;   Parent Loop BB10_5 Depth=1
                                        ;     Parent Loop BB10_124 Depth=2
                                        ; =>    This Inner Loop Header: Depth=3
	global_load_dword v11, v[7:8], off
	v_add_nc_u32_e32 v6, 8, v6
	v_add_co_u32 v7, vcc_lo, v7, 32
	v_add_co_ci_u32_e64 v8, null, 0, v8, vcc_lo
	v_cmp_ge_i32_e32 vcc_lo, v6, v1
	s_or_b32 s71, vcc_lo, s71
	s_waitcnt vmcnt(0)
	global_store_dword v[9:10], v11, off
	v_add_co_u32 v9, s12, v9, 32
	v_add_co_ci_u32_e64 v10, null, 0, v10, s12
	s_andn2_b32 exec_lo, exec_lo, s71
	s_cbranch_execnz .LBB10_127
.LBB10_128:                             ;   in Loop: Header=BB10_124 Depth=2
	s_or_b32 exec_lo, exec_lo, s70
	v_add_co_u32 v6, vcc_lo, s16, v4
	v_add_co_ci_u32_e64 v7, null, s17, v5, vcc_lo
	v_add_co_u32 v8, vcc_lo, s18, v4
	v_add_co_ci_u32_e64 v9, null, s19, v5, vcc_lo
	global_load_dword v1, v[6:7], off
	global_load_dword v7, v[8:9], off
	s_mov_b32 s70, exec_lo
	s_waitcnt vmcnt(1)
	v_add_nc_u32_e32 v6, v29, v1
	s_waitcnt vmcnt(0)
	v_subrev_nc_u32_e32 v1, s63, v7
	v_cmpx_lt_i32_e64 v6, v1
	s_cbranch_execz .LBB10_131
; %bb.129:                              ;   in Loop: Header=BB10_124 Depth=2
	v_ashrrev_i32_e32 v7, 31, v6
	s_mov_b32 s71, 0
	v_lshlrev_b64 v[9:10], 2, v[6:7]
	v_add_co_u32 v7, vcc_lo, s52, v9
	v_add_co_ci_u32_e64 v8, null, s53, v10, vcc_lo
	v_add_co_u32 v9, vcc_lo, s22, v9
	v_add_co_ci_u32_e64 v10, null, s23, v10, vcc_lo
	.p2align	6
.LBB10_130:                             ;   Parent Loop BB10_5 Depth=1
                                        ;     Parent Loop BB10_124 Depth=2
                                        ; =>    This Inner Loop Header: Depth=3
	global_load_dword v11, v[7:8], off
	v_add_nc_u32_e32 v6, 8, v6
	v_add_co_u32 v7, vcc_lo, v7, 32
	v_add_co_ci_u32_e64 v8, null, 0, v8, vcc_lo
	v_cmp_ge_i32_e32 vcc_lo, v6, v1
	s_or_b32 s71, vcc_lo, s71
	s_waitcnt vmcnt(0)
	global_store_dword v[9:10], v11, off
	v_add_co_u32 v9, s12, v9, 32
	v_add_co_ci_u32_e64 v10, null, 0, v10, s12
	s_andn2_b32 exec_lo, exec_lo, s71
	s_cbranch_execnz .LBB10_130
.LBB10_131:                             ;   in Loop: Header=BB10_124 Depth=2
	s_or_b32 exec_lo, exec_lo, s70
	s_and_b32 exec_lo, exec_lo, s11
	s_cbranch_execz .LBB10_123
; %bb.132:                              ;   in Loop: Header=BB10_124 Depth=2
	v_add_co_u32 v6, vcc_lo, s50, v4
	v_add_co_ci_u32_e64 v7, null, s51, v5, vcc_lo
	v_add_co_u32 v4, vcc_lo, s48, v4
	v_add_co_ci_u32_e64 v5, null, s49, v5, vcc_lo
	global_load_dword v1, v[6:7], off
	s_waitcnt vmcnt(0)
	global_store_dword v[4:5], v1, off
	s_branch .LBB10_123
.LBB10_133:                             ;   in Loop: Header=BB10_5 Depth=1
	s_or_b32 exec_lo, exec_lo, s13
	s_mov_b32 s13, -1
	s_and_b32 vcc_lo, exec_lo, s58
	s_mov_b32 s68, -1
	s_cbranch_vccz .LBB10_143
; %bb.134:                              ;   in Loop: Header=BB10_5 Depth=1
	s_and_b32 vcc_lo, exec_lo, s66
	s_mov_b32 s12, -1
                                        ; implicit-def: $sgpr68
	s_cbranch_vccz .LBB10_140
; %bb.135:                              ;   in Loop: Header=BB10_5 Depth=1
	s_and_b32 vcc_lo, exec_lo, s65
                                        ; implicit-def: $sgpr68
	s_cbranch_vccz .LBB10_137
; %bb.136:                              ;   in Loop: Header=BB10_5 Depth=1
	v_cmp_ge_f32_e64 s68, s34, v20
	s_mov_b32 s12, 0
.LBB10_137:                             ;   in Loop: Header=BB10_5 Depth=1
	s_andn2_b32 vcc_lo, exec_lo, s12
	s_cbranch_vccnz .LBB10_139
; %bb.138:                              ;   in Loop: Header=BB10_5 Depth=1
	v_cmp_ge_f32_e32 vcc_lo, s34, v24
	s_andn2_b32 s12, s68, exec_lo
	s_and_b32 s68, vcc_lo, exec_lo
	s_or_b32 s68, s12, s68
.LBB10_139:                             ;   in Loop: Header=BB10_5 Depth=1
	s_mov_b32 s12, 0
.LBB10_140:                             ;   in Loop: Header=BB10_5 Depth=1
	s_andn2_b32 vcc_lo, exec_lo, s12
	s_cbranch_vccnz .LBB10_142
; %bb.141:                              ;   in Loop: Header=BB10_5 Depth=1
	v_cmp_ge_f32_e32 vcc_lo, s34, v24
	v_cmp_ge_f32_e64 s12, s34, v20
	s_andn2_b32 s68, s68, exec_lo
	s_and_b32 s12, vcc_lo, s12
	s_and_b32 s12, s12, exec_lo
	s_or_b32 s68, s68, s12
.LBB10_142:                             ;   in Loop: Header=BB10_5 Depth=1
	s_xor_b32 s68, s68, -1
.LBB10_143:                             ;   in Loop: Header=BB10_5 Depth=1
	v_mov_b32_e32 v1, s67
	s_and_saveexec_b32 s12, s68
	s_cbranch_execz .LBB10_4
; %bb.144:                              ;   in Loop: Header=BB10_5 Depth=1
	s_add_i32 s67, s67, 1
	v_mov_b32_e32 v1, s15
	s_cmp_eq_u32 s67, s15
	s_cselect_b32 s13, -1, 0
	s_orn2_b32 s13, s13, exec_lo
	s_branch .LBB10_4
.LBB10_145:
	s_or_b32 exec_lo, exec_lo, s59
	s_or_b32 exec_lo, exec_lo, s60
	s_andn2_b32 vcc_lo, exec_lo, s58
	s_cbranch_vccnz .LBB10_2
.LBB10_146:
	v_xor_b32_e32 v2, 4, v23
	v_xor_b32_e32 v3, 2, v23
	s_mov_b32 s0, exec_lo
	v_cmp_gt_i32_e32 vcc_lo, 32, v2
	v_cndmask_b32_e32 v2, v23, v2, vcc_lo
	v_cmp_gt_i32_e32 vcc_lo, 32, v3
	v_lshlrev_b32_e32 v2, 2, v2
	v_cndmask_b32_e32 v3, v23, v3, vcc_lo
	ds_bpermute_b32 v2, v2, v1
	v_lshlrev_b32_e32 v3, 2, v3
	s_waitcnt lgkmcnt(0)
	v_max_i32_e32 v1, v1, v2
	ds_bpermute_b32 v2, v3, v1
	v_xor_b32_e32 v3, 1, v23
	v_cmp_gt_i32_e32 vcc_lo, 32, v3
	v_cndmask_b32_e32 v3, v23, v3, vcc_lo
	s_waitcnt lgkmcnt(0)
	v_max_i32_e32 v1, v1, v2
	v_lshlrev_b32_e32 v2, 2, v3
	ds_bpermute_b32 v2, v2, v1
	v_cmpx_eq_u32_e32 7, v22
	s_cbranch_execz .LBB10_148
; %bb.147:
	v_lshlrev_b32_e32 v3, 2, v21
	s_waitcnt lgkmcnt(0)
	v_max_i32_e32 v1, v1, v2
	ds_write_b32 v3, v1 offset:512
.LBB10_148:
	s_or_b32 exec_lo, exec_lo, s0
	s_mov_b32 s0, exec_lo
	s_waitcnt lgkmcnt(0)
	s_waitcnt_vscnt null, 0x0
	s_barrier
	buffer_gl0_inv
	v_cmpx_gt_u32_e32 64, v0
	s_cbranch_execz .LBB10_150
; %bb.149:
	ds_read2st64_b32 v[1:2], v19 offset0:2 offset1:3
	s_waitcnt lgkmcnt(0)
	v_max_i32_e32 v1, v1, v2
	ds_write_b32 v19, v1 offset:512
.LBB10_150:
	s_or_b32 exec_lo, exec_lo, s0
	s_mov_b32 s0, exec_lo
	s_waitcnt lgkmcnt(0)
	s_barrier
	buffer_gl0_inv
	v_cmpx_gt_u32_e32 32, v0
	s_cbranch_execz .LBB10_152
; %bb.151:
	ds_read2_b32 v[1:2], v19 offset0:128 offset1:160
	s_waitcnt lgkmcnt(0)
	v_max_i32_e32 v1, v1, v2
	ds_write_b32 v19, v1 offset:512
.LBB10_152:
	s_or_b32 exec_lo, exec_lo, s0
	s_mov_b32 s0, exec_lo
	s_waitcnt lgkmcnt(0)
	s_barrier
	buffer_gl0_inv
	v_cmpx_gt_u32_e32 16, v0
	s_cbranch_execz .LBB10_154
; %bb.153:
	ds_read2_b32 v[1:2], v19 offset0:128 offset1:144
	s_waitcnt lgkmcnt(0)
	v_max_i32_e32 v1, v1, v2
	ds_write_b32 v19, v1 offset:512
.LBB10_154:
	;; [unrolled: 13-line block ×5, first 2 shown]
	s_or_b32 exec_lo, exec_lo, s0
	v_cmp_eq_u32_e32 vcc_lo, 0, v0
	s_waitcnt lgkmcnt(0)
	s_barrier
	buffer_gl0_inv
	s_and_saveexec_b32 s0, vcc_lo
	s_cbranch_execz .LBB10_162
; %bb.161:
	v_mov_b32_e32 v3, 0
	ds_read_b64 v[1:2], v3 offset:512
	s_waitcnt lgkmcnt(0)
	v_max_i32_e32 v1, v1, v2
	ds_write_b32 v3, v1 offset:512
.LBB10_162:
	s_or_b32 exec_lo, exec_lo, s0
	s_waitcnt lgkmcnt(0)
	s_barrier
	buffer_gl0_inv
	s_and_saveexec_b32 s0, vcc_lo
	s_cbranch_execz .LBB10_165
; %bb.163:
	v_mbcnt_lo_u32_b32 v1, exec_lo, 0
	v_cmp_eq_u32_e32 vcc_lo, 0, v1
	s_and_b32 exec_lo, exec_lo, vcc_lo
	s_cbranch_execz .LBB10_165
; %bb.164:
	v_mov_b32_e32 v1, 0
	s_load_dwordx2 s[2:3], s[4:5], 0x8
	ds_read_b32 v2, v1 offset:512
	s_waitcnt lgkmcnt(0)
	v_add_nc_u32_e32 v2, 1, v2
	global_atomic_smax v1, v2, s[2:3]
.LBB10_165:
	s_or_b32 exec_lo, exec_lo, s0
	v_cmp_eq_u32_e32 vcc_lo, 0, v0
	s_and_b32 s0, vcc_lo, s33
	s_and_saveexec_b32 s1, s0
	s_cbranch_execz .LBB10_172
.LBB10_166:
	v_mov_b32_e32 v0, 0x7fc00000
	s_mov_b32 s0, exec_lo
.LBB10_167:                             ; =>This Inner Loop Header: Depth=1
	s_ff1_i32_b32 s2, s0
	v_max_f32_e32 v0, v0, v0
	v_readlane_b32 s3, v24, s2
	s_lshl_b32 s2, 1, s2
	s_andn2_b32 s0, s0, s2
	s_cmp_lg_u32 s0, 0
	v_max_f32_e64 v1, s3, s3
	v_max_f32_e32 v0, v0, v1
	s_cbranch_scc1 .LBB10_167
; %bb.168:
	v_mbcnt_lo_u32_b32 v1, exec_lo, 0
	s_mov_b32 s2, 0
	s_mov_b32 s3, exec_lo
	v_cmpx_eq_u32_e32 0, v1
	s_xor_b32 s3, exec_lo, s3
	s_cbranch_execz .LBB10_172
; %bb.169:
	v_mov_b32_e32 v2, 0
	v_max_f32_e32 v3, v0, v0
	global_load_dword v1, v2, s[44:45]
.LBB10_170:                             ; =>This Inner Loop Header: Depth=1
	s_waitcnt vmcnt(0)
	v_max_f32_e32 v0, v1, v1
	v_max_f32_e32 v0, v0, v3
	global_atomic_cmpswap v0, v2, v[0:1], s[44:45] glc
	s_waitcnt vmcnt(0)
	v_cmp_eq_u32_e64 s0, v0, v1
	v_mov_b32_e32 v1, v0
	s_or_b32 s2, s0, s2
	s_andn2_b32 exec_lo, exec_lo, s2
	s_cbranch_execnz .LBB10_170
; %bb.171:
	s_or_b32 exec_lo, exec_lo, s2
.LBB10_172:
	s_or_b32 exec_lo, exec_lo, s1
	s_and_b32 s0, vcc_lo, s14
	s_and_saveexec_b32 s1, s0
	s_cbranch_execz .LBB10_178
; %bb.173:
	v_mov_b32_e32 v0, 0x7fc00000
	s_mov_b32 s0, exec_lo
.LBB10_174:                             ; =>This Inner Loop Header: Depth=1
	s_ff1_i32_b32 s1, s0
	v_max_f32_e32 v0, v0, v0
	v_readlane_b32 s2, v20, s1
	s_lshl_b32 s1, 1, s1
	s_andn2_b32 s0, s0, s1
	s_cmp_lg_u32 s0, 0
	v_max_f32_e64 v1, s2, s2
	v_max_f32_e32 v0, v0, v1
	s_cbranch_scc1 .LBB10_174
; %bb.175:
	v_mbcnt_lo_u32_b32 v1, exec_lo, 0
	s_mov_b32 s0, 0
	s_mov_b32 s1, exec_lo
	v_cmpx_eq_u32_e32 0, v1
	s_xor_b32 s1, exec_lo, s1
	s_cbranch_execz .LBB10_178
; %bb.176:
	v_mov_b32_e32 v2, 0
	v_max_f32_e32 v3, v0, v0
	global_load_dword v1, v2, s[46:47]
.LBB10_177:                             ; =>This Inner Loop Header: Depth=1
	s_waitcnt vmcnt(0)
	v_max_f32_e32 v0, v1, v1
	v_max_f32_e32 v0, v0, v3
	global_atomic_cmpswap v0, v2, v[0:1], s[46:47] glc
	s_waitcnt vmcnt(0)
	v_cmp_eq_u32_e32 vcc_lo, v0, v1
	v_mov_b32_e32 v1, v0
	s_or_b32 s0, vcc_lo, s0
	s_andn2_b32 exec_lo, exec_lo, s0
	s_cbranch_execnz .LBB10_177
.LBB10_178:
	s_endpgm
	.section	.rodata,"a",@progbits
	.p2align	6, 0x0
	.amdhsa_kernel _ZN9rocsparseL6kernelILi1024ELi8EfiiEEvbbbT3_PS1_NS_15floating_traitsIT1_E6data_tES1_T2_PKS7_S9_PKS1_PKS4_21rocsparse_index_base_S9_S9_SB_PS4_SF_SE_S9_S9_SB_SF_SF_SE_SF_SF_PS6_SG_PKS6_
		.amdhsa_group_segment_fixed_size 1024
		.amdhsa_private_segment_fixed_size 0
		.amdhsa_kernarg_size 208
		.amdhsa_user_sgpr_count 6
		.amdhsa_user_sgpr_private_segment_buffer 1
		.amdhsa_user_sgpr_dispatch_ptr 0
		.amdhsa_user_sgpr_queue_ptr 0
		.amdhsa_user_sgpr_kernarg_segment_ptr 1
		.amdhsa_user_sgpr_dispatch_id 0
		.amdhsa_user_sgpr_flat_scratch_init 0
		.amdhsa_user_sgpr_private_segment_size 0
		.amdhsa_wavefront_size32 1
		.amdhsa_uses_dynamic_stack 0
		.amdhsa_system_sgpr_private_segment_wavefront_offset 0
		.amdhsa_system_sgpr_workgroup_id_x 1
		.amdhsa_system_sgpr_workgroup_id_y 0
		.amdhsa_system_sgpr_workgroup_id_z 0
		.amdhsa_system_sgpr_workgroup_info 0
		.amdhsa_system_vgpr_workitem_id 0
		.amdhsa_next_free_vgpr 45
		.amdhsa_next_free_sgpr 82
		.amdhsa_reserve_vcc 1
		.amdhsa_reserve_flat_scratch 0
		.amdhsa_float_round_mode_32 0
		.amdhsa_float_round_mode_16_64 0
		.amdhsa_float_denorm_mode_32 3
		.amdhsa_float_denorm_mode_16_64 3
		.amdhsa_dx10_clamp 1
		.amdhsa_ieee_mode 1
		.amdhsa_fp16_overflow 0
		.amdhsa_workgroup_processor_mode 1
		.amdhsa_memory_ordered 1
		.amdhsa_forward_progress 1
		.amdhsa_shared_vgpr_count 0
		.amdhsa_exception_fp_ieee_invalid_op 0
		.amdhsa_exception_fp_denorm_src 0
		.amdhsa_exception_fp_ieee_div_zero 0
		.amdhsa_exception_fp_ieee_overflow 0
		.amdhsa_exception_fp_ieee_underflow 0
		.amdhsa_exception_fp_ieee_inexact 0
		.amdhsa_exception_int_div_zero 0
	.end_amdhsa_kernel
	.section	.text._ZN9rocsparseL6kernelILi1024ELi8EfiiEEvbbbT3_PS1_NS_15floating_traitsIT1_E6data_tES1_T2_PKS7_S9_PKS1_PKS4_21rocsparse_index_base_S9_S9_SB_PS4_SF_SE_S9_S9_SB_SF_SF_SE_SF_SF_PS6_SG_PKS6_,"axG",@progbits,_ZN9rocsparseL6kernelILi1024ELi8EfiiEEvbbbT3_PS1_NS_15floating_traitsIT1_E6data_tES1_T2_PKS7_S9_PKS1_PKS4_21rocsparse_index_base_S9_S9_SB_PS4_SF_SE_S9_S9_SB_SF_SF_SE_SF_SF_PS6_SG_PKS6_,comdat
.Lfunc_end10:
	.size	_ZN9rocsparseL6kernelILi1024ELi8EfiiEEvbbbT3_PS1_NS_15floating_traitsIT1_E6data_tES1_T2_PKS7_S9_PKS1_PKS4_21rocsparse_index_base_S9_S9_SB_PS4_SF_SE_S9_S9_SB_SF_SF_SE_SF_SF_PS6_SG_PKS6_, .Lfunc_end10-_ZN9rocsparseL6kernelILi1024ELi8EfiiEEvbbbT3_PS1_NS_15floating_traitsIT1_E6data_tES1_T2_PKS7_S9_PKS1_PKS4_21rocsparse_index_base_S9_S9_SB_PS4_SF_SE_S9_S9_SB_SF_SF_SE_SF_SF_PS6_SG_PKS6_
                                        ; -- End function
	.set _ZN9rocsparseL6kernelILi1024ELi8EfiiEEvbbbT3_PS1_NS_15floating_traitsIT1_E6data_tES1_T2_PKS7_S9_PKS1_PKS4_21rocsparse_index_base_S9_S9_SB_PS4_SF_SE_S9_S9_SB_SF_SF_SE_SF_SF_PS6_SG_PKS6_.num_vgpr, 45
	.set _ZN9rocsparseL6kernelILi1024ELi8EfiiEEvbbbT3_PS1_NS_15floating_traitsIT1_E6data_tES1_T2_PKS7_S9_PKS1_PKS4_21rocsparse_index_base_S9_S9_SB_PS4_SF_SE_S9_S9_SB_SF_SF_SE_SF_SF_PS6_SG_PKS6_.num_agpr, 0
	.set _ZN9rocsparseL6kernelILi1024ELi8EfiiEEvbbbT3_PS1_NS_15floating_traitsIT1_E6data_tES1_T2_PKS7_S9_PKS1_PKS4_21rocsparse_index_base_S9_S9_SB_PS4_SF_SE_S9_S9_SB_SF_SF_SE_SF_SF_PS6_SG_PKS6_.numbered_sgpr, 82
	.set _ZN9rocsparseL6kernelILi1024ELi8EfiiEEvbbbT3_PS1_NS_15floating_traitsIT1_E6data_tES1_T2_PKS7_S9_PKS1_PKS4_21rocsparse_index_base_S9_S9_SB_PS4_SF_SE_S9_S9_SB_SF_SF_SE_SF_SF_PS6_SG_PKS6_.num_named_barrier, 0
	.set _ZN9rocsparseL6kernelILi1024ELi8EfiiEEvbbbT3_PS1_NS_15floating_traitsIT1_E6data_tES1_T2_PKS7_S9_PKS1_PKS4_21rocsparse_index_base_S9_S9_SB_PS4_SF_SE_S9_S9_SB_SF_SF_SE_SF_SF_PS6_SG_PKS6_.private_seg_size, 0
	.set _ZN9rocsparseL6kernelILi1024ELi8EfiiEEvbbbT3_PS1_NS_15floating_traitsIT1_E6data_tES1_T2_PKS7_S9_PKS1_PKS4_21rocsparse_index_base_S9_S9_SB_PS4_SF_SE_S9_S9_SB_SF_SF_SE_SF_SF_PS6_SG_PKS6_.uses_vcc, 1
	.set _ZN9rocsparseL6kernelILi1024ELi8EfiiEEvbbbT3_PS1_NS_15floating_traitsIT1_E6data_tES1_T2_PKS7_S9_PKS1_PKS4_21rocsparse_index_base_S9_S9_SB_PS4_SF_SE_S9_S9_SB_SF_SF_SE_SF_SF_PS6_SG_PKS6_.uses_flat_scratch, 0
	.set _ZN9rocsparseL6kernelILi1024ELi8EfiiEEvbbbT3_PS1_NS_15floating_traitsIT1_E6data_tES1_T2_PKS7_S9_PKS1_PKS4_21rocsparse_index_base_S9_S9_SB_PS4_SF_SE_S9_S9_SB_SF_SF_SE_SF_SF_PS6_SG_PKS6_.has_dyn_sized_stack, 0
	.set _ZN9rocsparseL6kernelILi1024ELi8EfiiEEvbbbT3_PS1_NS_15floating_traitsIT1_E6data_tES1_T2_PKS7_S9_PKS1_PKS4_21rocsparse_index_base_S9_S9_SB_PS4_SF_SE_S9_S9_SB_SF_SF_SE_SF_SF_PS6_SG_PKS6_.has_recursion, 0
	.set _ZN9rocsparseL6kernelILi1024ELi8EfiiEEvbbbT3_PS1_NS_15floating_traitsIT1_E6data_tES1_T2_PKS7_S9_PKS1_PKS4_21rocsparse_index_base_S9_S9_SB_PS4_SF_SE_S9_S9_SB_SF_SF_SE_SF_SF_PS6_SG_PKS6_.has_indirect_call, 0
	.section	.AMDGPU.csdata,"",@progbits
; Kernel info:
; codeLenInByte = 5924
; TotalNumSgprs: 84
; NumVgprs: 45
; ScratchSize: 0
; MemoryBound: 0
; FloatMode: 240
; IeeeMode: 1
; LDSByteSize: 1024 bytes/workgroup (compile time only)
; SGPRBlocks: 0
; VGPRBlocks: 5
; NumSGPRsForWavesPerEU: 84
; NumVGPRsForWavesPerEU: 45
; Occupancy: 16
; WaveLimiterHint : 1
; COMPUTE_PGM_RSRC2:SCRATCH_EN: 0
; COMPUTE_PGM_RSRC2:USER_SGPR: 6
; COMPUTE_PGM_RSRC2:TRAP_HANDLER: 0
; COMPUTE_PGM_RSRC2:TGID_X_EN: 1
; COMPUTE_PGM_RSRC2:TGID_Y_EN: 0
; COMPUTE_PGM_RSRC2:TGID_Z_EN: 0
; COMPUTE_PGM_RSRC2:TIDIG_COMP_CNT: 0
	.section	.text._ZN9rocsparseL6kernelILi1024ELi16EfiiEEvbbbT3_PS1_NS_15floating_traitsIT1_E6data_tES1_T2_PKS7_S9_PKS1_PKS4_21rocsparse_index_base_S9_S9_SB_PS4_SF_SE_S9_S9_SB_SF_SF_SE_SF_SF_PS6_SG_PKS6_,"axG",@progbits,_ZN9rocsparseL6kernelILi1024ELi16EfiiEEvbbbT3_PS1_NS_15floating_traitsIT1_E6data_tES1_T2_PKS7_S9_PKS1_PKS4_21rocsparse_index_base_S9_S9_SB_PS4_SF_SE_S9_S9_SB_SF_SF_SE_SF_SF_PS6_SG_PKS6_,comdat
	.globl	_ZN9rocsparseL6kernelILi1024ELi16EfiiEEvbbbT3_PS1_NS_15floating_traitsIT1_E6data_tES1_T2_PKS7_S9_PKS1_PKS4_21rocsparse_index_base_S9_S9_SB_PS4_SF_SE_S9_S9_SB_SF_SF_SE_SF_SF_PS6_SG_PKS6_ ; -- Begin function _ZN9rocsparseL6kernelILi1024ELi16EfiiEEvbbbT3_PS1_NS_15floating_traitsIT1_E6data_tES1_T2_PKS7_S9_PKS1_PKS4_21rocsparse_index_base_S9_S9_SB_PS4_SF_SE_S9_S9_SB_SF_SF_SE_SF_SF_PS6_SG_PKS6_
	.p2align	8
	.type	_ZN9rocsparseL6kernelILi1024ELi16EfiiEEvbbbT3_PS1_NS_15floating_traitsIT1_E6data_tES1_T2_PKS7_S9_PKS1_PKS4_21rocsparse_index_base_S9_S9_SB_PS4_SF_SE_S9_S9_SB_SF_SF_SE_SF_SF_PS6_SG_PKS6_,@function
_ZN9rocsparseL6kernelILi1024ELi16EfiiEEvbbbT3_PS1_NS_15floating_traitsIT1_E6data_tES1_T2_PKS7_S9_PKS1_PKS4_21rocsparse_index_base_S9_S9_SB_PS4_SF_SE_S9_S9_SB_SF_SF_SE_SF_SF_PS6_SG_PKS6_: ; @_ZN9rocsparseL6kernelILi1024ELi16EfiiEEvbbbT3_PS1_NS_15floating_traitsIT1_E6data_tES1_T2_PKS7_S9_PKS1_PKS4_21rocsparse_index_base_S9_S9_SB_PS4_SF_SE_S9_S9_SB_SF_SF_SE_SF_SF_PS6_SG_PKS6_
; %bb.0:
	s_clause 0x3
	s_load_dword s0, s[4:5], 0x0
	s_load_dwordx2 s[12:13], s[4:5], 0x0
	s_load_dwordx2 s[14:15], s[4:5], 0x10
	s_load_dwordx4 s[44:47], s[4:5], 0xb8
	v_lshrrev_b32_e32 v21, 4, v0
	v_mov_b32_e32 v20, 0
	v_lshlrev_b32_e32 v19, 2, v0
	v_and_b32_e32 v22, 15, v0
	v_mbcnt_lo_u32_b32 v23, -1, 0
	v_mov_b32_e32 v24, 0
	v_mov_b32_e32 v1, 0
	s_mov_b32 s58, 0
	ds_write_b32 v19, v20
	s_waitcnt lgkmcnt(0)
	s_barrier
	buffer_gl0_inv
	s_bitcmp1_b32 s0, 0
	s_cselect_b32 s57, -1, 0
	s_bitcmp1_b32 s0, 8
	s_cselect_b32 s56, -1, 0
	;; [unrolled: 2-line block ×3, first 2 shown]
	s_lshl_b32 s63, s6, 10
	s_cmp_gt_i32 s13, 0
	v_or_b32_e32 v25, s63, v21
	s_cselect_b32 s0, -1, 0
	v_cmp_gt_i32_e32 vcc_lo, s15, v25
	s_and_b32 s0, s0, vcc_lo
	s_and_saveexec_b32 s59, s0
	s_cbranch_execnz .LBB11_3
; %bb.1:
	s_or_b32 exec_lo, exec_lo, s59
	s_andn2_b32 vcc_lo, exec_lo, s57
	s_cbranch_vccz .LBB11_142
.LBB11_2:
	v_cmp_eq_u32_e32 vcc_lo, 0, v0
	s_and_b32 s0, vcc_lo, s56
	s_and_saveexec_b32 s1, s0
	s_cbranch_execnz .LBB11_160
	s_branch .LBB11_166
.LBB11_3:
	s_clause 0x9
	s_load_dword s60, s[4:5], 0x40
	s_load_dword s61, s[4:5], 0x70
	;; [unrolled: 1-line block ×3, first 2 shown]
	s_load_dwordx2 s[34:35], s[4:5], 0x98
	s_load_dwordx2 s[52:53], s[4:5], 0x68
	s_load_dwordx2 s[54:55], s[4:5], 0xc8
	s_load_dwordx4 s[48:51], s[4:5], 0xa8
	s_load_dwordx8 s[16:23], s[4:5], 0x78
	s_load_dwordx8 s[24:31], s[4:5], 0x48
	s_load_dwordx8 s[36:43], s[4:5], 0x20
	s_addk_i32 s63, 0x400
	v_cmp_eq_u32_e64 s0, 15, v22
	v_lshlrev_b32_e32 v26, 2, v21
	v_cmp_gt_u32_e64 s1, 32, v0
	v_cmp_gt_u32_e64 s2, 16, v0
	;; [unrolled: 1-line block ×5, first 2 shown]
	v_cmp_eq_u32_e64 s8, 0, v0
	v_cmp_gt_u32_e64 s9, s63, v25
	s_waitcnt lgkmcnt(0)
	v_subrev_nc_u32_e32 v27, s60, v22
	v_subrev_nc_u32_e32 v28, s61, v22
	;; [unrolled: 1-line block ×3, first 2 shown]
	v_cmp_eq_u32_e64 s10, 0, v22
	v_mov_b32_e32 v2, 0
	v_mov_b32_e32 v24, 0
	;; [unrolled: 1-line block ×3, first 2 shown]
	s_and_b32 s11, s56, s33
	s_xor_b32 s64, s56, -1
	s_xor_b32 s65, s11, -1
	s_mov_b32 s66, 0
	s_branch .LBB11_5
.LBB11_4:                               ;   in Loop: Header=BB11_5 Depth=1
	s_or_b32 exec_lo, exec_lo, s11
	s_and_b32 s11, exec_lo, s12
	s_or_b32 s58, s11, s58
	s_andn2_b32 exec_lo, exec_lo, s58
	s_cbranch_execz .LBB11_141
.LBB11_5:                               ; =>This Loop Header: Depth=1
                                        ;     Child Loop BB11_9 Depth 2
                                        ;       Child Loop BB11_14 Depth 3
                                        ;         Child Loop BB11_18 Depth 4
                                        ;         Child Loop BB11_39 Depth 4
	;; [unrolled: 1-line block ×5, first 2 shown]
                                        ;     Child Loop BB11_120 Depth 2
                                        ;       Child Loop BB11_123 Depth 3
                                        ;       Child Loop BB11_126 Depth 3
	v_cndmask_b32_e64 v24, v24, 0, s56
	v_cndmask_b32_e64 v20, v20, 0, s33
	s_mov_b32 s67, 0
	s_branch .LBB11_9
.LBB11_6:                               ;   in Loop: Header=BB11_9 Depth=2
	s_or_b32 exec_lo, exec_lo, s70
.LBB11_7:                               ;   in Loop: Header=BB11_9 Depth=2
	s_or_b32 exec_lo, exec_lo, s69
.LBB11_8:                               ;   in Loop: Header=BB11_9 Depth=2
	s_or_b32 exec_lo, exec_lo, s68
	s_add_i32 s67, s67, 1
	s_cmp_eq_u32 s67, 16
	s_cbranch_scc1 .LBB11_85
.LBB11_9:                               ;   Parent Loop BB11_5 Depth=1
                                        ; =>  This Loop Header: Depth=2
                                        ;       Child Loop BB11_14 Depth 3
                                        ;         Child Loop BB11_18 Depth 4
                                        ;         Child Loop BB11_39 Depth 4
	;; [unrolled: 1-line block ×5, first 2 shown]
	v_lshl_add_u32 v3, s67, 6, v25
	s_mov_b32 s68, exec_lo
	v_cmpx_gt_i32_e64 s15, v3
	s_cbranch_execz .LBB11_8
; %bb.10:                               ;   in Loop: Header=BB11_9 Depth=2
	v_ashrrev_i32_e32 v4, 31, v3
	s_mov_b32 s69, exec_lo
	v_lshlrev_b64 v[5:6], 2, v[3:4]
	v_add_co_u32 v7, vcc_lo, s36, v5
	v_add_co_ci_u32_e64 v8, null, s37, v6, vcc_lo
	v_add_co_u32 v9, vcc_lo, s38, v5
	v_add_co_ci_u32_e64 v10, null, s39, v6, vcc_lo
	global_load_dword v1, v[7:8], off
	global_load_dword v7, v[9:10], off
	s_waitcnt vmcnt(1)
	v_add_nc_u32_e32 v4, v27, v1
	s_waitcnt vmcnt(0)
	v_subrev_nc_u32_e32 v30, s60, v7
	v_cmpx_lt_i32_e64 v4, v30
	s_cbranch_execz .LBB11_7
; %bb.11:                               ;   in Loop: Header=BB11_9 Depth=2
	v_add_co_u32 v7, vcc_lo, s24, v5
	v_add_co_ci_u32_e64 v8, null, s25, v6, vcc_lo
	v_add_co_u32 v5, vcc_lo, s26, v5
	v_add_co_ci_u32_e64 v6, null, s27, v6, vcc_lo
	global_load_dword v1, v[7:8], off
	s_mov_b32 s70, 0
	global_load_dword v5, v[5:6], off
	s_waitcnt vmcnt(1)
	v_subrev_nc_u32_e32 v6, s61, v1
	s_waitcnt vmcnt(0)
	v_sub_nc_u32_e32 v31, v5, v1
	v_ashrrev_i32_e32 v7, 31, v6
	v_cmp_lt_i32_e64 s11, 0, v31
	v_lshlrev_b64 v[7:8], 2, v[6:7]
	v_add_co_u32 v32, vcc_lo, s28, v7
	v_add_co_ci_u32_e64 v33, null, s29, v8, vcc_lo
	v_add_co_u32 v34, vcc_lo, s30, v7
	v_add_co_ci_u32_e64 v35, null, s31, v8, vcc_lo
	s_branch .LBB11_14
.LBB11_12:                              ;   in Loop: Header=BB11_14 Depth=3
	s_or_b32 exec_lo, exec_lo, s71
.LBB11_13:                              ;   in Loop: Header=BB11_14 Depth=3
	s_or_b32 exec_lo, exec_lo, s12
	v_add_nc_u32_e32 v4, 16, v4
	v_cmp_ge_i32_e32 vcc_lo, v4, v30
	s_or_b32 s70, vcc_lo, s70
	s_andn2_b32 exec_lo, exec_lo, s70
	s_cbranch_execz .LBB11_6
.LBB11_14:                              ;   Parent Loop BB11_5 Depth=1
                                        ;     Parent Loop BB11_9 Depth=2
                                        ; =>    This Loop Header: Depth=3
                                        ;         Child Loop BB11_18 Depth 4
                                        ;         Child Loop BB11_39 Depth 4
	;; [unrolled: 1-line block ×5, first 2 shown]
	v_ashrrev_i32_e32 v5, 31, v4
	v_lshlrev_b64 v[13:14], 2, v[4:5]
	v_mov_b32_e32 v5, 0
	v_add_co_u32 v7, vcc_lo, s40, v13
	v_add_co_ci_u32_e64 v8, null, s41, v14, vcc_lo
	global_load_dword v1, v[7:8], off
	s_waitcnt vmcnt(0)
	v_subrev_nc_u32_e32 v9, s60, v1
	v_ashrrev_i32_e32 v10, 31, v9
	v_lshlrev_b64 v[7:8], 2, v[9:10]
	v_add_co_u32 v10, vcc_lo, s16, v7
	v_add_co_ci_u32_e64 v11, null, s17, v8, vcc_lo
	v_add_co_u32 v15, vcc_lo, s18, v7
	v_add_co_ci_u32_e64 v16, null, s19, v8, vcc_lo
	global_load_dword v1, v[10:11], off
	global_load_dword v12, v[15:16], off
	v_mov_b32_e32 v11, 0
	s_waitcnt vmcnt(1)
	v_subrev_nc_u32_e32 v10, s62, v1
	s_waitcnt vmcnt(0)
	v_sub_nc_u32_e32 v36, v12, v1
	v_mov_b32_e32 v1, v11
	s_and_saveexec_b32 s71, s11
	s_cbranch_execz .LBB11_22
; %bb.15:                               ;   in Loop: Header=BB11_14 Depth=3
	v_ashrrev_i32_e32 v11, 31, v10
	v_mov_b32_e32 v5, 0
	v_mov_b32_e32 v1, 0
	s_mov_b32 s72, 0
                                        ; implicit-def: $sgpr73
	v_lshlrev_b64 v[11:12], 2, v[10:11]
	v_add_co_u32 v37, vcc_lo, s20, v11
	v_add_co_ci_u32_e64 v38, null, s21, v12, vcc_lo
	v_add_co_u32 v39, vcc_lo, s22, v11
	v_add_co_ci_u32_e64 v40, null, s23, v12, vcc_lo
	v_mov_b32_e32 v11, 0
	s_branch .LBB11_18
.LBB11_16:                              ;   in Loop: Header=BB11_18 Depth=4
	s_or_b32 exec_lo, exec_lo, s12
	v_cmp_le_i32_e32 vcc_lo, v12, v41
	v_cmp_ge_i32_e64 s12, v12, v41
	v_add_co_ci_u32_e64 v1, null, 0, v1, vcc_lo
	v_add_co_ci_u32_e64 v11, null, 0, v11, s12
	s_andn2_b32 s12, s73, exec_lo
	v_cmp_ge_i32_e32 vcc_lo, v1, v31
	s_and_b32 s73, vcc_lo, exec_lo
	s_or_b32 s73, s12, s73
.LBB11_17:                              ;   in Loop: Header=BB11_18 Depth=4
	s_or_b32 exec_lo, exec_lo, s74
	s_and_b32 s12, exec_lo, s73
	s_or_b32 s72, s12, s72
	s_andn2_b32 exec_lo, exec_lo, s72
	s_cbranch_execz .LBB11_21
.LBB11_18:                              ;   Parent Loop BB11_5 Depth=1
                                        ;     Parent Loop BB11_9 Depth=2
                                        ;       Parent Loop BB11_14 Depth=3
                                        ; =>      This Inner Loop Header: Depth=4
	s_or_b32 s73, s73, exec_lo
	s_mov_b32 s74, exec_lo
	v_cmpx_lt_i32_e64 v11, v36
	s_cbranch_execz .LBB11_17
; %bb.19:                               ;   in Loop: Header=BB11_18 Depth=4
	v_mov_b32_e32 v12, v2
	v_lshlrev_b64 v[17:18], 2, v[1:2]
	s_mov_b32 s12, exec_lo
	v_lshlrev_b64 v[15:16], 2, v[11:12]
	v_add_co_u32 v41, vcc_lo, v32, v17
	v_add_co_ci_u32_e64 v42, null, v33, v18, vcc_lo
	v_add_co_u32 v43, vcc_lo, v37, v15
	v_add_co_ci_u32_e64 v44, null, v38, v16, vcc_lo
	global_load_dword v12, v[41:42], off
	global_load_dword v41, v[43:44], off
	s_waitcnt vmcnt(1)
	v_subrev_nc_u32_e32 v12, s61, v12
	s_waitcnt vmcnt(0)
	v_subrev_nc_u32_e32 v41, s62, v41
	v_cmpx_eq_u32_e64 v12, v41
	s_cbranch_execz .LBB11_16
; %bb.20:                               ;   in Loop: Header=BB11_18 Depth=4
	v_add_co_u32 v17, vcc_lo, v34, v17
	v_add_co_ci_u32_e64 v18, null, v35, v18, vcc_lo
	v_add_co_u32 v15, vcc_lo, v39, v15
	v_add_co_ci_u32_e64 v16, null, v40, v16, vcc_lo
	global_load_dword v17, v[17:18], off
	global_load_dword v15, v[15:16], off
	s_waitcnt vmcnt(0)
	v_fmac_f32_e32 v5, v17, v15
	s_branch .LBB11_16
.LBB11_21:                              ;   in Loop: Header=BB11_14 Depth=3
	s_or_b32 exec_lo, exec_lo, s72
.LBB11_22:                              ;   in Loop: Header=BB11_14 Depth=3
	s_or_b32 exec_lo, exec_lo, s71
	v_add_co_u32 v12, vcc_lo, s42, v13
	v_add_co_ci_u32_e64 v13, null, s43, v14, vcc_lo
	v_cmp_le_i32_e64 s12, v3, v9
	s_mov_b32 s71, exec_lo
	global_load_dword v14, v[12:13], off
	s_waitcnt vmcnt(0)
	v_sub_f32_e32 v15, v14, v5
	v_cmpx_gt_i32_e64 v3, v9
	s_cbranch_execnz .LBB11_25
; %bb.23:                               ;   in Loop: Header=BB11_14 Depth=3
	s_or_b32 exec_lo, exec_lo, s71
	v_cmp_class_f32_e64 s71, v15, 0x1f8
	s_and_saveexec_b32 s72, s71
	s_cbranch_execnz .LBB11_28
.LBB11_24:                              ;   in Loop: Header=BB11_14 Depth=3
	s_or_b32 exec_lo, exec_lo, s72
	s_and_b32 s71, s33, s71
	s_and_saveexec_b32 s12, s71
	s_cbranch_execz .LBB11_13
	s_branch .LBB11_63
.LBB11_25:                              ;   in Loop: Header=BB11_14 Depth=3
	v_add_co_u32 v12, vcc_lo, s48, v7
	v_add_co_ci_u32_e64 v13, null, s49, v8, vcc_lo
	s_mov_b32 s72, exec_lo
	global_load_dword v12, v[12:13], off
	v_mov_b32_e32 v13, 0
	s_waitcnt vmcnt(0)
	v_cmpx_lg_f32_e32 0, v12
	s_cbranch_execz .LBB11_27
; %bb.26:                               ;   in Loop: Header=BB11_14 Depth=3
	v_div_scale_f32 v13, null, v12, v12, v15
	v_rcp_f32_e32 v16, v13
	v_fma_f32 v17, -v13, v16, 1.0
	v_fmac_f32_e32 v16, v17, v16
	v_div_scale_f32 v17, vcc_lo, v15, v12, v15
	v_mul_f32_e32 v18, v17, v16
	v_fma_f32 v37, -v13, v18, v17
	v_fmac_f32_e32 v18, v37, v16
	v_fma_f32 v13, -v13, v18, v17
	v_div_fmas_f32 v13, v13, v16, v18
	v_div_fixup_f32 v13, v13, v12, v15
.LBB11_27:                              ;   in Loop: Header=BB11_14 Depth=3
	s_or_b32 exec_lo, exec_lo, s72
	v_mov_b32_e32 v15, v13
	s_or_b32 exec_lo, exec_lo, s71
	v_cmp_class_f32_e64 s71, v15, 0x1f8
	s_and_saveexec_b32 s72, s71
	s_cbranch_execz .LBB11_24
.LBB11_28:                              ;   in Loop: Header=BB11_14 Depth=3
	s_and_saveexec_b32 s73, s12
	s_xor_b32 s12, exec_lo, s73
	s_cbranch_execz .LBB11_49
; %bb.29:                               ;   in Loop: Header=BB11_14 Depth=3
	s_mov_b32 s73, exec_lo
	v_cmpx_ge_i32_e64 v3, v9
	s_xor_b32 s73, exec_lo, s73
	s_cbranch_execz .LBB11_35
; %bb.30:                               ;   in Loop: Header=BB11_14 Depth=3
	v_add_co_u32 v12, vcc_lo, s50, v7
	v_add_co_ci_u32_e64 v13, null, s51, v8, vcc_lo
	s_andn2_b32 vcc_lo, exec_lo, s56
	global_store_dword v[12:13], v15, off
	s_cbranch_vccnz .LBB11_34
; %bb.31:                               ;   in Loop: Header=BB11_14 Depth=3
	v_add_co_u32 v12, vcc_lo, s48, v7
	v_add_co_ci_u32_e64 v13, null, s49, v8, vcc_lo
	global_load_dword v12, v[12:13], off
	s_waitcnt vmcnt(0)
	v_sub_f32_e32 v12, v12, v15
	v_cmp_class_f32_e64 s75, v12, 0x1f8
	s_and_saveexec_b32 s74, s75
; %bb.32:                               ;   in Loop: Header=BB11_14 Depth=3
	v_cmp_lt_f32_e64 s75, v24, |v12|
	v_cndmask_b32_e64 v24, v24, |v12|, s75
; %bb.33:                               ;   in Loop: Header=BB11_14 Depth=3
	s_or_b32 exec_lo, exec_lo, s74
.LBB11_34:                              ;   in Loop: Header=BB11_14 Depth=3
                                        ; implicit-def: $vgpr15
.LBB11_35:                              ;   in Loop: Header=BB11_14 Depth=3
	s_andn2_saveexec_b32 s73, s73
	s_cbranch_execz .LBB11_48
; %bb.36:                               ;   in Loop: Header=BB11_14 Depth=3
	s_mov_b32 s74, exec_lo
	v_cmpx_lt_i32_e64 v11, v36
	s_cbranch_execz .LBB11_47
; %bb.37:                               ;   in Loop: Header=BB11_14 Depth=3
	v_mov_b32_e32 v16, v11
	s_mov_b32 s75, 0
                                        ; implicit-def: $sgpr76
                                        ; implicit-def: $sgpr78
                                        ; implicit-def: $sgpr77
	s_inst_prefetch 0x1
	s_branch .LBB11_39
	.p2align	6
.LBB11_38:                              ;   in Loop: Header=BB11_39 Depth=4
	s_or_b32 exec_lo, exec_lo, s79
	s_and_b32 s79, exec_lo, s78
	s_or_b32 s75, s79, s75
	s_andn2_b32 s76, s76, exec_lo
	s_and_b32 s79, s77, exec_lo
	s_or_b32 s76, s76, s79
	s_andn2_b32 exec_lo, exec_lo, s75
	s_cbranch_execz .LBB11_41
.LBB11_39:                              ;   Parent Loop BB11_5 Depth=1
                                        ;     Parent Loop BB11_9 Depth=2
                                        ;       Parent Loop BB11_14 Depth=3
                                        ; =>      This Inner Loop Header: Depth=4
	v_add_nc_u32_e32 v12, v10, v16
	s_or_b32 s77, s77, exec_lo
	s_or_b32 s78, s78, exec_lo
	s_mov_b32 s79, exec_lo
	v_ashrrev_i32_e32 v13, 31, v12
	v_lshlrev_b64 v[12:13], 2, v[12:13]
	v_add_co_u32 v17, vcc_lo, s20, v12
	v_add_co_ci_u32_e64 v18, null, s21, v13, vcc_lo
	global_load_dword v17, v[17:18], off
	s_waitcnt vmcnt(0)
	v_subrev_nc_u32_e32 v17, s62, v17
	v_cmpx_ne_u32_e64 v17, v3
	s_cbranch_execz .LBB11_38
; %bb.40:                               ;   in Loop: Header=BB11_39 Depth=4
	v_add_nc_u32_e32 v16, 1, v16
	s_andn2_b32 s78, s78, exec_lo
	s_andn2_b32 s77, s77, exec_lo
	v_cmp_ge_i32_e32 vcc_lo, v16, v36
	s_and_b32 s80, vcc_lo, exec_lo
	s_or_b32 s78, s78, s80
	s_branch .LBB11_38
.LBB11_41:                              ;   in Loop: Header=BB11_14 Depth=3
	s_inst_prefetch 0x2
	s_or_b32 exec_lo, exec_lo, s75
	s_and_saveexec_b32 s75, s76
	s_xor_b32 s75, exec_lo, s75
	s_cbranch_execz .LBB11_46
; %bb.42:                               ;   in Loop: Header=BB11_14 Depth=3
	v_add_co_u32 v16, vcc_lo, s34, v12
	v_add_co_ci_u32_e64 v17, null, s35, v13, vcc_lo
	s_andn2_b32 vcc_lo, exec_lo, s56
	global_store_dword v[16:17], v15, off
	s_cbranch_vccnz .LBB11_46
; %bb.43:                               ;   in Loop: Header=BB11_14 Depth=3
	v_add_co_u32 v12, vcc_lo, s22, v12
	v_add_co_ci_u32_e64 v13, null, s23, v13, vcc_lo
	global_load_dword v12, v[12:13], off
	s_waitcnt vmcnt(0)
	v_sub_f32_e32 v12, v12, v15
	v_cmp_class_f32_e64 s77, v12, 0x1f8
	s_and_saveexec_b32 s76, s77
; %bb.44:                               ;   in Loop: Header=BB11_14 Depth=3
	v_cmp_lt_f32_e64 s77, v24, |v12|
	v_cndmask_b32_e64 v24, v24, |v12|, s77
; %bb.45:                               ;   in Loop: Header=BB11_14 Depth=3
	s_or_b32 exec_lo, exec_lo, s76
.LBB11_46:                              ;   in Loop: Header=BB11_14 Depth=3
	s_or_b32 exec_lo, exec_lo, s75
.LBB11_47:                              ;   in Loop: Header=BB11_14 Depth=3
	s_or_b32 exec_lo, exec_lo, s74
.LBB11_48:                              ;   in Loop: Header=BB11_14 Depth=3
	s_or_b32 exec_lo, exec_lo, s73
                                        ; implicit-def: $vgpr15
.LBB11_49:                              ;   in Loop: Header=BB11_14 Depth=3
	s_andn2_saveexec_b32 s12, s12
	s_cbranch_execz .LBB11_62
; %bb.50:                               ;   in Loop: Header=BB11_14 Depth=3
	s_mov_b32 s73, exec_lo
	v_cmpx_lt_i32_e64 v1, v31
	s_cbranch_execz .LBB11_61
; %bb.51:                               ;   in Loop: Header=BB11_14 Depth=3
	v_mov_b32_e32 v16, v1
	s_mov_b32 s74, 0
                                        ; implicit-def: $sgpr75
                                        ; implicit-def: $sgpr77
                                        ; implicit-def: $sgpr76
	s_inst_prefetch 0x1
	s_branch .LBB11_53
	.p2align	6
.LBB11_52:                              ;   in Loop: Header=BB11_53 Depth=4
	s_or_b32 exec_lo, exec_lo, s78
	s_and_b32 s78, exec_lo, s77
	s_or_b32 s74, s78, s74
	s_andn2_b32 s75, s75, exec_lo
	s_and_b32 s78, s76, exec_lo
	s_or_b32 s75, s75, s78
	s_andn2_b32 exec_lo, exec_lo, s74
	s_cbranch_execz .LBB11_55
.LBB11_53:                              ;   Parent Loop BB11_5 Depth=1
                                        ;     Parent Loop BB11_9 Depth=2
                                        ;       Parent Loop BB11_14 Depth=3
                                        ; =>      This Inner Loop Header: Depth=4
	v_add_nc_u32_e32 v12, v6, v16
	s_or_b32 s76, s76, exec_lo
	s_or_b32 s77, s77, exec_lo
	s_mov_b32 s78, exec_lo
	v_ashrrev_i32_e32 v13, 31, v12
	v_lshlrev_b64 v[12:13], 2, v[12:13]
	v_add_co_u32 v17, vcc_lo, s28, v12
	v_add_co_ci_u32_e64 v18, null, s29, v13, vcc_lo
	global_load_dword v17, v[17:18], off
	s_waitcnt vmcnt(0)
	v_subrev_nc_u32_e32 v17, s61, v17
	v_cmpx_ne_u32_e64 v17, v9
	s_cbranch_execz .LBB11_52
; %bb.54:                               ;   in Loop: Header=BB11_53 Depth=4
	v_add_nc_u32_e32 v16, 1, v16
	s_andn2_b32 s77, s77, exec_lo
	s_andn2_b32 s76, s76, exec_lo
	v_cmp_ge_i32_e32 vcc_lo, v16, v31
	s_and_b32 s79, vcc_lo, exec_lo
	s_or_b32 s77, s77, s79
	s_branch .LBB11_52
.LBB11_55:                              ;   in Loop: Header=BB11_14 Depth=3
	s_inst_prefetch 0x2
	s_or_b32 exec_lo, exec_lo, s74
	s_and_saveexec_b32 s74, s75
	s_xor_b32 s74, exec_lo, s74
	s_cbranch_execz .LBB11_60
; %bb.56:                               ;   in Loop: Header=BB11_14 Depth=3
	v_add_co_u32 v16, vcc_lo, s52, v12
	v_add_co_ci_u32_e64 v17, null, s53, v13, vcc_lo
	s_andn2_b32 vcc_lo, exec_lo, s56
	global_store_dword v[16:17], v15, off
	s_cbranch_vccnz .LBB11_60
; %bb.57:                               ;   in Loop: Header=BB11_14 Depth=3
	v_add_co_u32 v12, vcc_lo, s30, v12
	v_add_co_ci_u32_e64 v13, null, s31, v13, vcc_lo
	global_load_dword v12, v[12:13], off
	s_waitcnt vmcnt(0)
	v_sub_f32_e32 v12, v12, v15
	v_cmp_class_f32_e64 s76, v12, 0x1f8
	s_and_saveexec_b32 s75, s76
; %bb.58:                               ;   in Loop: Header=BB11_14 Depth=3
	v_cmp_lt_f32_e64 s76, v24, |v12|
	v_cndmask_b32_e64 v24, v24, |v12|, s76
; %bb.59:                               ;   in Loop: Header=BB11_14 Depth=3
	s_or_b32 exec_lo, exec_lo, s75
.LBB11_60:                              ;   in Loop: Header=BB11_14 Depth=3
	s_or_b32 exec_lo, exec_lo, s74
.LBB11_61:                              ;   in Loop: Header=BB11_14 Depth=3
	s_or_b32 exec_lo, exec_lo, s73
.LBB11_62:                              ;   in Loop: Header=BB11_14 Depth=3
	s_or_b32 exec_lo, exec_lo, s12
	s_or_b32 exec_lo, exec_lo, s72
	s_and_b32 s71, s33, s71
	s_and_saveexec_b32 s12, s71
	s_cbranch_execz .LBB11_13
.LBB11_63:                              ;   in Loop: Header=BB11_14 Depth=3
	s_mov_b32 s71, exec_lo
	v_cmpx_ge_i32_e64 v11, v36
	s_xor_b32 s71, exec_lo, s71
	s_cbranch_execnz .LBB11_69
; %bb.64:                               ;   in Loop: Header=BB11_14 Depth=3
	s_andn2_saveexec_b32 s71, s71
	s_cbranch_execnz .LBB11_78
.LBB11_65:                              ;   in Loop: Header=BB11_14 Depth=3
	s_or_b32 exec_lo, exec_lo, s71
	s_mov_b32 s71, exec_lo
	v_cmpx_eq_u32_e64 v3, v9
	s_cbranch_execz .LBB11_67
.LBB11_66:                              ;   in Loop: Header=BB11_14 Depth=3
	v_add_co_u32 v7, vcc_lo, s48, v7
	v_add_co_ci_u32_e64 v8, null, s49, v8, vcc_lo
	global_load_dword v1, v[7:8], off
	s_waitcnt vmcnt(0)
	v_add_f32_e32 v5, v5, v1
.LBB11_67:                              ;   in Loop: Header=BB11_14 Depth=3
	s_or_b32 exec_lo, exec_lo, s71
	v_sub_f32_e32 v1, v14, v5
	v_cmp_class_f32_e64 s72, v1, 0x1f8
	s_and_saveexec_b32 s71, s72
	s_cbranch_execz .LBB11_12
; %bb.68:                               ;   in Loop: Header=BB11_14 Depth=3
	v_cmp_lt_f32_e64 s72, v20, |v1|
	v_cndmask_b32_e64 v20, v20, |v1|, s72
	s_branch .LBB11_12
.LBB11_69:                              ;   in Loop: Header=BB11_14 Depth=3
	s_mov_b32 s72, exec_lo
	v_cmpx_lt_i32_e64 v1, v31
	s_cbranch_execz .LBB11_77
; %bb.70:                               ;   in Loop: Header=BB11_14 Depth=3
	s_mov_b32 s73, 0
                                        ; implicit-def: $sgpr74
                                        ; implicit-def: $sgpr76
                                        ; implicit-def: $sgpr75
	s_inst_prefetch 0x1
	s_branch .LBB11_72
	.p2align	6
.LBB11_71:                              ;   in Loop: Header=BB11_72 Depth=4
	s_or_b32 exec_lo, exec_lo, s77
	s_and_b32 s77, exec_lo, s76
	s_or_b32 s73, s77, s73
	s_andn2_b32 s74, s74, exec_lo
	s_and_b32 s77, s75, exec_lo
	s_or_b32 s74, s74, s77
	s_andn2_b32 exec_lo, exec_lo, s73
	s_cbranch_execz .LBB11_74
.LBB11_72:                              ;   Parent Loop BB11_5 Depth=1
                                        ;     Parent Loop BB11_9 Depth=2
                                        ;       Parent Loop BB11_14 Depth=3
                                        ; =>      This Inner Loop Header: Depth=4
	v_add_nc_u32_e32 v10, v6, v1
	s_or_b32 s75, s75, exec_lo
	s_or_b32 s76, s76, exec_lo
	s_mov_b32 s77, exec_lo
	v_ashrrev_i32_e32 v11, 31, v10
	v_lshlrev_b64 v[10:11], 2, v[10:11]
	v_add_co_u32 v12, vcc_lo, s28, v10
	v_add_co_ci_u32_e64 v13, null, s29, v11, vcc_lo
	global_load_dword v12, v[12:13], off
	s_waitcnt vmcnt(0)
	v_subrev_nc_u32_e32 v12, s61, v12
	v_cmpx_ne_u32_e64 v12, v9
	s_cbranch_execz .LBB11_71
; %bb.73:                               ;   in Loop: Header=BB11_72 Depth=4
	v_add_nc_u32_e32 v1, 1, v1
	s_andn2_b32 s76, s76, exec_lo
	s_andn2_b32 s75, s75, exec_lo
	v_cmp_ge_i32_e32 vcc_lo, v1, v31
	s_and_b32 s78, vcc_lo, exec_lo
	s_or_b32 s76, s76, s78
	s_branch .LBB11_71
.LBB11_74:                              ;   in Loop: Header=BB11_14 Depth=3
	s_inst_prefetch 0x2
	s_or_b32 exec_lo, exec_lo, s73
	s_and_saveexec_b32 s73, s74
	s_xor_b32 s73, exec_lo, s73
	s_cbranch_execz .LBB11_76
; %bb.75:                               ;   in Loop: Header=BB11_14 Depth=3
	v_add_co_u32 v10, vcc_lo, s30, v10
	v_add_co_ci_u32_e64 v11, null, s31, v11, vcc_lo
	v_add_co_u32 v12, vcc_lo, s48, v7
	v_add_co_ci_u32_e64 v13, null, s49, v8, vcc_lo
	global_load_dword v1, v[10:11], off
	global_load_dword v10, v[12:13], off
	s_waitcnt vmcnt(0)
	v_fmac_f32_e32 v5, v1, v10
.LBB11_76:                              ;   in Loop: Header=BB11_14 Depth=3
	s_or_b32 exec_lo, exec_lo, s73
.LBB11_77:                              ;   in Loop: Header=BB11_14 Depth=3
	s_or_b32 exec_lo, exec_lo, s72
                                        ; implicit-def: $vgpr11
                                        ; implicit-def: $vgpr10
                                        ; implicit-def: $vgpr36
	s_andn2_saveexec_b32 s71, s71
	s_cbranch_execz .LBB11_65
.LBB11_78:                              ;   in Loop: Header=BB11_14 Depth=3
	s_mov_b32 s72, 0
                                        ; implicit-def: $sgpr73
                                        ; implicit-def: $sgpr75
                                        ; implicit-def: $sgpr74
	s_inst_prefetch 0x1
	s_branch .LBB11_80
	.p2align	6
.LBB11_79:                              ;   in Loop: Header=BB11_80 Depth=4
	s_or_b32 exec_lo, exec_lo, s76
	s_and_b32 s76, exec_lo, s75
	s_or_b32 s72, s76, s72
	s_andn2_b32 s73, s73, exec_lo
	s_and_b32 s76, s74, exec_lo
	s_or_b32 s73, s73, s76
	s_andn2_b32 exec_lo, exec_lo, s72
	s_cbranch_execz .LBB11_82
.LBB11_80:                              ;   Parent Loop BB11_5 Depth=1
                                        ;     Parent Loop BB11_9 Depth=2
                                        ;       Parent Loop BB11_14 Depth=3
                                        ; =>      This Inner Loop Header: Depth=4
	v_add_nc_u32_e32 v12, v10, v11
	s_or_b32 s74, s74, exec_lo
	s_or_b32 s75, s75, exec_lo
	s_mov_b32 s76, exec_lo
	v_ashrrev_i32_e32 v13, 31, v12
	v_lshlrev_b64 v[12:13], 2, v[12:13]
	v_add_co_u32 v15, vcc_lo, s20, v12
	v_add_co_ci_u32_e64 v16, null, s21, v13, vcc_lo
	global_load_dword v1, v[15:16], off
	s_waitcnt vmcnt(0)
	v_subrev_nc_u32_e32 v1, s62, v1
	v_cmpx_ne_u32_e64 v1, v3
	s_cbranch_execz .LBB11_79
; %bb.81:                               ;   in Loop: Header=BB11_80 Depth=4
	v_add_nc_u32_e32 v11, 1, v11
	s_andn2_b32 s75, s75, exec_lo
	s_andn2_b32 s74, s74, exec_lo
	v_cmp_ge_i32_e32 vcc_lo, v11, v36
	s_and_b32 s77, vcc_lo, exec_lo
	s_or_b32 s75, s75, s77
	s_branch .LBB11_79
.LBB11_82:                              ;   in Loop: Header=BB11_14 Depth=3
	s_inst_prefetch 0x2
	s_or_b32 exec_lo, exec_lo, s72
	s_and_saveexec_b32 s72, s73
	s_xor_b32 s72, exec_lo, s72
	s_cbranch_execz .LBB11_84
; %bb.83:                               ;   in Loop: Header=BB11_14 Depth=3
	v_add_co_u32 v10, vcc_lo, s22, v12
	v_add_co_ci_u32_e64 v11, null, s23, v13, vcc_lo
	global_load_dword v1, v[10:11], off
	s_waitcnt vmcnt(0)
	v_add_f32_e32 v5, v5, v1
.LBB11_84:                              ;   in Loop: Header=BB11_14 Depth=3
	s_or_b32 exec_lo, exec_lo, s72
	s_or_b32 exec_lo, exec_lo, s71
	s_mov_b32 s71, exec_lo
	v_cmpx_eq_u32_e64 v3, v9
	s_cbranch_execnz .LBB11_66
	s_branch .LBB11_67
.LBB11_85:                              ;   in Loop: Header=BB11_5 Depth=1
	v_xor_b32_e32 v5, 8, v23
	v_xor_b32_e32 v4, 4, v23
	;; [unrolled: 1-line block ×4, first 2 shown]
	s_and_b32 vcc_lo, exec_lo, s56
	s_cbranch_vccnz .LBB11_88
; %bb.86:                               ;   in Loop: Header=BB11_5 Depth=1
	s_andn2_b32 vcc_lo, exec_lo, s33
	s_cbranch_vccz .LBB11_103
.LBB11_87:                              ;   in Loop: Header=BB11_5 Depth=1
	s_and_saveexec_b32 s12, s9
	s_cbranch_execnz .LBB11_118
	s_branch .LBB11_129
.LBB11_88:                              ;   in Loop: Header=BB11_5 Depth=1
	v_cmp_gt_i32_e32 vcc_lo, 32, v5
	v_cndmask_b32_e32 v6, v23, v5, vcc_lo
	v_cmp_gt_i32_e32 vcc_lo, 32, v4
	v_lshlrev_b32_e32 v6, 2, v6
	v_cndmask_b32_e32 v7, v23, v4, vcc_lo
	ds_bpermute_b32 v6, v6, v24
	v_lshlrev_b32_e32 v7, 2, v7
	s_waitcnt lgkmcnt(0)
	v_cmp_lt_f32_e32 vcc_lo, v24, v6
	v_cndmask_b32_e32 v6, v24, v6, vcc_lo
	v_cmp_gt_i32_e32 vcc_lo, 32, v3
	ds_bpermute_b32 v7, v7, v6
	v_cndmask_b32_e32 v8, v23, v3, vcc_lo
	v_lshlrev_b32_e32 v8, 2, v8
	s_waitcnt lgkmcnt(0)
	v_cmp_lt_f32_e32 vcc_lo, v6, v7
	v_cndmask_b32_e32 v6, v6, v7, vcc_lo
	v_cmp_gt_i32_e32 vcc_lo, 32, v1
	ds_bpermute_b32 v7, v8, v6
	v_cndmask_b32_e32 v8, v23, v1, vcc_lo
	s_waitcnt lgkmcnt(0)
	v_cmp_lt_f32_e32 vcc_lo, v6, v7
	v_cndmask_b32_e32 v6, v6, v7, vcc_lo
	v_lshlrev_b32_e32 v7, 2, v8
	ds_bpermute_b32 v7, v7, v6
	s_and_saveexec_b32 s11, s0
	s_cbranch_execz .LBB11_90
; %bb.89:                               ;   in Loop: Header=BB11_5 Depth=1
	s_waitcnt lgkmcnt(0)
	v_cmp_lt_f32_e32 vcc_lo, v6, v7
	v_cndmask_b32_e32 v6, v6, v7, vcc_lo
	ds_write_b32 v26, v6
.LBB11_90:                              ;   in Loop: Header=BB11_5 Depth=1
	s_or_b32 exec_lo, exec_lo, s11
	s_waitcnt lgkmcnt(0)
	s_waitcnt_vscnt null, 0x0
	s_barrier
	buffer_gl0_inv
	s_and_saveexec_b32 s11, s1
	s_cbranch_execz .LBB11_92
; %bb.91:                               ;   in Loop: Header=BB11_5 Depth=1
	ds_read2_b32 v[6:7], v19 offset1:32
	s_waitcnt lgkmcnt(0)
	v_cmp_lt_f32_e32 vcc_lo, v6, v7
	v_cndmask_b32_e32 v6, v6, v7, vcc_lo
	ds_write_b32 v19, v6
.LBB11_92:                              ;   in Loop: Header=BB11_5 Depth=1
	s_or_b32 exec_lo, exec_lo, s11
	s_waitcnt lgkmcnt(0)
	s_barrier
	buffer_gl0_inv
	s_and_saveexec_b32 s11, s2
	s_cbranch_execz .LBB11_94
; %bb.93:                               ;   in Loop: Header=BB11_5 Depth=1
	ds_read2_b32 v[6:7], v19 offset1:16
	s_waitcnt lgkmcnt(0)
	v_cmp_lt_f32_e32 vcc_lo, v6, v7
	v_cndmask_b32_e32 v6, v6, v7, vcc_lo
	ds_write_b32 v19, v6
.LBB11_94:                              ;   in Loop: Header=BB11_5 Depth=1
	s_or_b32 exec_lo, exec_lo, s11
	s_waitcnt lgkmcnt(0)
	;; [unrolled: 13-line block ×4, first 2 shown]
	s_barrier
	buffer_gl0_inv
	s_and_saveexec_b32 s11, s7
	s_cbranch_execz .LBB11_100
; %bb.99:                               ;   in Loop: Header=BB11_5 Depth=1
	ds_read2_b32 v[6:7], v19 offset1:2
	s_waitcnt lgkmcnt(0)
	v_cmp_lt_f32_e32 vcc_lo, v6, v7
	v_cndmask_b32_e32 v6, v6, v7, vcc_lo
	ds_write_b32 v19, v6
.LBB11_100:                             ;   in Loop: Header=BB11_5 Depth=1
	s_or_b32 exec_lo, exec_lo, s11
	s_waitcnt lgkmcnt(0)
	s_barrier
	buffer_gl0_inv
	s_and_saveexec_b32 s11, s8
	s_cbranch_execz .LBB11_102
; %bb.101:                              ;   in Loop: Header=BB11_5 Depth=1
	ds_read_b64 v[6:7], v2
	s_waitcnt lgkmcnt(0)
	v_cmp_lt_f32_e32 vcc_lo, v6, v7
	v_cndmask_b32_e32 v6, v6, v7, vcc_lo
	ds_write_b32 v2, v6
.LBB11_102:                             ;   in Loop: Header=BB11_5 Depth=1
	s_or_b32 exec_lo, exec_lo, s11
	s_waitcnt lgkmcnt(0)
	s_barrier
	buffer_gl0_inv
	ds_read_b32 v6, v2
	s_load_dword s11, s[54:55], 0x0
	s_waitcnt lgkmcnt(0)
	v_div_scale_f32 v7, null, s11, s11, v6
	v_rcp_f32_e32 v8, v7
	v_fma_f32 v9, -v7, v8, 1.0
	v_fmac_f32_e32 v8, v9, v8
	v_div_scale_f32 v9, vcc_lo, v6, s11, v6
	v_mul_f32_e32 v10, v9, v8
	v_fma_f32 v11, -v7, v10, v9
	v_fmac_f32_e32 v10, v11, v8
	v_fma_f32 v7, -v7, v10, v9
	v_div_fmas_f32 v7, v7, v8, v10
	v_div_fixup_f32 v24, v7, s11, v6
	s_andn2_b32 vcc_lo, exec_lo, s33
	s_cbranch_vccnz .LBB11_87
.LBB11_103:                             ;   in Loop: Header=BB11_5 Depth=1
	v_cmp_gt_i32_e32 vcc_lo, 32, v5
	v_cndmask_b32_e32 v5, v23, v5, vcc_lo
	v_cmp_gt_i32_e32 vcc_lo, 32, v4
	v_lshlrev_b32_e32 v5, 2, v5
	v_cndmask_b32_e32 v4, v23, v4, vcc_lo
	ds_bpermute_b32 v5, v5, v20
	v_lshlrev_b32_e32 v4, 2, v4
	s_waitcnt lgkmcnt(0)
	v_cmp_lt_f32_e32 vcc_lo, v20, v5
	v_cndmask_b32_e32 v5, v20, v5, vcc_lo
	v_cmp_gt_i32_e32 vcc_lo, 32, v3
	ds_bpermute_b32 v4, v4, v5
	v_cndmask_b32_e32 v3, v23, v3, vcc_lo
	v_lshlrev_b32_e32 v3, 2, v3
	s_waitcnt lgkmcnt(0)
	v_cmp_lt_f32_e32 vcc_lo, v5, v4
	v_cndmask_b32_e32 v4, v5, v4, vcc_lo
	v_cmp_gt_i32_e32 vcc_lo, 32, v1
	ds_bpermute_b32 v3, v3, v4
	v_cndmask_b32_e32 v5, v23, v1, vcc_lo
	s_waitcnt lgkmcnt(0)
	v_cmp_lt_f32_e32 vcc_lo, v4, v3
	v_cndmask_b32_e32 v1, v4, v3, vcc_lo
	v_lshlrev_b32_e32 v3, 2, v5
	ds_bpermute_b32 v3, v3, v1
	s_and_saveexec_b32 s11, s0
	s_cbranch_execz .LBB11_105
; %bb.104:                              ;   in Loop: Header=BB11_5 Depth=1
	s_waitcnt lgkmcnt(0)
	v_cmp_lt_f32_e32 vcc_lo, v1, v3
	v_cndmask_b32_e32 v1, v1, v3, vcc_lo
	ds_write_b32 v26, v1
.LBB11_105:                             ;   in Loop: Header=BB11_5 Depth=1
	s_or_b32 exec_lo, exec_lo, s11
	s_waitcnt lgkmcnt(0)
	s_waitcnt_vscnt null, 0x0
	s_barrier
	buffer_gl0_inv
	s_and_saveexec_b32 s11, s1
	s_cbranch_execz .LBB11_107
; %bb.106:                              ;   in Loop: Header=BB11_5 Depth=1
	ds_read2_b32 v[3:4], v19 offset1:32
	s_waitcnt lgkmcnt(0)
	v_cmp_lt_f32_e32 vcc_lo, v3, v4
	v_cndmask_b32_e32 v1, v3, v4, vcc_lo
	ds_write_b32 v19, v1
.LBB11_107:                             ;   in Loop: Header=BB11_5 Depth=1
	s_or_b32 exec_lo, exec_lo, s11
	s_waitcnt lgkmcnt(0)
	s_barrier
	buffer_gl0_inv
	s_and_saveexec_b32 s11, s2
	s_cbranch_execz .LBB11_109
; %bb.108:                              ;   in Loop: Header=BB11_5 Depth=1
	ds_read2_b32 v[3:4], v19 offset1:16
	s_waitcnt lgkmcnt(0)
	v_cmp_lt_f32_e32 vcc_lo, v3, v4
	v_cndmask_b32_e32 v1, v3, v4, vcc_lo
	ds_write_b32 v19, v1
.LBB11_109:                             ;   in Loop: Header=BB11_5 Depth=1
	s_or_b32 exec_lo, exec_lo, s11
	s_waitcnt lgkmcnt(0)
	;; [unrolled: 13-line block ×5, first 2 shown]
	s_barrier
	buffer_gl0_inv
	s_and_saveexec_b32 s11, s8
	s_cbranch_execz .LBB11_117
; %bb.116:                              ;   in Loop: Header=BB11_5 Depth=1
	ds_read_b64 v[3:4], v2
	s_waitcnt lgkmcnt(0)
	v_cmp_lt_f32_e32 vcc_lo, v3, v4
	v_cndmask_b32_e32 v1, v3, v4, vcc_lo
	ds_write_b32 v2, v1
.LBB11_117:                             ;   in Loop: Header=BB11_5 Depth=1
	s_or_b32 exec_lo, exec_lo, s11
	s_waitcnt lgkmcnt(0)
	s_barrier
	buffer_gl0_inv
	ds_read_b32 v1, v2
	s_load_dword s11, s[54:55], 0x0
	s_waitcnt lgkmcnt(0)
	v_div_scale_f32 v3, null, s11, s11, v1
	v_rcp_f32_e32 v4, v3
	v_fma_f32 v5, -v3, v4, 1.0
	v_fmac_f32_e32 v4, v5, v4
	v_div_scale_f32 v5, vcc_lo, v1, s11, v1
	v_mul_f32_e32 v6, v5, v4
	v_fma_f32 v7, -v3, v6, v5
	v_fmac_f32_e32 v6, v7, v4
	v_fma_f32 v3, -v3, v6, v5
	v_div_fmas_f32 v3, v3, v4, v6
	v_div_fixup_f32 v20, v3, s11, v1
	s_and_saveexec_b32 s12, s9
	s_cbranch_execz .LBB11_129
.LBB11_118:                             ;   in Loop: Header=BB11_5 Depth=1
	v_mov_b32_e32 v3, v25
	s_mov_b32 s67, 0
	s_branch .LBB11_120
.LBB11_119:                             ;   in Loop: Header=BB11_120 Depth=2
	s_or_b32 exec_lo, exec_lo, s68
	v_add_nc_u32_e32 v3, 64, v3
	v_cmp_le_u32_e32 vcc_lo, s63, v3
	s_or_b32 s67, vcc_lo, s67
	s_andn2_b32 exec_lo, exec_lo, s67
	s_cbranch_execz .LBB11_129
.LBB11_120:                             ;   Parent Loop BB11_5 Depth=1
                                        ; =>  This Loop Header: Depth=2
                                        ;       Child Loop BB11_123 Depth 3
                                        ;       Child Loop BB11_126 Depth 3
	s_mov_b32 s68, exec_lo
	v_cmpx_gt_i32_e64 s15, v3
	s_cbranch_execz .LBB11_119
; %bb.121:                              ;   in Loop: Header=BB11_120 Depth=2
	v_ashrrev_i32_e32 v4, 31, v3
	s_mov_b32 s69, exec_lo
	v_lshlrev_b64 v[4:5], 2, v[3:4]
	v_add_co_u32 v6, vcc_lo, s24, v4
	v_add_co_ci_u32_e64 v7, null, s25, v5, vcc_lo
	v_add_co_u32 v8, vcc_lo, s26, v4
	v_add_co_ci_u32_e64 v9, null, s27, v5, vcc_lo
	global_load_dword v1, v[6:7], off
	global_load_dword v7, v[8:9], off
	s_waitcnt vmcnt(1)
	v_add_nc_u32_e32 v6, v28, v1
	s_waitcnt vmcnt(0)
	v_subrev_nc_u32_e32 v1, s61, v7
	v_cmpx_lt_i32_e64 v6, v1
	s_cbranch_execz .LBB11_124
; %bb.122:                              ;   in Loop: Header=BB11_120 Depth=2
	v_ashrrev_i32_e32 v7, 31, v6
	s_mov_b32 s70, 0
	v_lshlrev_b64 v[9:10], 2, v[6:7]
	v_add_co_u32 v7, vcc_lo, s52, v9
	v_add_co_ci_u32_e64 v8, null, s53, v10, vcc_lo
	v_add_co_u32 v9, vcc_lo, s30, v9
	v_add_co_ci_u32_e64 v10, null, s31, v10, vcc_lo
	.p2align	6
.LBB11_123:                             ;   Parent Loop BB11_5 Depth=1
                                        ;     Parent Loop BB11_120 Depth=2
                                        ; =>    This Inner Loop Header: Depth=3
	global_load_dword v11, v[7:8], off
	v_add_nc_u32_e32 v6, 16, v6
	v_add_co_u32 v7, vcc_lo, v7, 64
	v_add_co_ci_u32_e64 v8, null, 0, v8, vcc_lo
	v_cmp_ge_i32_e32 vcc_lo, v6, v1
	s_or_b32 s70, vcc_lo, s70
	s_waitcnt vmcnt(0)
	global_store_dword v[9:10], v11, off
	v_add_co_u32 v9, s11, v9, 64
	v_add_co_ci_u32_e64 v10, null, 0, v10, s11
	s_andn2_b32 exec_lo, exec_lo, s70
	s_cbranch_execnz .LBB11_123
.LBB11_124:                             ;   in Loop: Header=BB11_120 Depth=2
	s_or_b32 exec_lo, exec_lo, s69
	v_add_co_u32 v6, vcc_lo, s16, v4
	v_add_co_ci_u32_e64 v7, null, s17, v5, vcc_lo
	v_add_co_u32 v8, vcc_lo, s18, v4
	v_add_co_ci_u32_e64 v9, null, s19, v5, vcc_lo
	global_load_dword v1, v[6:7], off
	global_load_dword v7, v[8:9], off
	s_mov_b32 s69, exec_lo
	s_waitcnt vmcnt(1)
	v_add_nc_u32_e32 v6, v29, v1
	s_waitcnt vmcnt(0)
	v_subrev_nc_u32_e32 v1, s62, v7
	v_cmpx_lt_i32_e64 v6, v1
	s_cbranch_execz .LBB11_127
; %bb.125:                              ;   in Loop: Header=BB11_120 Depth=2
	v_ashrrev_i32_e32 v7, 31, v6
	s_mov_b32 s70, 0
	v_lshlrev_b64 v[9:10], 2, v[6:7]
	v_add_co_u32 v7, vcc_lo, s34, v9
	v_add_co_ci_u32_e64 v8, null, s35, v10, vcc_lo
	v_add_co_u32 v9, vcc_lo, s22, v9
	v_add_co_ci_u32_e64 v10, null, s23, v10, vcc_lo
	.p2align	6
.LBB11_126:                             ;   Parent Loop BB11_5 Depth=1
                                        ;     Parent Loop BB11_120 Depth=2
                                        ; =>    This Inner Loop Header: Depth=3
	global_load_dword v11, v[7:8], off
	v_add_nc_u32_e32 v6, 16, v6
	v_add_co_u32 v7, vcc_lo, v7, 64
	v_add_co_ci_u32_e64 v8, null, 0, v8, vcc_lo
	v_cmp_ge_i32_e32 vcc_lo, v6, v1
	s_or_b32 s70, vcc_lo, s70
	s_waitcnt vmcnt(0)
	global_store_dword v[9:10], v11, off
	v_add_co_u32 v9, s11, v9, 64
	v_add_co_ci_u32_e64 v10, null, 0, v10, s11
	s_andn2_b32 exec_lo, exec_lo, s70
	s_cbranch_execnz .LBB11_126
.LBB11_127:                             ;   in Loop: Header=BB11_120 Depth=2
	s_or_b32 exec_lo, exec_lo, s69
	s_and_b32 exec_lo, exec_lo, s10
	s_cbranch_execz .LBB11_119
; %bb.128:                              ;   in Loop: Header=BB11_120 Depth=2
	v_add_co_u32 v6, vcc_lo, s50, v4
	v_add_co_ci_u32_e64 v7, null, s51, v5, vcc_lo
	v_add_co_u32 v4, vcc_lo, s48, v4
	v_add_co_ci_u32_e64 v5, null, s49, v5, vcc_lo
	global_load_dword v1, v[6:7], off
	s_waitcnt vmcnt(0)
	global_store_dword v[4:5], v1, off
	s_branch .LBB11_119
.LBB11_129:                             ;   in Loop: Header=BB11_5 Depth=1
	s_or_b32 exec_lo, exec_lo, s12
	s_mov_b32 s12, -1
	s_and_b32 vcc_lo, exec_lo, s57
	s_mov_b32 s67, -1
	s_cbranch_vccz .LBB11_139
; %bb.130:                              ;   in Loop: Header=BB11_5 Depth=1
	s_and_b32 vcc_lo, exec_lo, s65
	s_mov_b32 s11, -1
                                        ; implicit-def: $sgpr67
	s_cbranch_vccz .LBB11_136
; %bb.131:                              ;   in Loop: Header=BB11_5 Depth=1
	s_and_b32 vcc_lo, exec_lo, s64
                                        ; implicit-def: $sgpr67
	s_cbranch_vccz .LBB11_133
; %bb.132:                              ;   in Loop: Header=BB11_5 Depth=1
	v_cmp_ge_f32_e64 s67, s14, v20
	s_mov_b32 s11, 0
.LBB11_133:                             ;   in Loop: Header=BB11_5 Depth=1
	s_andn2_b32 vcc_lo, exec_lo, s11
	s_cbranch_vccnz .LBB11_135
; %bb.134:                              ;   in Loop: Header=BB11_5 Depth=1
	v_cmp_ge_f32_e32 vcc_lo, s14, v24
	s_andn2_b32 s11, s67, exec_lo
	s_and_b32 s67, vcc_lo, exec_lo
	s_or_b32 s67, s11, s67
.LBB11_135:                             ;   in Loop: Header=BB11_5 Depth=1
	s_mov_b32 s11, 0
.LBB11_136:                             ;   in Loop: Header=BB11_5 Depth=1
	s_andn2_b32 vcc_lo, exec_lo, s11
	s_cbranch_vccnz .LBB11_138
; %bb.137:                              ;   in Loop: Header=BB11_5 Depth=1
	v_cmp_ge_f32_e32 vcc_lo, s14, v24
	v_cmp_ge_f32_e64 s11, s14, v20
	s_andn2_b32 s67, s67, exec_lo
	s_and_b32 s11, vcc_lo, s11
	s_and_b32 s11, s11, exec_lo
	s_or_b32 s67, s67, s11
.LBB11_138:                             ;   in Loop: Header=BB11_5 Depth=1
	s_xor_b32 s67, s67, -1
.LBB11_139:                             ;   in Loop: Header=BB11_5 Depth=1
	v_mov_b32_e32 v1, s66
	s_and_saveexec_b32 s11, s67
	s_cbranch_execz .LBB11_4
; %bb.140:                              ;   in Loop: Header=BB11_5 Depth=1
	s_add_i32 s66, s66, 1
	v_mov_b32_e32 v1, s13
	s_cmp_eq_u32 s66, s13
	s_cselect_b32 s12, -1, 0
	s_orn2_b32 s12, s12, exec_lo
	s_branch .LBB11_4
.LBB11_141:
	s_or_b32 exec_lo, exec_lo, s58
	s_or_b32 exec_lo, exec_lo, s59
	s_andn2_b32 vcc_lo, exec_lo, s57
	s_cbranch_vccnz .LBB11_2
.LBB11_142:
	v_xor_b32_e32 v2, 8, v23
	v_xor_b32_e32 v3, 4, v23
	s_mov_b32 s0, exec_lo
	v_cmp_gt_i32_e32 vcc_lo, 32, v2
	v_cndmask_b32_e32 v2, v23, v2, vcc_lo
	v_cmp_gt_i32_e32 vcc_lo, 32, v3
	v_lshlrev_b32_e32 v2, 2, v2
	v_cndmask_b32_e32 v3, v23, v3, vcc_lo
	ds_bpermute_b32 v2, v2, v1
	v_lshlrev_b32_e32 v3, 2, v3
	s_waitcnt lgkmcnt(0)
	v_max_i32_e32 v1, v1, v2
	ds_bpermute_b32 v2, v3, v1
	v_xor_b32_e32 v3, 2, v23
	v_cmp_gt_i32_e32 vcc_lo, 32, v3
	v_cndmask_b32_e32 v3, v23, v3, vcc_lo
	v_lshlrev_b32_e32 v3, 2, v3
	s_waitcnt lgkmcnt(0)
	v_max_i32_e32 v1, v1, v2
	ds_bpermute_b32 v2, v3, v1
	v_xor_b32_e32 v3, 1, v23
	v_cmp_gt_i32_e32 vcc_lo, 32, v3
	v_cndmask_b32_e32 v3, v23, v3, vcc_lo
	s_waitcnt lgkmcnt(0)
	v_max_i32_e32 v1, v1, v2
	v_lshlrev_b32_e32 v2, 2, v3
	ds_bpermute_b32 v2, v2, v1
	v_cmpx_eq_u32_e32 15, v22
	s_cbranch_execz .LBB11_144
; %bb.143:
	v_lshlrev_b32_e32 v3, 2, v21
	s_waitcnt lgkmcnt(0)
	v_max_i32_e32 v1, v1, v2
	ds_write_b32 v3, v1 offset:256
.LBB11_144:
	s_or_b32 exec_lo, exec_lo, s0
	s_mov_b32 s0, exec_lo
	s_waitcnt lgkmcnt(0)
	s_waitcnt_vscnt null, 0x0
	s_barrier
	buffer_gl0_inv
	v_cmpx_gt_u32_e32 32, v0
	s_cbranch_execz .LBB11_146
; %bb.145:
	ds_read2_b32 v[1:2], v19 offset0:64 offset1:96
	s_waitcnt lgkmcnt(0)
	v_max_i32_e32 v1, v1, v2
	ds_write_b32 v19, v1 offset:256
.LBB11_146:
	s_or_b32 exec_lo, exec_lo, s0
	s_mov_b32 s0, exec_lo
	s_waitcnt lgkmcnt(0)
	s_barrier
	buffer_gl0_inv
	v_cmpx_gt_u32_e32 16, v0
	s_cbranch_execz .LBB11_148
; %bb.147:
	ds_read2_b32 v[1:2], v19 offset0:64 offset1:80
	s_waitcnt lgkmcnt(0)
	v_max_i32_e32 v1, v1, v2
	ds_write_b32 v19, v1 offset:256
.LBB11_148:
	s_or_b32 exec_lo, exec_lo, s0
	s_mov_b32 s0, exec_lo
	s_waitcnt lgkmcnt(0)
	;; [unrolled: 13-line block ×4, first 2 shown]
	s_barrier
	buffer_gl0_inv
	v_cmpx_gt_u32_e32 2, v0
	s_cbranch_execz .LBB11_154
; %bb.153:
	ds_read2_b32 v[1:2], v19 offset0:64 offset1:66
	s_waitcnt lgkmcnt(0)
	v_max_i32_e32 v1, v1, v2
	ds_write_b32 v19, v1 offset:256
.LBB11_154:
	s_or_b32 exec_lo, exec_lo, s0
	v_cmp_eq_u32_e32 vcc_lo, 0, v0
	s_waitcnt lgkmcnt(0)
	s_barrier
	buffer_gl0_inv
	s_and_saveexec_b32 s0, vcc_lo
	s_cbranch_execz .LBB11_156
; %bb.155:
	v_mov_b32_e32 v3, 0
	ds_read_b64 v[1:2], v3 offset:256
	s_waitcnt lgkmcnt(0)
	v_max_i32_e32 v1, v1, v2
	ds_write_b32 v3, v1 offset:256
.LBB11_156:
	s_or_b32 exec_lo, exec_lo, s0
	s_waitcnt lgkmcnt(0)
	s_barrier
	buffer_gl0_inv
	s_and_saveexec_b32 s0, vcc_lo
	s_cbranch_execz .LBB11_159
; %bb.157:
	v_mbcnt_lo_u32_b32 v1, exec_lo, 0
	v_cmp_eq_u32_e32 vcc_lo, 0, v1
	s_and_b32 exec_lo, exec_lo, vcc_lo
	s_cbranch_execz .LBB11_159
; %bb.158:
	v_mov_b32_e32 v1, 0
	s_load_dwordx2 s[2:3], s[4:5], 0x8
	ds_read_b32 v2, v1 offset:256
	s_waitcnt lgkmcnt(0)
	v_add_nc_u32_e32 v2, 1, v2
	global_atomic_smax v1, v2, s[2:3]
.LBB11_159:
	s_or_b32 exec_lo, exec_lo, s0
	v_cmp_eq_u32_e32 vcc_lo, 0, v0
	s_and_b32 s0, vcc_lo, s56
	s_and_saveexec_b32 s1, s0
	s_cbranch_execz .LBB11_166
.LBB11_160:
	v_mov_b32_e32 v0, 0x7fc00000
	s_mov_b32 s0, exec_lo
.LBB11_161:                             ; =>This Inner Loop Header: Depth=1
	s_ff1_i32_b32 s2, s0
	v_max_f32_e32 v0, v0, v0
	v_readlane_b32 s3, v24, s2
	s_lshl_b32 s2, 1, s2
	s_andn2_b32 s0, s0, s2
	s_cmp_lg_u32 s0, 0
	v_max_f32_e64 v1, s3, s3
	v_max_f32_e32 v0, v0, v1
	s_cbranch_scc1 .LBB11_161
; %bb.162:
	v_mbcnt_lo_u32_b32 v1, exec_lo, 0
	s_mov_b32 s2, 0
	s_mov_b32 s3, exec_lo
	v_cmpx_eq_u32_e32 0, v1
	s_xor_b32 s3, exec_lo, s3
	s_cbranch_execz .LBB11_166
; %bb.163:
	v_mov_b32_e32 v2, 0
	v_max_f32_e32 v3, v0, v0
	global_load_dword v1, v2, s[44:45]
.LBB11_164:                             ; =>This Inner Loop Header: Depth=1
	s_waitcnt vmcnt(0)
	v_max_f32_e32 v0, v1, v1
	v_max_f32_e32 v0, v0, v3
	global_atomic_cmpswap v0, v2, v[0:1], s[44:45] glc
	s_waitcnt vmcnt(0)
	v_cmp_eq_u32_e64 s0, v0, v1
	v_mov_b32_e32 v1, v0
	s_or_b32 s2, s0, s2
	s_andn2_b32 exec_lo, exec_lo, s2
	s_cbranch_execnz .LBB11_164
; %bb.165:
	s_or_b32 exec_lo, exec_lo, s2
.LBB11_166:
	s_or_b32 exec_lo, exec_lo, s1
	s_and_b32 s0, vcc_lo, s33
	s_and_saveexec_b32 s1, s0
	s_cbranch_execz .LBB11_172
; %bb.167:
	v_mov_b32_e32 v0, 0x7fc00000
	s_mov_b32 s0, exec_lo
.LBB11_168:                             ; =>This Inner Loop Header: Depth=1
	s_ff1_i32_b32 s1, s0
	v_max_f32_e32 v0, v0, v0
	v_readlane_b32 s2, v20, s1
	s_lshl_b32 s1, 1, s1
	s_andn2_b32 s0, s0, s1
	s_cmp_lg_u32 s0, 0
	v_max_f32_e64 v1, s2, s2
	v_max_f32_e32 v0, v0, v1
	s_cbranch_scc1 .LBB11_168
; %bb.169:
	v_mbcnt_lo_u32_b32 v1, exec_lo, 0
	s_mov_b32 s0, 0
	s_mov_b32 s1, exec_lo
	v_cmpx_eq_u32_e32 0, v1
	s_xor_b32 s1, exec_lo, s1
	s_cbranch_execz .LBB11_172
; %bb.170:
	v_mov_b32_e32 v2, 0
	v_max_f32_e32 v3, v0, v0
	global_load_dword v1, v2, s[46:47]
.LBB11_171:                             ; =>This Inner Loop Header: Depth=1
	s_waitcnt vmcnt(0)
	v_max_f32_e32 v0, v1, v1
	v_max_f32_e32 v0, v0, v3
	global_atomic_cmpswap v0, v2, v[0:1], s[46:47] glc
	s_waitcnt vmcnt(0)
	v_cmp_eq_u32_e32 vcc_lo, v0, v1
	v_mov_b32_e32 v1, v0
	s_or_b32 s0, vcc_lo, s0
	s_andn2_b32 exec_lo, exec_lo, s0
	s_cbranch_execnz .LBB11_171
.LBB11_172:
	s_endpgm
	.section	.rodata,"a",@progbits
	.p2align	6, 0x0
	.amdhsa_kernel _ZN9rocsparseL6kernelILi1024ELi16EfiiEEvbbbT3_PS1_NS_15floating_traitsIT1_E6data_tES1_T2_PKS7_S9_PKS1_PKS4_21rocsparse_index_base_S9_S9_SB_PS4_SF_SE_S9_S9_SB_SF_SF_SE_SF_SF_PS6_SG_PKS6_
		.amdhsa_group_segment_fixed_size 512
		.amdhsa_private_segment_fixed_size 0
		.amdhsa_kernarg_size 208
		.amdhsa_user_sgpr_count 6
		.amdhsa_user_sgpr_private_segment_buffer 1
		.amdhsa_user_sgpr_dispatch_ptr 0
		.amdhsa_user_sgpr_queue_ptr 0
		.amdhsa_user_sgpr_kernarg_segment_ptr 1
		.amdhsa_user_sgpr_dispatch_id 0
		.amdhsa_user_sgpr_flat_scratch_init 0
		.amdhsa_user_sgpr_private_segment_size 0
		.amdhsa_wavefront_size32 1
		.amdhsa_uses_dynamic_stack 0
		.amdhsa_system_sgpr_private_segment_wavefront_offset 0
		.amdhsa_system_sgpr_workgroup_id_x 1
		.amdhsa_system_sgpr_workgroup_id_y 0
		.amdhsa_system_sgpr_workgroup_id_z 0
		.amdhsa_system_sgpr_workgroup_info 0
		.amdhsa_system_vgpr_workitem_id 0
		.amdhsa_next_free_vgpr 45
		.amdhsa_next_free_sgpr 81
		.amdhsa_reserve_vcc 1
		.amdhsa_reserve_flat_scratch 0
		.amdhsa_float_round_mode_32 0
		.amdhsa_float_round_mode_16_64 0
		.amdhsa_float_denorm_mode_32 3
		.amdhsa_float_denorm_mode_16_64 3
		.amdhsa_dx10_clamp 1
		.amdhsa_ieee_mode 1
		.amdhsa_fp16_overflow 0
		.amdhsa_workgroup_processor_mode 1
		.amdhsa_memory_ordered 1
		.amdhsa_forward_progress 1
		.amdhsa_shared_vgpr_count 0
		.amdhsa_exception_fp_ieee_invalid_op 0
		.amdhsa_exception_fp_denorm_src 0
		.amdhsa_exception_fp_ieee_div_zero 0
		.amdhsa_exception_fp_ieee_overflow 0
		.amdhsa_exception_fp_ieee_underflow 0
		.amdhsa_exception_fp_ieee_inexact 0
		.amdhsa_exception_int_div_zero 0
	.end_amdhsa_kernel
	.section	.text._ZN9rocsparseL6kernelILi1024ELi16EfiiEEvbbbT3_PS1_NS_15floating_traitsIT1_E6data_tES1_T2_PKS7_S9_PKS1_PKS4_21rocsparse_index_base_S9_S9_SB_PS4_SF_SE_S9_S9_SB_SF_SF_SE_SF_SF_PS6_SG_PKS6_,"axG",@progbits,_ZN9rocsparseL6kernelILi1024ELi16EfiiEEvbbbT3_PS1_NS_15floating_traitsIT1_E6data_tES1_T2_PKS7_S9_PKS1_PKS4_21rocsparse_index_base_S9_S9_SB_PS4_SF_SE_S9_S9_SB_SF_SF_SE_SF_SF_PS6_SG_PKS6_,comdat
.Lfunc_end11:
	.size	_ZN9rocsparseL6kernelILi1024ELi16EfiiEEvbbbT3_PS1_NS_15floating_traitsIT1_E6data_tES1_T2_PKS7_S9_PKS1_PKS4_21rocsparse_index_base_S9_S9_SB_PS4_SF_SE_S9_S9_SB_SF_SF_SE_SF_SF_PS6_SG_PKS6_, .Lfunc_end11-_ZN9rocsparseL6kernelILi1024ELi16EfiiEEvbbbT3_PS1_NS_15floating_traitsIT1_E6data_tES1_T2_PKS7_S9_PKS1_PKS4_21rocsparse_index_base_S9_S9_SB_PS4_SF_SE_S9_S9_SB_SF_SF_SE_SF_SF_PS6_SG_PKS6_
                                        ; -- End function
	.set _ZN9rocsparseL6kernelILi1024ELi16EfiiEEvbbbT3_PS1_NS_15floating_traitsIT1_E6data_tES1_T2_PKS7_S9_PKS1_PKS4_21rocsparse_index_base_S9_S9_SB_PS4_SF_SE_S9_S9_SB_SF_SF_SE_SF_SF_PS6_SG_PKS6_.num_vgpr, 45
	.set _ZN9rocsparseL6kernelILi1024ELi16EfiiEEvbbbT3_PS1_NS_15floating_traitsIT1_E6data_tES1_T2_PKS7_S9_PKS1_PKS4_21rocsparse_index_base_S9_S9_SB_PS4_SF_SE_S9_S9_SB_SF_SF_SE_SF_SF_PS6_SG_PKS6_.num_agpr, 0
	.set _ZN9rocsparseL6kernelILi1024ELi16EfiiEEvbbbT3_PS1_NS_15floating_traitsIT1_E6data_tES1_T2_PKS7_S9_PKS1_PKS4_21rocsparse_index_base_S9_S9_SB_PS4_SF_SE_S9_S9_SB_SF_SF_SE_SF_SF_PS6_SG_PKS6_.numbered_sgpr, 81
	.set _ZN9rocsparseL6kernelILi1024ELi16EfiiEEvbbbT3_PS1_NS_15floating_traitsIT1_E6data_tES1_T2_PKS7_S9_PKS1_PKS4_21rocsparse_index_base_S9_S9_SB_PS4_SF_SE_S9_S9_SB_SF_SF_SE_SF_SF_PS6_SG_PKS6_.num_named_barrier, 0
	.set _ZN9rocsparseL6kernelILi1024ELi16EfiiEEvbbbT3_PS1_NS_15floating_traitsIT1_E6data_tES1_T2_PKS7_S9_PKS1_PKS4_21rocsparse_index_base_S9_S9_SB_PS4_SF_SE_S9_S9_SB_SF_SF_SE_SF_SF_PS6_SG_PKS6_.private_seg_size, 0
	.set _ZN9rocsparseL6kernelILi1024ELi16EfiiEEvbbbT3_PS1_NS_15floating_traitsIT1_E6data_tES1_T2_PKS7_S9_PKS1_PKS4_21rocsparse_index_base_S9_S9_SB_PS4_SF_SE_S9_S9_SB_SF_SF_SE_SF_SF_PS6_SG_PKS6_.uses_vcc, 1
	.set _ZN9rocsparseL6kernelILi1024ELi16EfiiEEvbbbT3_PS1_NS_15floating_traitsIT1_E6data_tES1_T2_PKS7_S9_PKS1_PKS4_21rocsparse_index_base_S9_S9_SB_PS4_SF_SE_S9_S9_SB_SF_SF_SE_SF_SF_PS6_SG_PKS6_.uses_flat_scratch, 0
	.set _ZN9rocsparseL6kernelILi1024ELi16EfiiEEvbbbT3_PS1_NS_15floating_traitsIT1_E6data_tES1_T2_PKS7_S9_PKS1_PKS4_21rocsparse_index_base_S9_S9_SB_PS4_SF_SE_S9_S9_SB_SF_SF_SE_SF_SF_PS6_SG_PKS6_.has_dyn_sized_stack, 0
	.set _ZN9rocsparseL6kernelILi1024ELi16EfiiEEvbbbT3_PS1_NS_15floating_traitsIT1_E6data_tES1_T2_PKS7_S9_PKS1_PKS4_21rocsparse_index_base_S9_S9_SB_PS4_SF_SE_S9_S9_SB_SF_SF_SE_SF_SF_PS6_SG_PKS6_.has_recursion, 0
	.set _ZN9rocsparseL6kernelILi1024ELi16EfiiEEvbbbT3_PS1_NS_15floating_traitsIT1_E6data_tES1_T2_PKS7_S9_PKS1_PKS4_21rocsparse_index_base_S9_S9_SB_PS4_SF_SE_S9_S9_SB_SF_SF_SE_SF_SF_PS6_SG_PKS6_.has_indirect_call, 0
	.section	.AMDGPU.csdata,"",@progbits
; Kernel info:
; codeLenInByte = 5836
; TotalNumSgprs: 83
; NumVgprs: 45
; ScratchSize: 0
; MemoryBound: 0
; FloatMode: 240
; IeeeMode: 1
; LDSByteSize: 512 bytes/workgroup (compile time only)
; SGPRBlocks: 0
; VGPRBlocks: 5
; NumSGPRsForWavesPerEU: 83
; NumVGPRsForWavesPerEU: 45
; Occupancy: 16
; WaveLimiterHint : 1
; COMPUTE_PGM_RSRC2:SCRATCH_EN: 0
; COMPUTE_PGM_RSRC2:USER_SGPR: 6
; COMPUTE_PGM_RSRC2:TRAP_HANDLER: 0
; COMPUTE_PGM_RSRC2:TGID_X_EN: 1
; COMPUTE_PGM_RSRC2:TGID_Y_EN: 0
; COMPUTE_PGM_RSRC2:TGID_Z_EN: 0
; COMPUTE_PGM_RSRC2:TIDIG_COMP_CNT: 0
	.section	.text._ZN9rocsparseL6kernelILi1024ELi32EfiiEEvbbbT3_PS1_NS_15floating_traitsIT1_E6data_tES1_T2_PKS7_S9_PKS1_PKS4_21rocsparse_index_base_S9_S9_SB_PS4_SF_SE_S9_S9_SB_SF_SF_SE_SF_SF_PS6_SG_PKS6_,"axG",@progbits,_ZN9rocsparseL6kernelILi1024ELi32EfiiEEvbbbT3_PS1_NS_15floating_traitsIT1_E6data_tES1_T2_PKS7_S9_PKS1_PKS4_21rocsparse_index_base_S9_S9_SB_PS4_SF_SE_S9_S9_SB_SF_SF_SE_SF_SF_PS6_SG_PKS6_,comdat
	.globl	_ZN9rocsparseL6kernelILi1024ELi32EfiiEEvbbbT3_PS1_NS_15floating_traitsIT1_E6data_tES1_T2_PKS7_S9_PKS1_PKS4_21rocsparse_index_base_S9_S9_SB_PS4_SF_SE_S9_S9_SB_SF_SF_SE_SF_SF_PS6_SG_PKS6_ ; -- Begin function _ZN9rocsparseL6kernelILi1024ELi32EfiiEEvbbbT3_PS1_NS_15floating_traitsIT1_E6data_tES1_T2_PKS7_S9_PKS1_PKS4_21rocsparse_index_base_S9_S9_SB_PS4_SF_SE_S9_S9_SB_SF_SF_SE_SF_SF_PS6_SG_PKS6_
	.p2align	8
	.type	_ZN9rocsparseL6kernelILi1024ELi32EfiiEEvbbbT3_PS1_NS_15floating_traitsIT1_E6data_tES1_T2_PKS7_S9_PKS1_PKS4_21rocsparse_index_base_S9_S9_SB_PS4_SF_SE_S9_S9_SB_SF_SF_SE_SF_SF_PS6_SG_PKS6_,@function
_ZN9rocsparseL6kernelILi1024ELi32EfiiEEvbbbT3_PS1_NS_15floating_traitsIT1_E6data_tES1_T2_PKS7_S9_PKS1_PKS4_21rocsparse_index_base_S9_S9_SB_PS4_SF_SE_S9_S9_SB_SF_SF_SE_SF_SF_PS6_SG_PKS6_: ; @_ZN9rocsparseL6kernelILi1024ELi32EfiiEEvbbbT3_PS1_NS_15floating_traitsIT1_E6data_tES1_T2_PKS7_S9_PKS1_PKS4_21rocsparse_index_base_S9_S9_SB_PS4_SF_SE_S9_S9_SB_SF_SF_SE_SF_SF_PS6_SG_PKS6_
; %bb.0:
	s_clause 0x3
	s_load_dword s0, s[4:5], 0x0
	s_load_dwordx2 s[34:35], s[4:5], 0x0
	s_load_dwordx2 s[48:49], s[4:5], 0x10
	s_load_dwordx4 s[28:31], s[4:5], 0xb8
	v_lshrrev_b32_e32 v21, 5, v0
	v_mov_b32_e32 v20, 0
	v_lshlrev_b32_e32 v19, 2, v0
	v_and_b32_e32 v22, 31, v0
	v_mbcnt_lo_u32_b32 v23, -1, 0
	v_mov_b32_e32 v24, 0
	v_mov_b32_e32 v1, 0
	ds_write_b32 v19, v20
	s_waitcnt lgkmcnt(0)
	s_barrier
	buffer_gl0_inv
	s_bitcmp1_b32 s0, 0
	s_cselect_b32 s57, -1, 0
	s_bitcmp1_b32 s0, 8
	s_cselect_b32 s56, -1, 0
	s_bitcmp1_b32 s34, 16
	s_mov_b32 s34, 0
	s_cselect_b32 s33, -1, 0
	s_lshl_b32 s62, s6, 10
	s_cmp_gt_i32 s35, 0
	v_or_b32_e32 v25, s62, v21
	s_cselect_b32 s0, -1, 0
	v_cmp_gt_i32_e32 vcc_lo, s49, v25
	s_and_b32 s0, s0, vcc_lo
	s_and_saveexec_b32 s58, s0
	s_cbranch_execnz .LBB12_3
; %bb.1:
	s_or_b32 exec_lo, exec_lo, s58
	s_andn2_b32 vcc_lo, exec_lo, s57
	s_cbranch_vccz .LBB12_138
.LBB12_2:
	v_cmp_eq_u32_e32 vcc_lo, 0, v0
	s_and_b32 s0, vcc_lo, s56
	s_and_saveexec_b32 s1, s0
	s_cbranch_execnz .LBB12_154
	s_branch .LBB12_160
.LBB12_3:
	s_clause 0x9
	s_load_dword s59, s[4:5], 0x40
	s_load_dword s60, s[4:5], 0x70
	s_load_dword s61, s[4:5], 0xa0
	s_load_dwordx2 s[50:51], s[4:5], 0x98
	s_load_dwordx2 s[52:53], s[4:5], 0x68
	;; [unrolled: 1-line block ×3, first 2 shown]
	s_load_dwordx4 s[44:47], s[4:5], 0xa8
	s_load_dwordx8 s[12:19], s[4:5], 0x78
	s_load_dwordx8 s[20:27], s[4:5], 0x48
	;; [unrolled: 1-line block ×3, first 2 shown]
	s_addk_i32 s62, 0x400
	v_cmp_eq_u32_e64 s0, 31, v22
	v_lshlrev_b32_e32 v26, 2, v21
	v_cmp_gt_u32_e64 s1, 16, v0
	v_cmp_gt_u32_e64 s2, 8, v0
	;; [unrolled: 1-line block ×4, first 2 shown]
	v_cmp_eq_u32_e64 s7, 0, v0
	v_cmp_gt_u32_e64 s8, s62, v25
	v_cmp_eq_u32_e64 s9, 0, v22
	s_waitcnt lgkmcnt(0)
	v_subrev_nc_u32_e32 v27, s59, v22
	v_subrev_nc_u32_e32 v28, s60, v22
	;; [unrolled: 1-line block ×3, first 2 shown]
	v_mov_b32_e32 v2, 0
	v_mov_b32_e32 v24, 0
	;; [unrolled: 1-line block ×3, first 2 shown]
	s_and_b32 s10, s56, s33
	s_xor_b32 s63, s56, -1
	s_xor_b32 s64, s10, -1
	s_mov_b32 s65, 0
	s_branch .LBB12_5
.LBB12_4:                               ;   in Loop: Header=BB12_5 Depth=1
	s_or_b32 exec_lo, exec_lo, s10
	s_and_b32 s10, exec_lo, s11
	s_or_b32 s34, s10, s34
	s_andn2_b32 exec_lo, exec_lo, s34
	s_cbranch_execz .LBB12_137
.LBB12_5:                               ; =>This Loop Header: Depth=1
                                        ;     Child Loop BB12_9 Depth 2
                                        ;       Child Loop BB12_14 Depth 3
                                        ;         Child Loop BB12_18 Depth 4
                                        ;         Child Loop BB12_39 Depth 4
	;; [unrolled: 1-line block ×5, first 2 shown]
                                        ;     Child Loop BB12_116 Depth 2
                                        ;       Child Loop BB12_119 Depth 3
                                        ;       Child Loop BB12_122 Depth 3
	v_cndmask_b32_e64 v24, v24, 0, s56
	v_cndmask_b32_e64 v20, v20, 0, s33
	s_mov_b32 s66, 0
	s_branch .LBB12_9
.LBB12_6:                               ;   in Loop: Header=BB12_9 Depth=2
	s_or_b32 exec_lo, exec_lo, s69
.LBB12_7:                               ;   in Loop: Header=BB12_9 Depth=2
	s_or_b32 exec_lo, exec_lo, s68
.LBB12_8:                               ;   in Loop: Header=BB12_9 Depth=2
	s_or_b32 exec_lo, exec_lo, s67
	s_add_i32 s66, s66, 1
	s_cmp_eq_u32 s66, 32
	s_cbranch_scc1 .LBB12_85
.LBB12_9:                               ;   Parent Loop BB12_5 Depth=1
                                        ; =>  This Loop Header: Depth=2
                                        ;       Child Loop BB12_14 Depth 3
                                        ;         Child Loop BB12_18 Depth 4
                                        ;         Child Loop BB12_39 Depth 4
	;; [unrolled: 1-line block ×5, first 2 shown]
	v_lshl_add_u32 v3, s66, 5, v25
	s_mov_b32 s67, exec_lo
	v_cmpx_gt_i32_e64 s49, v3
	s_cbranch_execz .LBB12_8
; %bb.10:                               ;   in Loop: Header=BB12_9 Depth=2
	v_ashrrev_i32_e32 v4, 31, v3
	s_mov_b32 s68, exec_lo
	v_lshlrev_b64 v[5:6], 2, v[3:4]
	v_add_co_u32 v7, vcc_lo, s36, v5
	v_add_co_ci_u32_e64 v8, null, s37, v6, vcc_lo
	v_add_co_u32 v9, vcc_lo, s38, v5
	v_add_co_ci_u32_e64 v10, null, s39, v6, vcc_lo
	global_load_dword v1, v[7:8], off
	global_load_dword v7, v[9:10], off
	s_waitcnt vmcnt(1)
	v_add_nc_u32_e32 v4, v27, v1
	s_waitcnt vmcnt(0)
	v_subrev_nc_u32_e32 v30, s59, v7
	v_cmpx_lt_i32_e64 v4, v30
	s_cbranch_execz .LBB12_7
; %bb.11:                               ;   in Loop: Header=BB12_9 Depth=2
	v_add_co_u32 v7, vcc_lo, s20, v5
	v_add_co_ci_u32_e64 v8, null, s21, v6, vcc_lo
	v_add_co_u32 v5, vcc_lo, s22, v5
	v_add_co_ci_u32_e64 v6, null, s23, v6, vcc_lo
	global_load_dword v1, v[7:8], off
	s_mov_b32 s69, 0
	global_load_dword v5, v[5:6], off
	s_waitcnt vmcnt(1)
	v_subrev_nc_u32_e32 v6, s60, v1
	s_waitcnt vmcnt(0)
	v_sub_nc_u32_e32 v31, v5, v1
	v_ashrrev_i32_e32 v7, 31, v6
	v_cmp_lt_i32_e64 s10, 0, v31
	v_lshlrev_b64 v[7:8], 2, v[6:7]
	v_add_co_u32 v32, vcc_lo, s24, v7
	v_add_co_ci_u32_e64 v33, null, s25, v8, vcc_lo
	v_add_co_u32 v34, vcc_lo, s26, v7
	v_add_co_ci_u32_e64 v35, null, s27, v8, vcc_lo
	s_branch .LBB12_14
.LBB12_12:                              ;   in Loop: Header=BB12_14 Depth=3
	s_or_b32 exec_lo, exec_lo, s70
.LBB12_13:                              ;   in Loop: Header=BB12_14 Depth=3
	s_or_b32 exec_lo, exec_lo, s11
	v_add_nc_u32_e32 v4, 32, v4
	v_cmp_ge_i32_e32 vcc_lo, v4, v30
	s_or_b32 s69, vcc_lo, s69
	s_andn2_b32 exec_lo, exec_lo, s69
	s_cbranch_execz .LBB12_6
.LBB12_14:                              ;   Parent Loop BB12_5 Depth=1
                                        ;     Parent Loop BB12_9 Depth=2
                                        ; =>    This Loop Header: Depth=3
                                        ;         Child Loop BB12_18 Depth 4
                                        ;         Child Loop BB12_39 Depth 4
	;; [unrolled: 1-line block ×5, first 2 shown]
	v_ashrrev_i32_e32 v5, 31, v4
	v_lshlrev_b64 v[13:14], 2, v[4:5]
	v_mov_b32_e32 v5, 0
	v_add_co_u32 v7, vcc_lo, s40, v13
	v_add_co_ci_u32_e64 v8, null, s41, v14, vcc_lo
	global_load_dword v1, v[7:8], off
	s_waitcnt vmcnt(0)
	v_subrev_nc_u32_e32 v9, s59, v1
	v_ashrrev_i32_e32 v10, 31, v9
	v_lshlrev_b64 v[7:8], 2, v[9:10]
	v_add_co_u32 v10, vcc_lo, s12, v7
	v_add_co_ci_u32_e64 v11, null, s13, v8, vcc_lo
	v_add_co_u32 v15, vcc_lo, s14, v7
	v_add_co_ci_u32_e64 v16, null, s15, v8, vcc_lo
	global_load_dword v1, v[10:11], off
	global_load_dword v12, v[15:16], off
	v_mov_b32_e32 v11, 0
	s_waitcnt vmcnt(1)
	v_subrev_nc_u32_e32 v10, s61, v1
	s_waitcnt vmcnt(0)
	v_sub_nc_u32_e32 v36, v12, v1
	v_mov_b32_e32 v1, v11
	s_and_saveexec_b32 s70, s10
	s_cbranch_execz .LBB12_22
; %bb.15:                               ;   in Loop: Header=BB12_14 Depth=3
	v_ashrrev_i32_e32 v11, 31, v10
	v_mov_b32_e32 v5, 0
	v_mov_b32_e32 v1, 0
	s_mov_b32 s71, 0
                                        ; implicit-def: $sgpr72
	v_lshlrev_b64 v[11:12], 2, v[10:11]
	v_add_co_u32 v37, vcc_lo, s16, v11
	v_add_co_ci_u32_e64 v38, null, s17, v12, vcc_lo
	v_add_co_u32 v39, vcc_lo, s18, v11
	v_add_co_ci_u32_e64 v40, null, s19, v12, vcc_lo
	v_mov_b32_e32 v11, 0
	s_branch .LBB12_18
.LBB12_16:                              ;   in Loop: Header=BB12_18 Depth=4
	s_or_b32 exec_lo, exec_lo, s11
	v_cmp_le_i32_e32 vcc_lo, v12, v41
	v_cmp_ge_i32_e64 s11, v12, v41
	v_add_co_ci_u32_e64 v1, null, 0, v1, vcc_lo
	v_add_co_ci_u32_e64 v11, null, 0, v11, s11
	s_andn2_b32 s11, s72, exec_lo
	v_cmp_ge_i32_e32 vcc_lo, v1, v31
	s_and_b32 s72, vcc_lo, exec_lo
	s_or_b32 s72, s11, s72
.LBB12_17:                              ;   in Loop: Header=BB12_18 Depth=4
	s_or_b32 exec_lo, exec_lo, s73
	s_and_b32 s11, exec_lo, s72
	s_or_b32 s71, s11, s71
	s_andn2_b32 exec_lo, exec_lo, s71
	s_cbranch_execz .LBB12_21
.LBB12_18:                              ;   Parent Loop BB12_5 Depth=1
                                        ;     Parent Loop BB12_9 Depth=2
                                        ;       Parent Loop BB12_14 Depth=3
                                        ; =>      This Inner Loop Header: Depth=4
	s_or_b32 s72, s72, exec_lo
	s_mov_b32 s73, exec_lo
	v_cmpx_lt_i32_e64 v11, v36
	s_cbranch_execz .LBB12_17
; %bb.19:                               ;   in Loop: Header=BB12_18 Depth=4
	v_mov_b32_e32 v12, v2
	v_lshlrev_b64 v[17:18], 2, v[1:2]
	s_mov_b32 s11, exec_lo
	v_lshlrev_b64 v[15:16], 2, v[11:12]
	v_add_co_u32 v41, vcc_lo, v32, v17
	v_add_co_ci_u32_e64 v42, null, v33, v18, vcc_lo
	v_add_co_u32 v43, vcc_lo, v37, v15
	v_add_co_ci_u32_e64 v44, null, v38, v16, vcc_lo
	global_load_dword v12, v[41:42], off
	global_load_dword v41, v[43:44], off
	s_waitcnt vmcnt(1)
	v_subrev_nc_u32_e32 v12, s60, v12
	s_waitcnt vmcnt(0)
	v_subrev_nc_u32_e32 v41, s61, v41
	v_cmpx_eq_u32_e64 v12, v41
	s_cbranch_execz .LBB12_16
; %bb.20:                               ;   in Loop: Header=BB12_18 Depth=4
	v_add_co_u32 v17, vcc_lo, v34, v17
	v_add_co_ci_u32_e64 v18, null, v35, v18, vcc_lo
	v_add_co_u32 v15, vcc_lo, v39, v15
	v_add_co_ci_u32_e64 v16, null, v40, v16, vcc_lo
	global_load_dword v17, v[17:18], off
	global_load_dword v15, v[15:16], off
	s_waitcnt vmcnt(0)
	v_fmac_f32_e32 v5, v17, v15
	s_branch .LBB12_16
.LBB12_21:                              ;   in Loop: Header=BB12_14 Depth=3
	s_or_b32 exec_lo, exec_lo, s71
.LBB12_22:                              ;   in Loop: Header=BB12_14 Depth=3
	s_or_b32 exec_lo, exec_lo, s70
	v_add_co_u32 v12, vcc_lo, s42, v13
	v_add_co_ci_u32_e64 v13, null, s43, v14, vcc_lo
	v_cmp_le_i32_e64 s11, v3, v9
	s_mov_b32 s70, exec_lo
	global_load_dword v14, v[12:13], off
	s_waitcnt vmcnt(0)
	v_sub_f32_e32 v15, v14, v5
	v_cmpx_gt_i32_e64 v3, v9
	s_cbranch_execnz .LBB12_25
; %bb.23:                               ;   in Loop: Header=BB12_14 Depth=3
	s_or_b32 exec_lo, exec_lo, s70
	v_cmp_class_f32_e64 s70, v15, 0x1f8
	s_and_saveexec_b32 s71, s70
	s_cbranch_execnz .LBB12_28
.LBB12_24:                              ;   in Loop: Header=BB12_14 Depth=3
	s_or_b32 exec_lo, exec_lo, s71
	s_and_b32 s70, s33, s70
	s_and_saveexec_b32 s11, s70
	s_cbranch_execz .LBB12_13
	s_branch .LBB12_63
.LBB12_25:                              ;   in Loop: Header=BB12_14 Depth=3
	v_add_co_u32 v12, vcc_lo, s44, v7
	v_add_co_ci_u32_e64 v13, null, s45, v8, vcc_lo
	s_mov_b32 s71, exec_lo
	global_load_dword v12, v[12:13], off
	v_mov_b32_e32 v13, 0
	s_waitcnt vmcnt(0)
	v_cmpx_lg_f32_e32 0, v12
	s_cbranch_execz .LBB12_27
; %bb.26:                               ;   in Loop: Header=BB12_14 Depth=3
	v_div_scale_f32 v13, null, v12, v12, v15
	v_rcp_f32_e32 v16, v13
	v_fma_f32 v17, -v13, v16, 1.0
	v_fmac_f32_e32 v16, v17, v16
	v_div_scale_f32 v17, vcc_lo, v15, v12, v15
	v_mul_f32_e32 v18, v17, v16
	v_fma_f32 v37, -v13, v18, v17
	v_fmac_f32_e32 v18, v37, v16
	v_fma_f32 v13, -v13, v18, v17
	v_div_fmas_f32 v13, v13, v16, v18
	v_div_fixup_f32 v13, v13, v12, v15
.LBB12_27:                              ;   in Loop: Header=BB12_14 Depth=3
	s_or_b32 exec_lo, exec_lo, s71
	v_mov_b32_e32 v15, v13
	s_or_b32 exec_lo, exec_lo, s70
	v_cmp_class_f32_e64 s70, v15, 0x1f8
	s_and_saveexec_b32 s71, s70
	s_cbranch_execz .LBB12_24
.LBB12_28:                              ;   in Loop: Header=BB12_14 Depth=3
	s_and_saveexec_b32 s72, s11
	s_xor_b32 s11, exec_lo, s72
	s_cbranch_execz .LBB12_49
; %bb.29:                               ;   in Loop: Header=BB12_14 Depth=3
	s_mov_b32 s72, exec_lo
	v_cmpx_ge_i32_e64 v3, v9
	s_xor_b32 s72, exec_lo, s72
	s_cbranch_execz .LBB12_35
; %bb.30:                               ;   in Loop: Header=BB12_14 Depth=3
	v_add_co_u32 v12, vcc_lo, s46, v7
	v_add_co_ci_u32_e64 v13, null, s47, v8, vcc_lo
	s_andn2_b32 vcc_lo, exec_lo, s56
	global_store_dword v[12:13], v15, off
	s_cbranch_vccnz .LBB12_34
; %bb.31:                               ;   in Loop: Header=BB12_14 Depth=3
	v_add_co_u32 v12, vcc_lo, s44, v7
	v_add_co_ci_u32_e64 v13, null, s45, v8, vcc_lo
	global_load_dword v12, v[12:13], off
	s_waitcnt vmcnt(0)
	v_sub_f32_e32 v12, v12, v15
	v_cmp_class_f32_e64 s74, v12, 0x1f8
	s_and_saveexec_b32 s73, s74
; %bb.32:                               ;   in Loop: Header=BB12_14 Depth=3
	v_cmp_lt_f32_e64 s74, v24, |v12|
	v_cndmask_b32_e64 v24, v24, |v12|, s74
; %bb.33:                               ;   in Loop: Header=BB12_14 Depth=3
	s_or_b32 exec_lo, exec_lo, s73
.LBB12_34:                              ;   in Loop: Header=BB12_14 Depth=3
                                        ; implicit-def: $vgpr15
.LBB12_35:                              ;   in Loop: Header=BB12_14 Depth=3
	s_andn2_saveexec_b32 s72, s72
	s_cbranch_execz .LBB12_48
; %bb.36:                               ;   in Loop: Header=BB12_14 Depth=3
	s_mov_b32 s73, exec_lo
	v_cmpx_lt_i32_e64 v11, v36
	s_cbranch_execz .LBB12_47
; %bb.37:                               ;   in Loop: Header=BB12_14 Depth=3
	v_mov_b32_e32 v16, v11
	s_mov_b32 s74, 0
                                        ; implicit-def: $sgpr75
                                        ; implicit-def: $sgpr77
                                        ; implicit-def: $sgpr76
	s_inst_prefetch 0x1
	s_branch .LBB12_39
	.p2align	6
.LBB12_38:                              ;   in Loop: Header=BB12_39 Depth=4
	s_or_b32 exec_lo, exec_lo, s78
	s_and_b32 s78, exec_lo, s77
	s_or_b32 s74, s78, s74
	s_andn2_b32 s75, s75, exec_lo
	s_and_b32 s78, s76, exec_lo
	s_or_b32 s75, s75, s78
	s_andn2_b32 exec_lo, exec_lo, s74
	s_cbranch_execz .LBB12_41
.LBB12_39:                              ;   Parent Loop BB12_5 Depth=1
                                        ;     Parent Loop BB12_9 Depth=2
                                        ;       Parent Loop BB12_14 Depth=3
                                        ; =>      This Inner Loop Header: Depth=4
	v_add_nc_u32_e32 v12, v10, v16
	s_or_b32 s76, s76, exec_lo
	s_or_b32 s77, s77, exec_lo
	s_mov_b32 s78, exec_lo
	v_ashrrev_i32_e32 v13, 31, v12
	v_lshlrev_b64 v[12:13], 2, v[12:13]
	v_add_co_u32 v17, vcc_lo, s16, v12
	v_add_co_ci_u32_e64 v18, null, s17, v13, vcc_lo
	global_load_dword v17, v[17:18], off
	s_waitcnt vmcnt(0)
	v_subrev_nc_u32_e32 v17, s61, v17
	v_cmpx_ne_u32_e64 v17, v3
	s_cbranch_execz .LBB12_38
; %bb.40:                               ;   in Loop: Header=BB12_39 Depth=4
	v_add_nc_u32_e32 v16, 1, v16
	s_andn2_b32 s77, s77, exec_lo
	s_andn2_b32 s76, s76, exec_lo
	v_cmp_ge_i32_e32 vcc_lo, v16, v36
	s_and_b32 s79, vcc_lo, exec_lo
	s_or_b32 s77, s77, s79
	s_branch .LBB12_38
.LBB12_41:                              ;   in Loop: Header=BB12_14 Depth=3
	s_inst_prefetch 0x2
	s_or_b32 exec_lo, exec_lo, s74
	s_and_saveexec_b32 s74, s75
	s_xor_b32 s74, exec_lo, s74
	s_cbranch_execz .LBB12_46
; %bb.42:                               ;   in Loop: Header=BB12_14 Depth=3
	v_add_co_u32 v16, vcc_lo, s50, v12
	v_add_co_ci_u32_e64 v17, null, s51, v13, vcc_lo
	s_andn2_b32 vcc_lo, exec_lo, s56
	global_store_dword v[16:17], v15, off
	s_cbranch_vccnz .LBB12_46
; %bb.43:                               ;   in Loop: Header=BB12_14 Depth=3
	v_add_co_u32 v12, vcc_lo, s18, v12
	v_add_co_ci_u32_e64 v13, null, s19, v13, vcc_lo
	global_load_dword v12, v[12:13], off
	s_waitcnt vmcnt(0)
	v_sub_f32_e32 v12, v12, v15
	v_cmp_class_f32_e64 s76, v12, 0x1f8
	s_and_saveexec_b32 s75, s76
; %bb.44:                               ;   in Loop: Header=BB12_14 Depth=3
	v_cmp_lt_f32_e64 s76, v24, |v12|
	v_cndmask_b32_e64 v24, v24, |v12|, s76
; %bb.45:                               ;   in Loop: Header=BB12_14 Depth=3
	s_or_b32 exec_lo, exec_lo, s75
.LBB12_46:                              ;   in Loop: Header=BB12_14 Depth=3
	s_or_b32 exec_lo, exec_lo, s74
.LBB12_47:                              ;   in Loop: Header=BB12_14 Depth=3
	s_or_b32 exec_lo, exec_lo, s73
.LBB12_48:                              ;   in Loop: Header=BB12_14 Depth=3
	s_or_b32 exec_lo, exec_lo, s72
                                        ; implicit-def: $vgpr15
.LBB12_49:                              ;   in Loop: Header=BB12_14 Depth=3
	s_andn2_saveexec_b32 s11, s11
	s_cbranch_execz .LBB12_62
; %bb.50:                               ;   in Loop: Header=BB12_14 Depth=3
	s_mov_b32 s72, exec_lo
	v_cmpx_lt_i32_e64 v1, v31
	s_cbranch_execz .LBB12_61
; %bb.51:                               ;   in Loop: Header=BB12_14 Depth=3
	v_mov_b32_e32 v16, v1
	s_mov_b32 s73, 0
                                        ; implicit-def: $sgpr74
                                        ; implicit-def: $sgpr76
                                        ; implicit-def: $sgpr75
	s_inst_prefetch 0x1
	s_branch .LBB12_53
	.p2align	6
.LBB12_52:                              ;   in Loop: Header=BB12_53 Depth=4
	s_or_b32 exec_lo, exec_lo, s77
	s_and_b32 s77, exec_lo, s76
	s_or_b32 s73, s77, s73
	s_andn2_b32 s74, s74, exec_lo
	s_and_b32 s77, s75, exec_lo
	s_or_b32 s74, s74, s77
	s_andn2_b32 exec_lo, exec_lo, s73
	s_cbranch_execz .LBB12_55
.LBB12_53:                              ;   Parent Loop BB12_5 Depth=1
                                        ;     Parent Loop BB12_9 Depth=2
                                        ;       Parent Loop BB12_14 Depth=3
                                        ; =>      This Inner Loop Header: Depth=4
	v_add_nc_u32_e32 v12, v6, v16
	s_or_b32 s75, s75, exec_lo
	s_or_b32 s76, s76, exec_lo
	s_mov_b32 s77, exec_lo
	v_ashrrev_i32_e32 v13, 31, v12
	v_lshlrev_b64 v[12:13], 2, v[12:13]
	v_add_co_u32 v17, vcc_lo, s24, v12
	v_add_co_ci_u32_e64 v18, null, s25, v13, vcc_lo
	global_load_dword v17, v[17:18], off
	s_waitcnt vmcnt(0)
	v_subrev_nc_u32_e32 v17, s60, v17
	v_cmpx_ne_u32_e64 v17, v9
	s_cbranch_execz .LBB12_52
; %bb.54:                               ;   in Loop: Header=BB12_53 Depth=4
	v_add_nc_u32_e32 v16, 1, v16
	s_andn2_b32 s76, s76, exec_lo
	s_andn2_b32 s75, s75, exec_lo
	v_cmp_ge_i32_e32 vcc_lo, v16, v31
	s_and_b32 s78, vcc_lo, exec_lo
	s_or_b32 s76, s76, s78
	s_branch .LBB12_52
.LBB12_55:                              ;   in Loop: Header=BB12_14 Depth=3
	s_inst_prefetch 0x2
	s_or_b32 exec_lo, exec_lo, s73
	s_and_saveexec_b32 s73, s74
	s_xor_b32 s73, exec_lo, s73
	s_cbranch_execz .LBB12_60
; %bb.56:                               ;   in Loop: Header=BB12_14 Depth=3
	v_add_co_u32 v16, vcc_lo, s52, v12
	v_add_co_ci_u32_e64 v17, null, s53, v13, vcc_lo
	s_andn2_b32 vcc_lo, exec_lo, s56
	global_store_dword v[16:17], v15, off
	s_cbranch_vccnz .LBB12_60
; %bb.57:                               ;   in Loop: Header=BB12_14 Depth=3
	v_add_co_u32 v12, vcc_lo, s26, v12
	v_add_co_ci_u32_e64 v13, null, s27, v13, vcc_lo
	global_load_dword v12, v[12:13], off
	s_waitcnt vmcnt(0)
	v_sub_f32_e32 v12, v12, v15
	v_cmp_class_f32_e64 s75, v12, 0x1f8
	s_and_saveexec_b32 s74, s75
; %bb.58:                               ;   in Loop: Header=BB12_14 Depth=3
	v_cmp_lt_f32_e64 s75, v24, |v12|
	v_cndmask_b32_e64 v24, v24, |v12|, s75
; %bb.59:                               ;   in Loop: Header=BB12_14 Depth=3
	s_or_b32 exec_lo, exec_lo, s74
.LBB12_60:                              ;   in Loop: Header=BB12_14 Depth=3
	s_or_b32 exec_lo, exec_lo, s73
.LBB12_61:                              ;   in Loop: Header=BB12_14 Depth=3
	s_or_b32 exec_lo, exec_lo, s72
.LBB12_62:                              ;   in Loop: Header=BB12_14 Depth=3
	s_or_b32 exec_lo, exec_lo, s11
	s_or_b32 exec_lo, exec_lo, s71
	s_and_b32 s70, s33, s70
	s_and_saveexec_b32 s11, s70
	s_cbranch_execz .LBB12_13
.LBB12_63:                              ;   in Loop: Header=BB12_14 Depth=3
	s_mov_b32 s70, exec_lo
	v_cmpx_ge_i32_e64 v11, v36
	s_xor_b32 s70, exec_lo, s70
	s_cbranch_execnz .LBB12_69
; %bb.64:                               ;   in Loop: Header=BB12_14 Depth=3
	s_andn2_saveexec_b32 s70, s70
	s_cbranch_execnz .LBB12_78
.LBB12_65:                              ;   in Loop: Header=BB12_14 Depth=3
	s_or_b32 exec_lo, exec_lo, s70
	s_mov_b32 s70, exec_lo
	v_cmpx_eq_u32_e64 v3, v9
	s_cbranch_execz .LBB12_67
.LBB12_66:                              ;   in Loop: Header=BB12_14 Depth=3
	v_add_co_u32 v7, vcc_lo, s44, v7
	v_add_co_ci_u32_e64 v8, null, s45, v8, vcc_lo
	global_load_dword v1, v[7:8], off
	s_waitcnt vmcnt(0)
	v_add_f32_e32 v5, v5, v1
.LBB12_67:                              ;   in Loop: Header=BB12_14 Depth=3
	s_or_b32 exec_lo, exec_lo, s70
	v_sub_f32_e32 v1, v14, v5
	v_cmp_class_f32_e64 s71, v1, 0x1f8
	s_and_saveexec_b32 s70, s71
	s_cbranch_execz .LBB12_12
; %bb.68:                               ;   in Loop: Header=BB12_14 Depth=3
	v_cmp_lt_f32_e64 s71, v20, |v1|
	v_cndmask_b32_e64 v20, v20, |v1|, s71
	s_branch .LBB12_12
.LBB12_69:                              ;   in Loop: Header=BB12_14 Depth=3
	s_mov_b32 s71, exec_lo
	v_cmpx_lt_i32_e64 v1, v31
	s_cbranch_execz .LBB12_77
; %bb.70:                               ;   in Loop: Header=BB12_14 Depth=3
	s_mov_b32 s72, 0
                                        ; implicit-def: $sgpr73
                                        ; implicit-def: $sgpr75
                                        ; implicit-def: $sgpr74
	s_inst_prefetch 0x1
	s_branch .LBB12_72
	.p2align	6
.LBB12_71:                              ;   in Loop: Header=BB12_72 Depth=4
	s_or_b32 exec_lo, exec_lo, s76
	s_and_b32 s76, exec_lo, s75
	s_or_b32 s72, s76, s72
	s_andn2_b32 s73, s73, exec_lo
	s_and_b32 s76, s74, exec_lo
	s_or_b32 s73, s73, s76
	s_andn2_b32 exec_lo, exec_lo, s72
	s_cbranch_execz .LBB12_74
.LBB12_72:                              ;   Parent Loop BB12_5 Depth=1
                                        ;     Parent Loop BB12_9 Depth=2
                                        ;       Parent Loop BB12_14 Depth=3
                                        ; =>      This Inner Loop Header: Depth=4
	v_add_nc_u32_e32 v10, v6, v1
	s_or_b32 s74, s74, exec_lo
	s_or_b32 s75, s75, exec_lo
	s_mov_b32 s76, exec_lo
	v_ashrrev_i32_e32 v11, 31, v10
	v_lshlrev_b64 v[10:11], 2, v[10:11]
	v_add_co_u32 v12, vcc_lo, s24, v10
	v_add_co_ci_u32_e64 v13, null, s25, v11, vcc_lo
	global_load_dword v12, v[12:13], off
	s_waitcnt vmcnt(0)
	v_subrev_nc_u32_e32 v12, s60, v12
	v_cmpx_ne_u32_e64 v12, v9
	s_cbranch_execz .LBB12_71
; %bb.73:                               ;   in Loop: Header=BB12_72 Depth=4
	v_add_nc_u32_e32 v1, 1, v1
	s_andn2_b32 s75, s75, exec_lo
	s_andn2_b32 s74, s74, exec_lo
	v_cmp_ge_i32_e32 vcc_lo, v1, v31
	s_and_b32 s77, vcc_lo, exec_lo
	s_or_b32 s75, s75, s77
	s_branch .LBB12_71
.LBB12_74:                              ;   in Loop: Header=BB12_14 Depth=3
	s_inst_prefetch 0x2
	s_or_b32 exec_lo, exec_lo, s72
	s_and_saveexec_b32 s72, s73
	s_xor_b32 s72, exec_lo, s72
	s_cbranch_execz .LBB12_76
; %bb.75:                               ;   in Loop: Header=BB12_14 Depth=3
	v_add_co_u32 v10, vcc_lo, s26, v10
	v_add_co_ci_u32_e64 v11, null, s27, v11, vcc_lo
	v_add_co_u32 v12, vcc_lo, s44, v7
	v_add_co_ci_u32_e64 v13, null, s45, v8, vcc_lo
	global_load_dword v1, v[10:11], off
	global_load_dword v10, v[12:13], off
	s_waitcnt vmcnt(0)
	v_fmac_f32_e32 v5, v1, v10
.LBB12_76:                              ;   in Loop: Header=BB12_14 Depth=3
	s_or_b32 exec_lo, exec_lo, s72
.LBB12_77:                              ;   in Loop: Header=BB12_14 Depth=3
	s_or_b32 exec_lo, exec_lo, s71
                                        ; implicit-def: $vgpr11
                                        ; implicit-def: $vgpr10
                                        ; implicit-def: $vgpr36
	s_andn2_saveexec_b32 s70, s70
	s_cbranch_execz .LBB12_65
.LBB12_78:                              ;   in Loop: Header=BB12_14 Depth=3
	s_mov_b32 s71, 0
                                        ; implicit-def: $sgpr72
                                        ; implicit-def: $sgpr74
                                        ; implicit-def: $sgpr73
	s_inst_prefetch 0x1
	s_branch .LBB12_80
	.p2align	6
.LBB12_79:                              ;   in Loop: Header=BB12_80 Depth=4
	s_or_b32 exec_lo, exec_lo, s75
	s_and_b32 s75, exec_lo, s74
	s_or_b32 s71, s75, s71
	s_andn2_b32 s72, s72, exec_lo
	s_and_b32 s75, s73, exec_lo
	s_or_b32 s72, s72, s75
	s_andn2_b32 exec_lo, exec_lo, s71
	s_cbranch_execz .LBB12_82
.LBB12_80:                              ;   Parent Loop BB12_5 Depth=1
                                        ;     Parent Loop BB12_9 Depth=2
                                        ;       Parent Loop BB12_14 Depth=3
                                        ; =>      This Inner Loop Header: Depth=4
	v_add_nc_u32_e32 v12, v10, v11
	s_or_b32 s73, s73, exec_lo
	s_or_b32 s74, s74, exec_lo
	s_mov_b32 s75, exec_lo
	v_ashrrev_i32_e32 v13, 31, v12
	v_lshlrev_b64 v[12:13], 2, v[12:13]
	v_add_co_u32 v15, vcc_lo, s16, v12
	v_add_co_ci_u32_e64 v16, null, s17, v13, vcc_lo
	global_load_dword v1, v[15:16], off
	s_waitcnt vmcnt(0)
	v_subrev_nc_u32_e32 v1, s61, v1
	v_cmpx_ne_u32_e64 v1, v3
	s_cbranch_execz .LBB12_79
; %bb.81:                               ;   in Loop: Header=BB12_80 Depth=4
	v_add_nc_u32_e32 v11, 1, v11
	s_andn2_b32 s74, s74, exec_lo
	s_andn2_b32 s73, s73, exec_lo
	v_cmp_ge_i32_e32 vcc_lo, v11, v36
	s_and_b32 s76, vcc_lo, exec_lo
	s_or_b32 s74, s74, s76
	s_branch .LBB12_79
.LBB12_82:                              ;   in Loop: Header=BB12_14 Depth=3
	s_inst_prefetch 0x2
	s_or_b32 exec_lo, exec_lo, s71
	s_and_saveexec_b32 s71, s72
	s_xor_b32 s71, exec_lo, s71
	s_cbranch_execz .LBB12_84
; %bb.83:                               ;   in Loop: Header=BB12_14 Depth=3
	v_add_co_u32 v10, vcc_lo, s18, v12
	v_add_co_ci_u32_e64 v11, null, s19, v13, vcc_lo
	global_load_dword v1, v[10:11], off
	s_waitcnt vmcnt(0)
	v_add_f32_e32 v5, v5, v1
.LBB12_84:                              ;   in Loop: Header=BB12_14 Depth=3
	s_or_b32 exec_lo, exec_lo, s71
	s_or_b32 exec_lo, exec_lo, s70
	s_mov_b32 s70, exec_lo
	v_cmpx_eq_u32_e64 v3, v9
	s_cbranch_execnz .LBB12_66
	s_branch .LBB12_67
.LBB12_85:                              ;   in Loop: Header=BB12_5 Depth=1
	v_xor_b32_e32 v6, 16, v23
	v_xor_b32_e32 v5, 8, v23
	;; [unrolled: 1-line block ×5, first 2 shown]
	s_and_b32 vcc_lo, exec_lo, s56
	s_cbranch_vccnz .LBB12_88
; %bb.86:                               ;   in Loop: Header=BB12_5 Depth=1
	s_andn2_b32 vcc_lo, exec_lo, s33
	s_cbranch_vccz .LBB12_101
.LBB12_87:                              ;   in Loop: Header=BB12_5 Depth=1
	s_and_saveexec_b32 s11, s8
	s_cbranch_execnz .LBB12_114
	s_branch .LBB12_125
.LBB12_88:                              ;   in Loop: Header=BB12_5 Depth=1
	v_cmp_gt_i32_e32 vcc_lo, 32, v6
	v_cndmask_b32_e32 v7, v23, v6, vcc_lo
	v_cmp_gt_i32_e32 vcc_lo, 32, v5
	v_lshlrev_b32_e32 v7, 2, v7
	v_cndmask_b32_e32 v8, v23, v5, vcc_lo
	ds_bpermute_b32 v7, v7, v24
	v_lshlrev_b32_e32 v8, 2, v8
	s_waitcnt lgkmcnt(0)
	v_cmp_lt_f32_e32 vcc_lo, v24, v7
	v_cndmask_b32_e32 v7, v24, v7, vcc_lo
	v_cmp_gt_i32_e32 vcc_lo, 32, v4
	ds_bpermute_b32 v8, v8, v7
	v_cndmask_b32_e32 v9, v23, v4, vcc_lo
	v_lshlrev_b32_e32 v9, 2, v9
	s_waitcnt lgkmcnt(0)
	v_cmp_lt_f32_e32 vcc_lo, v7, v8
	v_cndmask_b32_e32 v7, v7, v8, vcc_lo
	v_cmp_gt_i32_e32 vcc_lo, 32, v3
	ds_bpermute_b32 v8, v9, v7
	v_cndmask_b32_e32 v9, v23, v3, vcc_lo
	;; [unrolled: 7-line block ×3, first 2 shown]
	s_waitcnt lgkmcnt(0)
	v_cmp_lt_f32_e32 vcc_lo, v7, v8
	v_cndmask_b32_e32 v7, v7, v8, vcc_lo
	v_lshlrev_b32_e32 v8, 2, v9
	ds_bpermute_b32 v8, v8, v7
	s_and_saveexec_b32 s10, s0
	s_cbranch_execz .LBB12_90
; %bb.89:                               ;   in Loop: Header=BB12_5 Depth=1
	s_waitcnt lgkmcnt(0)
	v_cmp_lt_f32_e32 vcc_lo, v7, v8
	v_cndmask_b32_e32 v7, v7, v8, vcc_lo
	ds_write_b32 v26, v7
.LBB12_90:                              ;   in Loop: Header=BB12_5 Depth=1
	s_or_b32 exec_lo, exec_lo, s10
	s_waitcnt lgkmcnt(0)
	s_waitcnt_vscnt null, 0x0
	s_barrier
	buffer_gl0_inv
	s_and_saveexec_b32 s10, s1
	s_cbranch_execz .LBB12_92
; %bb.91:                               ;   in Loop: Header=BB12_5 Depth=1
	ds_read2_b32 v[7:8], v19 offset1:16
	s_waitcnt lgkmcnt(0)
	v_cmp_lt_f32_e32 vcc_lo, v7, v8
	v_cndmask_b32_e32 v7, v7, v8, vcc_lo
	ds_write_b32 v19, v7
.LBB12_92:                              ;   in Loop: Header=BB12_5 Depth=1
	s_or_b32 exec_lo, exec_lo, s10
	s_waitcnt lgkmcnt(0)
	s_barrier
	buffer_gl0_inv
	s_and_saveexec_b32 s10, s2
	s_cbranch_execz .LBB12_94
; %bb.93:                               ;   in Loop: Header=BB12_5 Depth=1
	ds_read2_b32 v[7:8], v19 offset1:8
	s_waitcnt lgkmcnt(0)
	v_cmp_lt_f32_e32 vcc_lo, v7, v8
	v_cndmask_b32_e32 v7, v7, v8, vcc_lo
	ds_write_b32 v19, v7
.LBB12_94:                              ;   in Loop: Header=BB12_5 Depth=1
	s_or_b32 exec_lo, exec_lo, s10
	s_waitcnt lgkmcnt(0)
	;; [unrolled: 13-line block ×4, first 2 shown]
	s_barrier
	buffer_gl0_inv
	s_and_saveexec_b32 s10, s7
	s_cbranch_execz .LBB12_100
; %bb.99:                               ;   in Loop: Header=BB12_5 Depth=1
	ds_read_b64 v[7:8], v2
	s_waitcnt lgkmcnt(0)
	v_cmp_lt_f32_e32 vcc_lo, v7, v8
	v_cndmask_b32_e32 v7, v7, v8, vcc_lo
	ds_write_b32 v2, v7
.LBB12_100:                             ;   in Loop: Header=BB12_5 Depth=1
	s_or_b32 exec_lo, exec_lo, s10
	s_waitcnt lgkmcnt(0)
	s_barrier
	buffer_gl0_inv
	ds_read_b32 v7, v2
	s_load_dword s10, s[54:55], 0x0
	s_waitcnt lgkmcnt(0)
	v_div_scale_f32 v8, null, s10, s10, v7
	v_rcp_f32_e32 v9, v8
	v_fma_f32 v10, -v8, v9, 1.0
	v_fmac_f32_e32 v9, v10, v9
	v_div_scale_f32 v10, vcc_lo, v7, s10, v7
	v_mul_f32_e32 v11, v10, v9
	v_fma_f32 v12, -v8, v11, v10
	v_fmac_f32_e32 v11, v12, v9
	v_fma_f32 v8, -v8, v11, v10
	v_div_fmas_f32 v8, v8, v9, v11
	v_div_fixup_f32 v24, v8, s10, v7
	s_andn2_b32 vcc_lo, exec_lo, s33
	s_cbranch_vccnz .LBB12_87
.LBB12_101:                             ;   in Loop: Header=BB12_5 Depth=1
	v_cmp_gt_i32_e32 vcc_lo, 32, v6
	v_cndmask_b32_e32 v6, v23, v6, vcc_lo
	v_cmp_gt_i32_e32 vcc_lo, 32, v5
	v_lshlrev_b32_e32 v6, 2, v6
	v_cndmask_b32_e32 v5, v23, v5, vcc_lo
	ds_bpermute_b32 v6, v6, v20
	v_lshlrev_b32_e32 v5, 2, v5
	s_waitcnt lgkmcnt(0)
	v_cmp_lt_f32_e32 vcc_lo, v20, v6
	v_cndmask_b32_e32 v6, v20, v6, vcc_lo
	v_cmp_gt_i32_e32 vcc_lo, 32, v4
	ds_bpermute_b32 v5, v5, v6
	v_cndmask_b32_e32 v4, v23, v4, vcc_lo
	v_lshlrev_b32_e32 v4, 2, v4
	s_waitcnt lgkmcnt(0)
	v_cmp_lt_f32_e32 vcc_lo, v6, v5
	v_cndmask_b32_e32 v5, v6, v5, vcc_lo
	v_cmp_gt_i32_e32 vcc_lo, 32, v3
	ds_bpermute_b32 v4, v4, v5
	v_cndmask_b32_e32 v3, v23, v3, vcc_lo
	;; [unrolled: 7-line block ×3, first 2 shown]
	s_waitcnt lgkmcnt(0)
	v_cmp_lt_f32_e32 vcc_lo, v4, v3
	v_cndmask_b32_e32 v1, v4, v3, vcc_lo
	v_lshlrev_b32_e32 v3, 2, v5
	ds_bpermute_b32 v3, v3, v1
	s_and_saveexec_b32 s10, s0
	s_cbranch_execz .LBB12_103
; %bb.102:                              ;   in Loop: Header=BB12_5 Depth=1
	s_waitcnt lgkmcnt(0)
	v_cmp_lt_f32_e32 vcc_lo, v1, v3
	v_cndmask_b32_e32 v1, v1, v3, vcc_lo
	ds_write_b32 v26, v1
.LBB12_103:                             ;   in Loop: Header=BB12_5 Depth=1
	s_or_b32 exec_lo, exec_lo, s10
	s_waitcnt lgkmcnt(0)
	s_waitcnt_vscnt null, 0x0
	s_barrier
	buffer_gl0_inv
	s_and_saveexec_b32 s10, s1
	s_cbranch_execz .LBB12_105
; %bb.104:                              ;   in Loop: Header=BB12_5 Depth=1
	ds_read2_b32 v[3:4], v19 offset1:16
	s_waitcnt lgkmcnt(0)
	v_cmp_lt_f32_e32 vcc_lo, v3, v4
	v_cndmask_b32_e32 v1, v3, v4, vcc_lo
	ds_write_b32 v19, v1
.LBB12_105:                             ;   in Loop: Header=BB12_5 Depth=1
	s_or_b32 exec_lo, exec_lo, s10
	s_waitcnt lgkmcnt(0)
	s_barrier
	buffer_gl0_inv
	s_and_saveexec_b32 s10, s2
	s_cbranch_execz .LBB12_107
; %bb.106:                              ;   in Loop: Header=BB12_5 Depth=1
	ds_read2_b32 v[3:4], v19 offset1:8
	s_waitcnt lgkmcnt(0)
	v_cmp_lt_f32_e32 vcc_lo, v3, v4
	v_cndmask_b32_e32 v1, v3, v4, vcc_lo
	ds_write_b32 v19, v1
.LBB12_107:                             ;   in Loop: Header=BB12_5 Depth=1
	s_or_b32 exec_lo, exec_lo, s10
	s_waitcnt lgkmcnt(0)
	;; [unrolled: 13-line block ×4, first 2 shown]
	s_barrier
	buffer_gl0_inv
	s_and_saveexec_b32 s10, s7
	s_cbranch_execz .LBB12_113
; %bb.112:                              ;   in Loop: Header=BB12_5 Depth=1
	ds_read_b64 v[3:4], v2
	s_waitcnt lgkmcnt(0)
	v_cmp_lt_f32_e32 vcc_lo, v3, v4
	v_cndmask_b32_e32 v1, v3, v4, vcc_lo
	ds_write_b32 v2, v1
.LBB12_113:                             ;   in Loop: Header=BB12_5 Depth=1
	s_or_b32 exec_lo, exec_lo, s10
	s_waitcnt lgkmcnt(0)
	s_barrier
	buffer_gl0_inv
	ds_read_b32 v1, v2
	s_load_dword s10, s[54:55], 0x0
	s_waitcnt lgkmcnt(0)
	v_div_scale_f32 v3, null, s10, s10, v1
	v_rcp_f32_e32 v4, v3
	v_fma_f32 v5, -v3, v4, 1.0
	v_fmac_f32_e32 v4, v5, v4
	v_div_scale_f32 v5, vcc_lo, v1, s10, v1
	v_mul_f32_e32 v6, v5, v4
	v_fma_f32 v7, -v3, v6, v5
	v_fmac_f32_e32 v6, v7, v4
	v_fma_f32 v3, -v3, v6, v5
	v_div_fmas_f32 v3, v3, v4, v6
	v_div_fixup_f32 v20, v3, s10, v1
	s_and_saveexec_b32 s11, s8
	s_cbranch_execz .LBB12_125
.LBB12_114:                             ;   in Loop: Header=BB12_5 Depth=1
	v_mov_b32_e32 v3, v25
	s_mov_b32 s66, 0
	s_branch .LBB12_116
.LBB12_115:                             ;   in Loop: Header=BB12_116 Depth=2
	s_or_b32 exec_lo, exec_lo, s67
	v_add_nc_u32_e32 v3, 32, v3
	v_cmp_le_u32_e32 vcc_lo, s62, v3
	s_or_b32 s66, vcc_lo, s66
	s_andn2_b32 exec_lo, exec_lo, s66
	s_cbranch_execz .LBB12_125
.LBB12_116:                             ;   Parent Loop BB12_5 Depth=1
                                        ; =>  This Loop Header: Depth=2
                                        ;       Child Loop BB12_119 Depth 3
                                        ;       Child Loop BB12_122 Depth 3
	s_mov_b32 s67, exec_lo
	v_cmpx_gt_i32_e64 s49, v3
	s_cbranch_execz .LBB12_115
; %bb.117:                              ;   in Loop: Header=BB12_116 Depth=2
	v_ashrrev_i32_e32 v4, 31, v3
	s_mov_b32 s68, exec_lo
	v_lshlrev_b64 v[4:5], 2, v[3:4]
	v_add_co_u32 v6, vcc_lo, s20, v4
	v_add_co_ci_u32_e64 v7, null, s21, v5, vcc_lo
	v_add_co_u32 v8, vcc_lo, s22, v4
	v_add_co_ci_u32_e64 v9, null, s23, v5, vcc_lo
	global_load_dword v1, v[6:7], off
	global_load_dword v7, v[8:9], off
	s_waitcnt vmcnt(1)
	v_add_nc_u32_e32 v6, v28, v1
	s_waitcnt vmcnt(0)
	v_subrev_nc_u32_e32 v1, s60, v7
	v_cmpx_lt_i32_e64 v6, v1
	s_cbranch_execz .LBB12_120
; %bb.118:                              ;   in Loop: Header=BB12_116 Depth=2
	v_ashrrev_i32_e32 v7, 31, v6
	s_mov_b32 s69, 0
	v_lshlrev_b64 v[9:10], 2, v[6:7]
	v_add_co_u32 v7, vcc_lo, s52, v9
	v_add_co_ci_u32_e64 v8, null, s53, v10, vcc_lo
	v_add_co_u32 v9, vcc_lo, s26, v9
	v_add_co_ci_u32_e64 v10, null, s27, v10, vcc_lo
	.p2align	6
.LBB12_119:                             ;   Parent Loop BB12_5 Depth=1
                                        ;     Parent Loop BB12_116 Depth=2
                                        ; =>    This Inner Loop Header: Depth=3
	global_load_dword v11, v[7:8], off
	v_add_nc_u32_e32 v6, 32, v6
	v_add_co_u32 v7, vcc_lo, 0x80, v7
	v_add_co_ci_u32_e64 v8, null, 0, v8, vcc_lo
	v_cmp_ge_i32_e32 vcc_lo, v6, v1
	s_or_b32 s69, vcc_lo, s69
	s_waitcnt vmcnt(0)
	global_store_dword v[9:10], v11, off
	v_add_co_u32 v9, s10, 0x80, v9
	v_add_co_ci_u32_e64 v10, null, 0, v10, s10
	s_andn2_b32 exec_lo, exec_lo, s69
	s_cbranch_execnz .LBB12_119
.LBB12_120:                             ;   in Loop: Header=BB12_116 Depth=2
	s_or_b32 exec_lo, exec_lo, s68
	v_add_co_u32 v6, vcc_lo, s12, v4
	v_add_co_ci_u32_e64 v7, null, s13, v5, vcc_lo
	v_add_co_u32 v8, vcc_lo, s14, v4
	v_add_co_ci_u32_e64 v9, null, s15, v5, vcc_lo
	global_load_dword v1, v[6:7], off
	global_load_dword v7, v[8:9], off
	s_mov_b32 s68, exec_lo
	s_waitcnt vmcnt(1)
	v_add_nc_u32_e32 v6, v29, v1
	s_waitcnt vmcnt(0)
	v_subrev_nc_u32_e32 v1, s61, v7
	v_cmpx_lt_i32_e64 v6, v1
	s_cbranch_execz .LBB12_123
; %bb.121:                              ;   in Loop: Header=BB12_116 Depth=2
	v_ashrrev_i32_e32 v7, 31, v6
	s_mov_b32 s69, 0
	v_lshlrev_b64 v[9:10], 2, v[6:7]
	v_add_co_u32 v7, vcc_lo, s50, v9
	v_add_co_ci_u32_e64 v8, null, s51, v10, vcc_lo
	v_add_co_u32 v9, vcc_lo, s18, v9
	v_add_co_ci_u32_e64 v10, null, s19, v10, vcc_lo
	.p2align	6
.LBB12_122:                             ;   Parent Loop BB12_5 Depth=1
                                        ;     Parent Loop BB12_116 Depth=2
                                        ; =>    This Inner Loop Header: Depth=3
	global_load_dword v11, v[7:8], off
	v_add_nc_u32_e32 v6, 32, v6
	v_add_co_u32 v7, vcc_lo, 0x80, v7
	v_add_co_ci_u32_e64 v8, null, 0, v8, vcc_lo
	v_cmp_ge_i32_e32 vcc_lo, v6, v1
	s_or_b32 s69, vcc_lo, s69
	s_waitcnt vmcnt(0)
	global_store_dword v[9:10], v11, off
	v_add_co_u32 v9, s10, 0x80, v9
	v_add_co_ci_u32_e64 v10, null, 0, v10, s10
	s_andn2_b32 exec_lo, exec_lo, s69
	s_cbranch_execnz .LBB12_122
.LBB12_123:                             ;   in Loop: Header=BB12_116 Depth=2
	s_or_b32 exec_lo, exec_lo, s68
	s_and_b32 exec_lo, exec_lo, s9
	s_cbranch_execz .LBB12_115
; %bb.124:                              ;   in Loop: Header=BB12_116 Depth=2
	v_add_co_u32 v6, vcc_lo, s46, v4
	v_add_co_ci_u32_e64 v7, null, s47, v5, vcc_lo
	v_add_co_u32 v4, vcc_lo, s44, v4
	v_add_co_ci_u32_e64 v5, null, s45, v5, vcc_lo
	global_load_dword v1, v[6:7], off
	s_waitcnt vmcnt(0)
	global_store_dword v[4:5], v1, off
	s_branch .LBB12_115
.LBB12_125:                             ;   in Loop: Header=BB12_5 Depth=1
	s_or_b32 exec_lo, exec_lo, s11
	s_mov_b32 s11, -1
	s_and_b32 vcc_lo, exec_lo, s57
	s_mov_b32 s66, -1
	s_cbranch_vccz .LBB12_135
; %bb.126:                              ;   in Loop: Header=BB12_5 Depth=1
	s_and_b32 vcc_lo, exec_lo, s64
	s_mov_b32 s10, -1
                                        ; implicit-def: $sgpr66
	s_cbranch_vccz .LBB12_132
; %bb.127:                              ;   in Loop: Header=BB12_5 Depth=1
	s_and_b32 vcc_lo, exec_lo, s63
                                        ; implicit-def: $sgpr66
	s_cbranch_vccz .LBB12_129
; %bb.128:                              ;   in Loop: Header=BB12_5 Depth=1
	v_cmp_ge_f32_e64 s66, s48, v20
	s_mov_b32 s10, 0
.LBB12_129:                             ;   in Loop: Header=BB12_5 Depth=1
	s_andn2_b32 vcc_lo, exec_lo, s10
	s_cbranch_vccnz .LBB12_131
; %bb.130:                              ;   in Loop: Header=BB12_5 Depth=1
	v_cmp_ge_f32_e32 vcc_lo, s48, v24
	s_andn2_b32 s10, s66, exec_lo
	s_and_b32 s66, vcc_lo, exec_lo
	s_or_b32 s66, s10, s66
.LBB12_131:                             ;   in Loop: Header=BB12_5 Depth=1
	s_mov_b32 s10, 0
.LBB12_132:                             ;   in Loop: Header=BB12_5 Depth=1
	s_andn2_b32 vcc_lo, exec_lo, s10
	s_cbranch_vccnz .LBB12_134
; %bb.133:                              ;   in Loop: Header=BB12_5 Depth=1
	v_cmp_ge_f32_e32 vcc_lo, s48, v24
	v_cmp_ge_f32_e64 s10, s48, v20
	s_andn2_b32 s66, s66, exec_lo
	s_and_b32 s10, vcc_lo, s10
	s_and_b32 s10, s10, exec_lo
	s_or_b32 s66, s66, s10
.LBB12_134:                             ;   in Loop: Header=BB12_5 Depth=1
	s_xor_b32 s66, s66, -1
.LBB12_135:                             ;   in Loop: Header=BB12_5 Depth=1
	v_mov_b32_e32 v1, s65
	s_and_saveexec_b32 s10, s66
	s_cbranch_execz .LBB12_4
; %bb.136:                              ;   in Loop: Header=BB12_5 Depth=1
	s_add_i32 s65, s65, 1
	v_mov_b32_e32 v1, s35
	s_cmp_eq_u32 s65, s35
	s_cselect_b32 s11, -1, 0
	s_orn2_b32 s11, s11, exec_lo
	s_branch .LBB12_4
.LBB12_137:
	s_or_b32 exec_lo, exec_lo, s34
	s_or_b32 exec_lo, exec_lo, s58
	s_andn2_b32 vcc_lo, exec_lo, s57
	s_cbranch_vccnz .LBB12_2
.LBB12_138:
	v_xor_b32_e32 v2, 16, v23
	v_xor_b32_e32 v3, 8, v23
	s_mov_b32 s0, exec_lo
	v_cmp_gt_i32_e32 vcc_lo, 32, v2
	v_cndmask_b32_e32 v2, v23, v2, vcc_lo
	v_cmp_gt_i32_e32 vcc_lo, 32, v3
	v_lshlrev_b32_e32 v2, 2, v2
	v_cndmask_b32_e32 v3, v23, v3, vcc_lo
	ds_bpermute_b32 v2, v2, v1
	v_lshlrev_b32_e32 v3, 2, v3
	s_waitcnt lgkmcnt(0)
	v_max_i32_e32 v1, v1, v2
	ds_bpermute_b32 v2, v3, v1
	v_xor_b32_e32 v3, 4, v23
	v_cmp_gt_i32_e32 vcc_lo, 32, v3
	v_cndmask_b32_e32 v3, v23, v3, vcc_lo
	v_lshlrev_b32_e32 v3, 2, v3
	s_waitcnt lgkmcnt(0)
	v_max_i32_e32 v1, v1, v2
	ds_bpermute_b32 v2, v3, v1
	v_xor_b32_e32 v3, 2, v23
	v_cmp_gt_i32_e32 vcc_lo, 32, v3
	v_cndmask_b32_e32 v3, v23, v3, vcc_lo
	;; [unrolled: 7-line block ×3, first 2 shown]
	s_waitcnt lgkmcnt(0)
	v_max_i32_e32 v1, v1, v2
	v_lshlrev_b32_e32 v2, 2, v3
	ds_bpermute_b32 v2, v2, v1
	v_cmpx_eq_u32_e32 31, v22
	s_cbranch_execz .LBB12_140
; %bb.139:
	v_lshlrev_b32_e32 v3, 2, v21
	s_waitcnt lgkmcnt(0)
	v_max_i32_e32 v1, v1, v2
	ds_write_b32 v3, v1 offset:128
.LBB12_140:
	s_or_b32 exec_lo, exec_lo, s0
	s_mov_b32 s0, exec_lo
	s_waitcnt lgkmcnt(0)
	s_waitcnt_vscnt null, 0x0
	s_barrier
	buffer_gl0_inv
	v_cmpx_gt_u32_e32 16, v0
	s_cbranch_execz .LBB12_142
; %bb.141:
	ds_read2_b32 v[1:2], v19 offset0:32 offset1:48
	s_waitcnt lgkmcnt(0)
	v_max_i32_e32 v1, v1, v2
	ds_write_b32 v19, v1 offset:128
.LBB12_142:
	s_or_b32 exec_lo, exec_lo, s0
	s_mov_b32 s0, exec_lo
	s_waitcnt lgkmcnt(0)
	s_barrier
	buffer_gl0_inv
	v_cmpx_gt_u32_e32 8, v0
	s_cbranch_execz .LBB12_144
; %bb.143:
	ds_read2_b32 v[1:2], v19 offset0:32 offset1:40
	s_waitcnt lgkmcnt(0)
	v_max_i32_e32 v1, v1, v2
	ds_write_b32 v19, v1 offset:128
.LBB12_144:
	s_or_b32 exec_lo, exec_lo, s0
	s_mov_b32 s0, exec_lo
	s_waitcnt lgkmcnt(0)
	;; [unrolled: 13-line block ×3, first 2 shown]
	s_barrier
	buffer_gl0_inv
	v_cmpx_gt_u32_e32 2, v0
	s_cbranch_execz .LBB12_148
; %bb.147:
	ds_read2_b32 v[1:2], v19 offset0:32 offset1:34
	s_waitcnt lgkmcnt(0)
	v_max_i32_e32 v1, v1, v2
	ds_write_b32 v19, v1 offset:128
.LBB12_148:
	s_or_b32 exec_lo, exec_lo, s0
	v_cmp_eq_u32_e32 vcc_lo, 0, v0
	s_waitcnt lgkmcnt(0)
	s_barrier
	buffer_gl0_inv
	s_and_saveexec_b32 s0, vcc_lo
	s_cbranch_execz .LBB12_150
; %bb.149:
	v_mov_b32_e32 v3, 0
	ds_read_b64 v[1:2], v3 offset:128
	s_waitcnt lgkmcnt(0)
	v_max_i32_e32 v1, v1, v2
	ds_write_b32 v3, v1 offset:128
.LBB12_150:
	s_or_b32 exec_lo, exec_lo, s0
	s_waitcnt lgkmcnt(0)
	s_barrier
	buffer_gl0_inv
	s_and_saveexec_b32 s0, vcc_lo
	s_cbranch_execz .LBB12_153
; %bb.151:
	v_mbcnt_lo_u32_b32 v1, exec_lo, 0
	v_cmp_eq_u32_e32 vcc_lo, 0, v1
	s_and_b32 exec_lo, exec_lo, vcc_lo
	s_cbranch_execz .LBB12_153
; %bb.152:
	v_mov_b32_e32 v1, 0
	s_load_dwordx2 s[2:3], s[4:5], 0x8
	ds_read_b32 v2, v1 offset:128
	s_waitcnt lgkmcnt(0)
	v_add_nc_u32_e32 v2, 1, v2
	global_atomic_smax v1, v2, s[2:3]
.LBB12_153:
	s_or_b32 exec_lo, exec_lo, s0
	v_cmp_eq_u32_e32 vcc_lo, 0, v0
	s_and_b32 s0, vcc_lo, s56
	s_and_saveexec_b32 s1, s0
	s_cbranch_execz .LBB12_160
.LBB12_154:
	v_mov_b32_e32 v0, 0x7fc00000
	s_mov_b32 s0, exec_lo
.LBB12_155:                             ; =>This Inner Loop Header: Depth=1
	s_ff1_i32_b32 s2, s0
	v_max_f32_e32 v0, v0, v0
	v_readlane_b32 s3, v24, s2
	s_lshl_b32 s2, 1, s2
	s_andn2_b32 s0, s0, s2
	s_cmp_lg_u32 s0, 0
	v_max_f32_e64 v1, s3, s3
	v_max_f32_e32 v0, v0, v1
	s_cbranch_scc1 .LBB12_155
; %bb.156:
	v_mbcnt_lo_u32_b32 v1, exec_lo, 0
	s_mov_b32 s2, 0
	s_mov_b32 s3, exec_lo
	v_cmpx_eq_u32_e32 0, v1
	s_xor_b32 s3, exec_lo, s3
	s_cbranch_execz .LBB12_160
; %bb.157:
	v_mov_b32_e32 v2, 0
	v_max_f32_e32 v3, v0, v0
	global_load_dword v1, v2, s[28:29]
.LBB12_158:                             ; =>This Inner Loop Header: Depth=1
	s_waitcnt vmcnt(0)
	v_max_f32_e32 v0, v1, v1
	v_max_f32_e32 v0, v0, v3
	global_atomic_cmpswap v0, v2, v[0:1], s[28:29] glc
	s_waitcnt vmcnt(0)
	v_cmp_eq_u32_e64 s0, v0, v1
	v_mov_b32_e32 v1, v0
	s_or_b32 s2, s0, s2
	s_andn2_b32 exec_lo, exec_lo, s2
	s_cbranch_execnz .LBB12_158
; %bb.159:
	s_or_b32 exec_lo, exec_lo, s2
.LBB12_160:
	s_or_b32 exec_lo, exec_lo, s1
	s_and_b32 s0, vcc_lo, s33
	s_and_saveexec_b32 s1, s0
	s_cbranch_execz .LBB12_166
; %bb.161:
	v_mov_b32_e32 v0, 0x7fc00000
	s_mov_b32 s0, exec_lo
.LBB12_162:                             ; =>This Inner Loop Header: Depth=1
	s_ff1_i32_b32 s1, s0
	v_max_f32_e32 v0, v0, v0
	v_readlane_b32 s2, v20, s1
	s_lshl_b32 s1, 1, s1
	s_andn2_b32 s0, s0, s1
	s_cmp_lg_u32 s0, 0
	v_max_f32_e64 v1, s2, s2
	v_max_f32_e32 v0, v0, v1
	s_cbranch_scc1 .LBB12_162
; %bb.163:
	v_mbcnt_lo_u32_b32 v1, exec_lo, 0
	s_mov_b32 s0, 0
	s_mov_b32 s1, exec_lo
	v_cmpx_eq_u32_e32 0, v1
	s_xor_b32 s1, exec_lo, s1
	s_cbranch_execz .LBB12_166
; %bb.164:
	v_mov_b32_e32 v2, 0
	v_max_f32_e32 v3, v0, v0
	global_load_dword v1, v2, s[30:31]
.LBB12_165:                             ; =>This Inner Loop Header: Depth=1
	s_waitcnt vmcnt(0)
	v_max_f32_e32 v0, v1, v1
	v_max_f32_e32 v0, v0, v3
	global_atomic_cmpswap v0, v2, v[0:1], s[30:31] glc
	s_waitcnt vmcnt(0)
	v_cmp_eq_u32_e32 vcc_lo, v0, v1
	v_mov_b32_e32 v1, v0
	s_or_b32 s0, vcc_lo, s0
	s_andn2_b32 exec_lo, exec_lo, s0
	s_cbranch_execnz .LBB12_165
.LBB12_166:
	s_endpgm
	.section	.rodata,"a",@progbits
	.p2align	6, 0x0
	.amdhsa_kernel _ZN9rocsparseL6kernelILi1024ELi32EfiiEEvbbbT3_PS1_NS_15floating_traitsIT1_E6data_tES1_T2_PKS7_S9_PKS1_PKS4_21rocsparse_index_base_S9_S9_SB_PS4_SF_SE_S9_S9_SB_SF_SF_SE_SF_SF_PS6_SG_PKS6_
		.amdhsa_group_segment_fixed_size 256
		.amdhsa_private_segment_fixed_size 0
		.amdhsa_kernarg_size 208
		.amdhsa_user_sgpr_count 6
		.amdhsa_user_sgpr_private_segment_buffer 1
		.amdhsa_user_sgpr_dispatch_ptr 0
		.amdhsa_user_sgpr_queue_ptr 0
		.amdhsa_user_sgpr_kernarg_segment_ptr 1
		.amdhsa_user_sgpr_dispatch_id 0
		.amdhsa_user_sgpr_flat_scratch_init 0
		.amdhsa_user_sgpr_private_segment_size 0
		.amdhsa_wavefront_size32 1
		.amdhsa_uses_dynamic_stack 0
		.amdhsa_system_sgpr_private_segment_wavefront_offset 0
		.amdhsa_system_sgpr_workgroup_id_x 1
		.amdhsa_system_sgpr_workgroup_id_y 0
		.amdhsa_system_sgpr_workgroup_id_z 0
		.amdhsa_system_sgpr_workgroup_info 0
		.amdhsa_system_vgpr_workitem_id 0
		.amdhsa_next_free_vgpr 45
		.amdhsa_next_free_sgpr 80
		.amdhsa_reserve_vcc 1
		.amdhsa_reserve_flat_scratch 0
		.amdhsa_float_round_mode_32 0
		.amdhsa_float_round_mode_16_64 0
		.amdhsa_float_denorm_mode_32 3
		.amdhsa_float_denorm_mode_16_64 3
		.amdhsa_dx10_clamp 1
		.amdhsa_ieee_mode 1
		.amdhsa_fp16_overflow 0
		.amdhsa_workgroup_processor_mode 1
		.amdhsa_memory_ordered 1
		.amdhsa_forward_progress 1
		.amdhsa_shared_vgpr_count 0
		.amdhsa_exception_fp_ieee_invalid_op 0
		.amdhsa_exception_fp_denorm_src 0
		.amdhsa_exception_fp_ieee_div_zero 0
		.amdhsa_exception_fp_ieee_overflow 0
		.amdhsa_exception_fp_ieee_underflow 0
		.amdhsa_exception_fp_ieee_inexact 0
		.amdhsa_exception_int_div_zero 0
	.end_amdhsa_kernel
	.section	.text._ZN9rocsparseL6kernelILi1024ELi32EfiiEEvbbbT3_PS1_NS_15floating_traitsIT1_E6data_tES1_T2_PKS7_S9_PKS1_PKS4_21rocsparse_index_base_S9_S9_SB_PS4_SF_SE_S9_S9_SB_SF_SF_SE_SF_SF_PS6_SG_PKS6_,"axG",@progbits,_ZN9rocsparseL6kernelILi1024ELi32EfiiEEvbbbT3_PS1_NS_15floating_traitsIT1_E6data_tES1_T2_PKS7_S9_PKS1_PKS4_21rocsparse_index_base_S9_S9_SB_PS4_SF_SE_S9_S9_SB_SF_SF_SE_SF_SF_PS6_SG_PKS6_,comdat
.Lfunc_end12:
	.size	_ZN9rocsparseL6kernelILi1024ELi32EfiiEEvbbbT3_PS1_NS_15floating_traitsIT1_E6data_tES1_T2_PKS7_S9_PKS1_PKS4_21rocsparse_index_base_S9_S9_SB_PS4_SF_SE_S9_S9_SB_SF_SF_SE_SF_SF_PS6_SG_PKS6_, .Lfunc_end12-_ZN9rocsparseL6kernelILi1024ELi32EfiiEEvbbbT3_PS1_NS_15floating_traitsIT1_E6data_tES1_T2_PKS7_S9_PKS1_PKS4_21rocsparse_index_base_S9_S9_SB_PS4_SF_SE_S9_S9_SB_SF_SF_SE_SF_SF_PS6_SG_PKS6_
                                        ; -- End function
	.set _ZN9rocsparseL6kernelILi1024ELi32EfiiEEvbbbT3_PS1_NS_15floating_traitsIT1_E6data_tES1_T2_PKS7_S9_PKS1_PKS4_21rocsparse_index_base_S9_S9_SB_PS4_SF_SE_S9_S9_SB_SF_SF_SE_SF_SF_PS6_SG_PKS6_.num_vgpr, 45
	.set _ZN9rocsparseL6kernelILi1024ELi32EfiiEEvbbbT3_PS1_NS_15floating_traitsIT1_E6data_tES1_T2_PKS7_S9_PKS1_PKS4_21rocsparse_index_base_S9_S9_SB_PS4_SF_SE_S9_S9_SB_SF_SF_SE_SF_SF_PS6_SG_PKS6_.num_agpr, 0
	.set _ZN9rocsparseL6kernelILi1024ELi32EfiiEEvbbbT3_PS1_NS_15floating_traitsIT1_E6data_tES1_T2_PKS7_S9_PKS1_PKS4_21rocsparse_index_base_S9_S9_SB_PS4_SF_SE_S9_S9_SB_SF_SF_SE_SF_SF_PS6_SG_PKS6_.numbered_sgpr, 80
	.set _ZN9rocsparseL6kernelILi1024ELi32EfiiEEvbbbT3_PS1_NS_15floating_traitsIT1_E6data_tES1_T2_PKS7_S9_PKS1_PKS4_21rocsparse_index_base_S9_S9_SB_PS4_SF_SE_S9_S9_SB_SF_SF_SE_SF_SF_PS6_SG_PKS6_.num_named_barrier, 0
	.set _ZN9rocsparseL6kernelILi1024ELi32EfiiEEvbbbT3_PS1_NS_15floating_traitsIT1_E6data_tES1_T2_PKS7_S9_PKS1_PKS4_21rocsparse_index_base_S9_S9_SB_PS4_SF_SE_S9_S9_SB_SF_SF_SE_SF_SF_PS6_SG_PKS6_.private_seg_size, 0
	.set _ZN9rocsparseL6kernelILi1024ELi32EfiiEEvbbbT3_PS1_NS_15floating_traitsIT1_E6data_tES1_T2_PKS7_S9_PKS1_PKS4_21rocsparse_index_base_S9_S9_SB_PS4_SF_SE_S9_S9_SB_SF_SF_SE_SF_SF_PS6_SG_PKS6_.uses_vcc, 1
	.set _ZN9rocsparseL6kernelILi1024ELi32EfiiEEvbbbT3_PS1_NS_15floating_traitsIT1_E6data_tES1_T2_PKS7_S9_PKS1_PKS4_21rocsparse_index_base_S9_S9_SB_PS4_SF_SE_S9_S9_SB_SF_SF_SE_SF_SF_PS6_SG_PKS6_.uses_flat_scratch, 0
	.set _ZN9rocsparseL6kernelILi1024ELi32EfiiEEvbbbT3_PS1_NS_15floating_traitsIT1_E6data_tES1_T2_PKS7_S9_PKS1_PKS4_21rocsparse_index_base_S9_S9_SB_PS4_SF_SE_S9_S9_SB_SF_SF_SE_SF_SF_PS6_SG_PKS6_.has_dyn_sized_stack, 0
	.set _ZN9rocsparseL6kernelILi1024ELi32EfiiEEvbbbT3_PS1_NS_15floating_traitsIT1_E6data_tES1_T2_PKS7_S9_PKS1_PKS4_21rocsparse_index_base_S9_S9_SB_PS4_SF_SE_S9_S9_SB_SF_SF_SE_SF_SF_PS6_SG_PKS6_.has_recursion, 0
	.set _ZN9rocsparseL6kernelILi1024ELi32EfiiEEvbbbT3_PS1_NS_15floating_traitsIT1_E6data_tES1_T2_PKS7_S9_PKS1_PKS4_21rocsparse_index_base_S9_S9_SB_PS4_SF_SE_S9_S9_SB_SF_SF_SE_SF_SF_PS6_SG_PKS6_.has_indirect_call, 0
	.section	.AMDGPU.csdata,"",@progbits
; Kernel info:
; codeLenInByte = 5820
; TotalNumSgprs: 82
; NumVgprs: 45
; ScratchSize: 0
; MemoryBound: 0
; FloatMode: 240
; IeeeMode: 1
; LDSByteSize: 256 bytes/workgroup (compile time only)
; SGPRBlocks: 0
; VGPRBlocks: 5
; NumSGPRsForWavesPerEU: 82
; NumVGPRsForWavesPerEU: 45
; Occupancy: 16
; WaveLimiterHint : 1
; COMPUTE_PGM_RSRC2:SCRATCH_EN: 0
; COMPUTE_PGM_RSRC2:USER_SGPR: 6
; COMPUTE_PGM_RSRC2:TRAP_HANDLER: 0
; COMPUTE_PGM_RSRC2:TGID_X_EN: 1
; COMPUTE_PGM_RSRC2:TGID_Y_EN: 0
; COMPUTE_PGM_RSRC2:TGID_Z_EN: 0
; COMPUTE_PGM_RSRC2:TIDIG_COMP_CNT: 0
	.section	.text._ZN9rocsparseL6kernelILi1024ELi64EfiiEEvbbbT3_PS1_NS_15floating_traitsIT1_E6data_tES1_T2_PKS7_S9_PKS1_PKS4_21rocsparse_index_base_S9_S9_SB_PS4_SF_SE_S9_S9_SB_SF_SF_SE_SF_SF_PS6_SG_PKS6_,"axG",@progbits,_ZN9rocsparseL6kernelILi1024ELi64EfiiEEvbbbT3_PS1_NS_15floating_traitsIT1_E6data_tES1_T2_PKS7_S9_PKS1_PKS4_21rocsparse_index_base_S9_S9_SB_PS4_SF_SE_S9_S9_SB_SF_SF_SE_SF_SF_PS6_SG_PKS6_,comdat
	.globl	_ZN9rocsparseL6kernelILi1024ELi64EfiiEEvbbbT3_PS1_NS_15floating_traitsIT1_E6data_tES1_T2_PKS7_S9_PKS1_PKS4_21rocsparse_index_base_S9_S9_SB_PS4_SF_SE_S9_S9_SB_SF_SF_SE_SF_SF_PS6_SG_PKS6_ ; -- Begin function _ZN9rocsparseL6kernelILi1024ELi64EfiiEEvbbbT3_PS1_NS_15floating_traitsIT1_E6data_tES1_T2_PKS7_S9_PKS1_PKS4_21rocsparse_index_base_S9_S9_SB_PS4_SF_SE_S9_S9_SB_SF_SF_SE_SF_SF_PS6_SG_PKS6_
	.p2align	8
	.type	_ZN9rocsparseL6kernelILi1024ELi64EfiiEEvbbbT3_PS1_NS_15floating_traitsIT1_E6data_tES1_T2_PKS7_S9_PKS1_PKS4_21rocsparse_index_base_S9_S9_SB_PS4_SF_SE_S9_S9_SB_SF_SF_SE_SF_SF_PS6_SG_PKS6_,@function
_ZN9rocsparseL6kernelILi1024ELi64EfiiEEvbbbT3_PS1_NS_15floating_traitsIT1_E6data_tES1_T2_PKS7_S9_PKS1_PKS4_21rocsparse_index_base_S9_S9_SB_PS4_SF_SE_S9_S9_SB_SF_SF_SE_SF_SF_PS6_SG_PKS6_: ; @_ZN9rocsparseL6kernelILi1024ELi64EfiiEEvbbbT3_PS1_NS_15floating_traitsIT1_E6data_tES1_T2_PKS7_S9_PKS1_PKS4_21rocsparse_index_base_S9_S9_SB_PS4_SF_SE_S9_S9_SB_SF_SF_SE_SF_SF_PS6_SG_PKS6_
; %bb.0:
	s_clause 0x3
	s_load_dword s0, s[4:5], 0x0
	s_load_dwordx2 s[10:11], s[4:5], 0x0
	s_load_dwordx2 s[34:35], s[4:5], 0x10
	s_load_dwordx4 s[28:31], s[4:5], 0xb8
	v_lshrrev_b32_e32 v21, 6, v0
	v_mov_b32_e32 v20, 0
	v_lshlrev_b32_e32 v19, 2, v0
	v_and_b32_e32 v22, 63, v0
	v_mbcnt_lo_u32_b32 v23, -1, 0
	v_mov_b32_e32 v24, 0
	v_mov_b32_e32 v1, 0
	s_mov_b32 s56, 0
	ds_write_b32 v19, v20
	s_waitcnt lgkmcnt(0)
	s_barrier
	buffer_gl0_inv
	s_bitcmp1_b32 s0, 0
	s_cselect_b32 s55, -1, 0
	s_bitcmp1_b32 s0, 8
	s_cselect_b32 s54, -1, 0
	;; [unrolled: 2-line block ×3, first 2 shown]
	s_lshl_b32 s61, s6, 10
	s_cmp_gt_i32 s11, 0
	v_or_b32_e32 v25, s61, v21
	s_cselect_b32 s0, -1, 0
	v_cmp_gt_i32_e32 vcc_lo, s35, v25
	s_and_b32 s0, s0, vcc_lo
	s_and_saveexec_b32 s57, s0
	s_cbranch_execnz .LBB13_3
; %bb.1:
	s_or_b32 exec_lo, exec_lo, s57
	s_andn2_b32 vcc_lo, exec_lo, s55
	s_cbranch_vccz .LBB13_134
.LBB13_2:
	v_cmp_eq_u32_e32 vcc_lo, 0, v0
	s_and_b32 s0, vcc_lo, s54
	s_and_saveexec_b32 s1, s0
	s_cbranch_execnz .LBB13_148
	s_branch .LBB13_154
.LBB13_3:
	s_clause 0x9
	s_load_dword s58, s[4:5], 0x40
	s_load_dword s59, s[4:5], 0x70
	;; [unrolled: 1-line block ×3, first 2 shown]
	s_load_dwordx2 s[48:49], s[4:5], 0x98
	s_load_dwordx2 s[50:51], s[4:5], 0x68
	;; [unrolled: 1-line block ×3, first 2 shown]
	s_load_dwordx4 s[44:47], s[4:5], 0xa8
	s_load_dwordx8 s[12:19], s[4:5], 0x78
	s_load_dwordx8 s[20:27], s[4:5], 0x48
	;; [unrolled: 1-line block ×3, first 2 shown]
	s_addk_i32 s61, 0x400
	v_cmp_eq_u32_e64 s0, 63, v22
	v_lshlrev_b32_e32 v26, 2, v21
	v_cmp_gt_u32_e64 s1, 8, v0
	v_cmp_gt_u32_e64 s2, 4, v0
	;; [unrolled: 1-line block ×3, first 2 shown]
	v_cmp_eq_u32_e64 s6, 0, v0
	v_cmp_gt_u32_e64 s7, s61, v25
	v_cmp_eq_u32_e64 s8, 0, v22
	v_mov_b32_e32 v2, 0
	s_waitcnt lgkmcnt(0)
	v_subrev_nc_u32_e32 v27, s58, v22
	v_subrev_nc_u32_e32 v28, s59, v22
	v_subrev_nc_u32_e32 v29, s60, v22
	v_mov_b32_e32 v24, 0
	v_mov_b32_e32 v20, 0
	s_and_b32 s9, s54, s33
	s_xor_b32 s62, s54, -1
	s_xor_b32 s63, s9, -1
	s_mov_b32 s64, 0
	s_branch .LBB13_5
.LBB13_4:                               ;   in Loop: Header=BB13_5 Depth=1
	s_or_b32 exec_lo, exec_lo, s9
	s_and_b32 s9, exec_lo, s10
	s_or_b32 s56, s9, s56
	s_andn2_b32 exec_lo, exec_lo, s56
	s_cbranch_execz .LBB13_133
.LBB13_5:                               ; =>This Loop Header: Depth=1
                                        ;     Child Loop BB13_9 Depth 2
                                        ;       Child Loop BB13_14 Depth 3
                                        ;         Child Loop BB13_18 Depth 4
                                        ;         Child Loop BB13_39 Depth 4
	;; [unrolled: 1-line block ×5, first 2 shown]
                                        ;     Child Loop BB13_112 Depth 2
                                        ;       Child Loop BB13_115 Depth 3
                                        ;       Child Loop BB13_118 Depth 3
	v_cndmask_b32_e64 v24, v24, 0, s54
	v_cndmask_b32_e64 v20, v20, 0, s33
	s_mov_b32 s65, 0
	s_branch .LBB13_9
.LBB13_6:                               ;   in Loop: Header=BB13_9 Depth=2
	s_or_b32 exec_lo, exec_lo, s68
.LBB13_7:                               ;   in Loop: Header=BB13_9 Depth=2
	s_or_b32 exec_lo, exec_lo, s67
.LBB13_8:                               ;   in Loop: Header=BB13_9 Depth=2
	s_or_b32 exec_lo, exec_lo, s66
	s_add_i32 s65, s65, 1
	s_cmp_eq_u32 s65, 64
	s_cbranch_scc1 .LBB13_85
.LBB13_9:                               ;   Parent Loop BB13_5 Depth=1
                                        ; =>  This Loop Header: Depth=2
                                        ;       Child Loop BB13_14 Depth 3
                                        ;         Child Loop BB13_18 Depth 4
                                        ;         Child Loop BB13_39 Depth 4
	;; [unrolled: 1-line block ×5, first 2 shown]
	v_lshl_add_u32 v3, s65, 4, v25
	s_mov_b32 s66, exec_lo
	v_cmpx_gt_i32_e64 s35, v3
	s_cbranch_execz .LBB13_8
; %bb.10:                               ;   in Loop: Header=BB13_9 Depth=2
	v_ashrrev_i32_e32 v4, 31, v3
	s_mov_b32 s67, exec_lo
	v_lshlrev_b64 v[5:6], 2, v[3:4]
	v_add_co_u32 v7, vcc_lo, s36, v5
	v_add_co_ci_u32_e64 v8, null, s37, v6, vcc_lo
	v_add_co_u32 v9, vcc_lo, s38, v5
	v_add_co_ci_u32_e64 v10, null, s39, v6, vcc_lo
	global_load_dword v1, v[7:8], off
	global_load_dword v7, v[9:10], off
	s_waitcnt vmcnt(1)
	v_add_nc_u32_e32 v4, v27, v1
	s_waitcnt vmcnt(0)
	v_subrev_nc_u32_e32 v30, s58, v7
	v_cmpx_lt_i32_e64 v4, v30
	s_cbranch_execz .LBB13_7
; %bb.11:                               ;   in Loop: Header=BB13_9 Depth=2
	v_add_co_u32 v7, vcc_lo, s20, v5
	v_add_co_ci_u32_e64 v8, null, s21, v6, vcc_lo
	v_add_co_u32 v5, vcc_lo, s22, v5
	v_add_co_ci_u32_e64 v6, null, s23, v6, vcc_lo
	global_load_dword v1, v[7:8], off
	s_mov_b32 s68, 0
	global_load_dword v5, v[5:6], off
	s_waitcnt vmcnt(1)
	v_subrev_nc_u32_e32 v6, s59, v1
	s_waitcnt vmcnt(0)
	v_sub_nc_u32_e32 v31, v5, v1
	v_ashrrev_i32_e32 v7, 31, v6
	v_cmp_lt_i32_e64 s9, 0, v31
	v_lshlrev_b64 v[7:8], 2, v[6:7]
	v_add_co_u32 v32, vcc_lo, s24, v7
	v_add_co_ci_u32_e64 v33, null, s25, v8, vcc_lo
	v_add_co_u32 v34, vcc_lo, s26, v7
	v_add_co_ci_u32_e64 v35, null, s27, v8, vcc_lo
	s_branch .LBB13_14
.LBB13_12:                              ;   in Loop: Header=BB13_14 Depth=3
	s_or_b32 exec_lo, exec_lo, s69
.LBB13_13:                              ;   in Loop: Header=BB13_14 Depth=3
	s_or_b32 exec_lo, exec_lo, s10
	v_add_nc_u32_e32 v4, 64, v4
	v_cmp_ge_i32_e32 vcc_lo, v4, v30
	s_or_b32 s68, vcc_lo, s68
	s_andn2_b32 exec_lo, exec_lo, s68
	s_cbranch_execz .LBB13_6
.LBB13_14:                              ;   Parent Loop BB13_5 Depth=1
                                        ;     Parent Loop BB13_9 Depth=2
                                        ; =>    This Loop Header: Depth=3
                                        ;         Child Loop BB13_18 Depth 4
                                        ;         Child Loop BB13_39 Depth 4
	;; [unrolled: 1-line block ×5, first 2 shown]
	v_ashrrev_i32_e32 v5, 31, v4
	v_lshlrev_b64 v[13:14], 2, v[4:5]
	v_mov_b32_e32 v5, 0
	v_add_co_u32 v7, vcc_lo, s40, v13
	v_add_co_ci_u32_e64 v8, null, s41, v14, vcc_lo
	global_load_dword v1, v[7:8], off
	s_waitcnt vmcnt(0)
	v_subrev_nc_u32_e32 v9, s58, v1
	v_ashrrev_i32_e32 v10, 31, v9
	v_lshlrev_b64 v[7:8], 2, v[9:10]
	v_add_co_u32 v10, vcc_lo, s12, v7
	v_add_co_ci_u32_e64 v11, null, s13, v8, vcc_lo
	v_add_co_u32 v15, vcc_lo, s14, v7
	v_add_co_ci_u32_e64 v16, null, s15, v8, vcc_lo
	global_load_dword v1, v[10:11], off
	global_load_dword v12, v[15:16], off
	v_mov_b32_e32 v11, 0
	s_waitcnt vmcnt(1)
	v_subrev_nc_u32_e32 v10, s60, v1
	s_waitcnt vmcnt(0)
	v_sub_nc_u32_e32 v36, v12, v1
	v_mov_b32_e32 v1, v11
	s_and_saveexec_b32 s69, s9
	s_cbranch_execz .LBB13_22
; %bb.15:                               ;   in Loop: Header=BB13_14 Depth=3
	v_ashrrev_i32_e32 v11, 31, v10
	v_mov_b32_e32 v5, 0
	v_mov_b32_e32 v1, 0
	s_mov_b32 s70, 0
                                        ; implicit-def: $sgpr71
	v_lshlrev_b64 v[11:12], 2, v[10:11]
	v_add_co_u32 v37, vcc_lo, s16, v11
	v_add_co_ci_u32_e64 v38, null, s17, v12, vcc_lo
	v_add_co_u32 v39, vcc_lo, s18, v11
	v_add_co_ci_u32_e64 v40, null, s19, v12, vcc_lo
	v_mov_b32_e32 v11, 0
	s_branch .LBB13_18
.LBB13_16:                              ;   in Loop: Header=BB13_18 Depth=4
	s_or_b32 exec_lo, exec_lo, s10
	v_cmp_le_i32_e32 vcc_lo, v12, v41
	v_cmp_ge_i32_e64 s10, v12, v41
	v_add_co_ci_u32_e64 v1, null, 0, v1, vcc_lo
	v_add_co_ci_u32_e64 v11, null, 0, v11, s10
	s_andn2_b32 s10, s71, exec_lo
	v_cmp_ge_i32_e32 vcc_lo, v1, v31
	s_and_b32 s71, vcc_lo, exec_lo
	s_or_b32 s71, s10, s71
.LBB13_17:                              ;   in Loop: Header=BB13_18 Depth=4
	s_or_b32 exec_lo, exec_lo, s72
	s_and_b32 s10, exec_lo, s71
	s_or_b32 s70, s10, s70
	s_andn2_b32 exec_lo, exec_lo, s70
	s_cbranch_execz .LBB13_21
.LBB13_18:                              ;   Parent Loop BB13_5 Depth=1
                                        ;     Parent Loop BB13_9 Depth=2
                                        ;       Parent Loop BB13_14 Depth=3
                                        ; =>      This Inner Loop Header: Depth=4
	s_or_b32 s71, s71, exec_lo
	s_mov_b32 s72, exec_lo
	v_cmpx_lt_i32_e64 v11, v36
	s_cbranch_execz .LBB13_17
; %bb.19:                               ;   in Loop: Header=BB13_18 Depth=4
	v_mov_b32_e32 v12, v2
	v_lshlrev_b64 v[17:18], 2, v[1:2]
	s_mov_b32 s10, exec_lo
	v_lshlrev_b64 v[15:16], 2, v[11:12]
	v_add_co_u32 v41, vcc_lo, v32, v17
	v_add_co_ci_u32_e64 v42, null, v33, v18, vcc_lo
	v_add_co_u32 v43, vcc_lo, v37, v15
	v_add_co_ci_u32_e64 v44, null, v38, v16, vcc_lo
	global_load_dword v12, v[41:42], off
	global_load_dword v41, v[43:44], off
	s_waitcnt vmcnt(1)
	v_subrev_nc_u32_e32 v12, s59, v12
	s_waitcnt vmcnt(0)
	v_subrev_nc_u32_e32 v41, s60, v41
	v_cmpx_eq_u32_e64 v12, v41
	s_cbranch_execz .LBB13_16
; %bb.20:                               ;   in Loop: Header=BB13_18 Depth=4
	v_add_co_u32 v17, vcc_lo, v34, v17
	v_add_co_ci_u32_e64 v18, null, v35, v18, vcc_lo
	v_add_co_u32 v15, vcc_lo, v39, v15
	v_add_co_ci_u32_e64 v16, null, v40, v16, vcc_lo
	global_load_dword v17, v[17:18], off
	global_load_dword v15, v[15:16], off
	s_waitcnt vmcnt(0)
	v_fmac_f32_e32 v5, v17, v15
	s_branch .LBB13_16
.LBB13_21:                              ;   in Loop: Header=BB13_14 Depth=3
	s_or_b32 exec_lo, exec_lo, s70
.LBB13_22:                              ;   in Loop: Header=BB13_14 Depth=3
	s_or_b32 exec_lo, exec_lo, s69
	v_add_co_u32 v12, vcc_lo, s42, v13
	v_add_co_ci_u32_e64 v13, null, s43, v14, vcc_lo
	v_cmp_le_i32_e64 s10, v3, v9
	s_mov_b32 s69, exec_lo
	global_load_dword v14, v[12:13], off
	s_waitcnt vmcnt(0)
	v_sub_f32_e32 v15, v14, v5
	v_cmpx_gt_i32_e64 v3, v9
	s_cbranch_execnz .LBB13_25
; %bb.23:                               ;   in Loop: Header=BB13_14 Depth=3
	s_or_b32 exec_lo, exec_lo, s69
	v_cmp_class_f32_e64 s69, v15, 0x1f8
	s_and_saveexec_b32 s70, s69
	s_cbranch_execnz .LBB13_28
.LBB13_24:                              ;   in Loop: Header=BB13_14 Depth=3
	s_or_b32 exec_lo, exec_lo, s70
	s_and_b32 s69, s33, s69
	s_and_saveexec_b32 s10, s69
	s_cbranch_execz .LBB13_13
	s_branch .LBB13_63
.LBB13_25:                              ;   in Loop: Header=BB13_14 Depth=3
	v_add_co_u32 v12, vcc_lo, s44, v7
	v_add_co_ci_u32_e64 v13, null, s45, v8, vcc_lo
	s_mov_b32 s70, exec_lo
	global_load_dword v12, v[12:13], off
	v_mov_b32_e32 v13, 0
	s_waitcnt vmcnt(0)
	v_cmpx_lg_f32_e32 0, v12
	s_cbranch_execz .LBB13_27
; %bb.26:                               ;   in Loop: Header=BB13_14 Depth=3
	v_div_scale_f32 v13, null, v12, v12, v15
	v_rcp_f32_e32 v16, v13
	v_fma_f32 v17, -v13, v16, 1.0
	v_fmac_f32_e32 v16, v17, v16
	v_div_scale_f32 v17, vcc_lo, v15, v12, v15
	v_mul_f32_e32 v18, v17, v16
	v_fma_f32 v37, -v13, v18, v17
	v_fmac_f32_e32 v18, v37, v16
	v_fma_f32 v13, -v13, v18, v17
	v_div_fmas_f32 v13, v13, v16, v18
	v_div_fixup_f32 v13, v13, v12, v15
.LBB13_27:                              ;   in Loop: Header=BB13_14 Depth=3
	s_or_b32 exec_lo, exec_lo, s70
	v_mov_b32_e32 v15, v13
	s_or_b32 exec_lo, exec_lo, s69
	v_cmp_class_f32_e64 s69, v15, 0x1f8
	s_and_saveexec_b32 s70, s69
	s_cbranch_execz .LBB13_24
.LBB13_28:                              ;   in Loop: Header=BB13_14 Depth=3
	s_and_saveexec_b32 s71, s10
	s_xor_b32 s10, exec_lo, s71
	s_cbranch_execz .LBB13_49
; %bb.29:                               ;   in Loop: Header=BB13_14 Depth=3
	s_mov_b32 s71, exec_lo
	v_cmpx_ge_i32_e64 v3, v9
	s_xor_b32 s71, exec_lo, s71
	s_cbranch_execz .LBB13_35
; %bb.30:                               ;   in Loop: Header=BB13_14 Depth=3
	v_add_co_u32 v12, vcc_lo, s46, v7
	v_add_co_ci_u32_e64 v13, null, s47, v8, vcc_lo
	s_andn2_b32 vcc_lo, exec_lo, s54
	global_store_dword v[12:13], v15, off
	s_cbranch_vccnz .LBB13_34
; %bb.31:                               ;   in Loop: Header=BB13_14 Depth=3
	v_add_co_u32 v12, vcc_lo, s44, v7
	v_add_co_ci_u32_e64 v13, null, s45, v8, vcc_lo
	global_load_dword v12, v[12:13], off
	s_waitcnt vmcnt(0)
	v_sub_f32_e32 v12, v12, v15
	v_cmp_class_f32_e64 s73, v12, 0x1f8
	s_and_saveexec_b32 s72, s73
; %bb.32:                               ;   in Loop: Header=BB13_14 Depth=3
	v_cmp_lt_f32_e64 s73, v24, |v12|
	v_cndmask_b32_e64 v24, v24, |v12|, s73
; %bb.33:                               ;   in Loop: Header=BB13_14 Depth=3
	s_or_b32 exec_lo, exec_lo, s72
.LBB13_34:                              ;   in Loop: Header=BB13_14 Depth=3
                                        ; implicit-def: $vgpr15
.LBB13_35:                              ;   in Loop: Header=BB13_14 Depth=3
	s_andn2_saveexec_b32 s71, s71
	s_cbranch_execz .LBB13_48
; %bb.36:                               ;   in Loop: Header=BB13_14 Depth=3
	s_mov_b32 s72, exec_lo
	v_cmpx_lt_i32_e64 v11, v36
	s_cbranch_execz .LBB13_47
; %bb.37:                               ;   in Loop: Header=BB13_14 Depth=3
	v_mov_b32_e32 v16, v11
	s_mov_b32 s73, 0
                                        ; implicit-def: $sgpr74
                                        ; implicit-def: $sgpr76
                                        ; implicit-def: $sgpr75
	s_inst_prefetch 0x1
	s_branch .LBB13_39
	.p2align	6
.LBB13_38:                              ;   in Loop: Header=BB13_39 Depth=4
	s_or_b32 exec_lo, exec_lo, s77
	s_and_b32 s77, exec_lo, s76
	s_or_b32 s73, s77, s73
	s_andn2_b32 s74, s74, exec_lo
	s_and_b32 s77, s75, exec_lo
	s_or_b32 s74, s74, s77
	s_andn2_b32 exec_lo, exec_lo, s73
	s_cbranch_execz .LBB13_41
.LBB13_39:                              ;   Parent Loop BB13_5 Depth=1
                                        ;     Parent Loop BB13_9 Depth=2
                                        ;       Parent Loop BB13_14 Depth=3
                                        ; =>      This Inner Loop Header: Depth=4
	v_add_nc_u32_e32 v12, v10, v16
	s_or_b32 s75, s75, exec_lo
	s_or_b32 s76, s76, exec_lo
	s_mov_b32 s77, exec_lo
	v_ashrrev_i32_e32 v13, 31, v12
	v_lshlrev_b64 v[12:13], 2, v[12:13]
	v_add_co_u32 v17, vcc_lo, s16, v12
	v_add_co_ci_u32_e64 v18, null, s17, v13, vcc_lo
	global_load_dword v17, v[17:18], off
	s_waitcnt vmcnt(0)
	v_subrev_nc_u32_e32 v17, s60, v17
	v_cmpx_ne_u32_e64 v17, v3
	s_cbranch_execz .LBB13_38
; %bb.40:                               ;   in Loop: Header=BB13_39 Depth=4
	v_add_nc_u32_e32 v16, 1, v16
	s_andn2_b32 s76, s76, exec_lo
	s_andn2_b32 s75, s75, exec_lo
	v_cmp_ge_i32_e32 vcc_lo, v16, v36
	s_and_b32 s78, vcc_lo, exec_lo
	s_or_b32 s76, s76, s78
	s_branch .LBB13_38
.LBB13_41:                              ;   in Loop: Header=BB13_14 Depth=3
	s_inst_prefetch 0x2
	s_or_b32 exec_lo, exec_lo, s73
	s_and_saveexec_b32 s73, s74
	s_xor_b32 s73, exec_lo, s73
	s_cbranch_execz .LBB13_46
; %bb.42:                               ;   in Loop: Header=BB13_14 Depth=3
	v_add_co_u32 v16, vcc_lo, s48, v12
	v_add_co_ci_u32_e64 v17, null, s49, v13, vcc_lo
	s_andn2_b32 vcc_lo, exec_lo, s54
	global_store_dword v[16:17], v15, off
	s_cbranch_vccnz .LBB13_46
; %bb.43:                               ;   in Loop: Header=BB13_14 Depth=3
	v_add_co_u32 v12, vcc_lo, s18, v12
	v_add_co_ci_u32_e64 v13, null, s19, v13, vcc_lo
	global_load_dword v12, v[12:13], off
	s_waitcnt vmcnt(0)
	v_sub_f32_e32 v12, v12, v15
	v_cmp_class_f32_e64 s75, v12, 0x1f8
	s_and_saveexec_b32 s74, s75
; %bb.44:                               ;   in Loop: Header=BB13_14 Depth=3
	v_cmp_lt_f32_e64 s75, v24, |v12|
	v_cndmask_b32_e64 v24, v24, |v12|, s75
; %bb.45:                               ;   in Loop: Header=BB13_14 Depth=3
	s_or_b32 exec_lo, exec_lo, s74
.LBB13_46:                              ;   in Loop: Header=BB13_14 Depth=3
	s_or_b32 exec_lo, exec_lo, s73
.LBB13_47:                              ;   in Loop: Header=BB13_14 Depth=3
	s_or_b32 exec_lo, exec_lo, s72
.LBB13_48:                              ;   in Loop: Header=BB13_14 Depth=3
	s_or_b32 exec_lo, exec_lo, s71
                                        ; implicit-def: $vgpr15
.LBB13_49:                              ;   in Loop: Header=BB13_14 Depth=3
	s_andn2_saveexec_b32 s10, s10
	s_cbranch_execz .LBB13_62
; %bb.50:                               ;   in Loop: Header=BB13_14 Depth=3
	s_mov_b32 s71, exec_lo
	v_cmpx_lt_i32_e64 v1, v31
	s_cbranch_execz .LBB13_61
; %bb.51:                               ;   in Loop: Header=BB13_14 Depth=3
	v_mov_b32_e32 v16, v1
	s_mov_b32 s72, 0
                                        ; implicit-def: $sgpr73
                                        ; implicit-def: $sgpr75
                                        ; implicit-def: $sgpr74
	s_inst_prefetch 0x1
	s_branch .LBB13_53
	.p2align	6
.LBB13_52:                              ;   in Loop: Header=BB13_53 Depth=4
	s_or_b32 exec_lo, exec_lo, s76
	s_and_b32 s76, exec_lo, s75
	s_or_b32 s72, s76, s72
	s_andn2_b32 s73, s73, exec_lo
	s_and_b32 s76, s74, exec_lo
	s_or_b32 s73, s73, s76
	s_andn2_b32 exec_lo, exec_lo, s72
	s_cbranch_execz .LBB13_55
.LBB13_53:                              ;   Parent Loop BB13_5 Depth=1
                                        ;     Parent Loop BB13_9 Depth=2
                                        ;       Parent Loop BB13_14 Depth=3
                                        ; =>      This Inner Loop Header: Depth=4
	v_add_nc_u32_e32 v12, v6, v16
	s_or_b32 s74, s74, exec_lo
	s_or_b32 s75, s75, exec_lo
	s_mov_b32 s76, exec_lo
	v_ashrrev_i32_e32 v13, 31, v12
	v_lshlrev_b64 v[12:13], 2, v[12:13]
	v_add_co_u32 v17, vcc_lo, s24, v12
	v_add_co_ci_u32_e64 v18, null, s25, v13, vcc_lo
	global_load_dword v17, v[17:18], off
	s_waitcnt vmcnt(0)
	v_subrev_nc_u32_e32 v17, s59, v17
	v_cmpx_ne_u32_e64 v17, v9
	s_cbranch_execz .LBB13_52
; %bb.54:                               ;   in Loop: Header=BB13_53 Depth=4
	v_add_nc_u32_e32 v16, 1, v16
	s_andn2_b32 s75, s75, exec_lo
	s_andn2_b32 s74, s74, exec_lo
	v_cmp_ge_i32_e32 vcc_lo, v16, v31
	s_and_b32 s77, vcc_lo, exec_lo
	s_or_b32 s75, s75, s77
	s_branch .LBB13_52
.LBB13_55:                              ;   in Loop: Header=BB13_14 Depth=3
	s_inst_prefetch 0x2
	s_or_b32 exec_lo, exec_lo, s72
	s_and_saveexec_b32 s72, s73
	s_xor_b32 s72, exec_lo, s72
	s_cbranch_execz .LBB13_60
; %bb.56:                               ;   in Loop: Header=BB13_14 Depth=3
	v_add_co_u32 v16, vcc_lo, s50, v12
	v_add_co_ci_u32_e64 v17, null, s51, v13, vcc_lo
	s_andn2_b32 vcc_lo, exec_lo, s54
	global_store_dword v[16:17], v15, off
	s_cbranch_vccnz .LBB13_60
; %bb.57:                               ;   in Loop: Header=BB13_14 Depth=3
	v_add_co_u32 v12, vcc_lo, s26, v12
	v_add_co_ci_u32_e64 v13, null, s27, v13, vcc_lo
	global_load_dword v12, v[12:13], off
	s_waitcnt vmcnt(0)
	v_sub_f32_e32 v12, v12, v15
	v_cmp_class_f32_e64 s74, v12, 0x1f8
	s_and_saveexec_b32 s73, s74
; %bb.58:                               ;   in Loop: Header=BB13_14 Depth=3
	v_cmp_lt_f32_e64 s74, v24, |v12|
	v_cndmask_b32_e64 v24, v24, |v12|, s74
; %bb.59:                               ;   in Loop: Header=BB13_14 Depth=3
	s_or_b32 exec_lo, exec_lo, s73
.LBB13_60:                              ;   in Loop: Header=BB13_14 Depth=3
	s_or_b32 exec_lo, exec_lo, s72
.LBB13_61:                              ;   in Loop: Header=BB13_14 Depth=3
	s_or_b32 exec_lo, exec_lo, s71
.LBB13_62:                              ;   in Loop: Header=BB13_14 Depth=3
	s_or_b32 exec_lo, exec_lo, s10
	s_or_b32 exec_lo, exec_lo, s70
	s_and_b32 s69, s33, s69
	s_and_saveexec_b32 s10, s69
	s_cbranch_execz .LBB13_13
.LBB13_63:                              ;   in Loop: Header=BB13_14 Depth=3
	s_mov_b32 s69, exec_lo
	v_cmpx_ge_i32_e64 v11, v36
	s_xor_b32 s69, exec_lo, s69
	s_cbranch_execnz .LBB13_69
; %bb.64:                               ;   in Loop: Header=BB13_14 Depth=3
	s_andn2_saveexec_b32 s69, s69
	s_cbranch_execnz .LBB13_78
.LBB13_65:                              ;   in Loop: Header=BB13_14 Depth=3
	s_or_b32 exec_lo, exec_lo, s69
	s_mov_b32 s69, exec_lo
	v_cmpx_eq_u32_e64 v3, v9
	s_cbranch_execz .LBB13_67
.LBB13_66:                              ;   in Loop: Header=BB13_14 Depth=3
	v_add_co_u32 v7, vcc_lo, s44, v7
	v_add_co_ci_u32_e64 v8, null, s45, v8, vcc_lo
	global_load_dword v1, v[7:8], off
	s_waitcnt vmcnt(0)
	v_add_f32_e32 v5, v5, v1
.LBB13_67:                              ;   in Loop: Header=BB13_14 Depth=3
	s_or_b32 exec_lo, exec_lo, s69
	v_sub_f32_e32 v1, v14, v5
	v_cmp_class_f32_e64 s70, v1, 0x1f8
	s_and_saveexec_b32 s69, s70
	s_cbranch_execz .LBB13_12
; %bb.68:                               ;   in Loop: Header=BB13_14 Depth=3
	v_cmp_lt_f32_e64 s70, v20, |v1|
	v_cndmask_b32_e64 v20, v20, |v1|, s70
	s_branch .LBB13_12
.LBB13_69:                              ;   in Loop: Header=BB13_14 Depth=3
	s_mov_b32 s70, exec_lo
	v_cmpx_lt_i32_e64 v1, v31
	s_cbranch_execz .LBB13_77
; %bb.70:                               ;   in Loop: Header=BB13_14 Depth=3
	s_mov_b32 s71, 0
                                        ; implicit-def: $sgpr72
                                        ; implicit-def: $sgpr74
                                        ; implicit-def: $sgpr73
	s_inst_prefetch 0x1
	s_branch .LBB13_72
	.p2align	6
.LBB13_71:                              ;   in Loop: Header=BB13_72 Depth=4
	s_or_b32 exec_lo, exec_lo, s75
	s_and_b32 s75, exec_lo, s74
	s_or_b32 s71, s75, s71
	s_andn2_b32 s72, s72, exec_lo
	s_and_b32 s75, s73, exec_lo
	s_or_b32 s72, s72, s75
	s_andn2_b32 exec_lo, exec_lo, s71
	s_cbranch_execz .LBB13_74
.LBB13_72:                              ;   Parent Loop BB13_5 Depth=1
                                        ;     Parent Loop BB13_9 Depth=2
                                        ;       Parent Loop BB13_14 Depth=3
                                        ; =>      This Inner Loop Header: Depth=4
	v_add_nc_u32_e32 v10, v6, v1
	s_or_b32 s73, s73, exec_lo
	s_or_b32 s74, s74, exec_lo
	s_mov_b32 s75, exec_lo
	v_ashrrev_i32_e32 v11, 31, v10
	v_lshlrev_b64 v[10:11], 2, v[10:11]
	v_add_co_u32 v12, vcc_lo, s24, v10
	v_add_co_ci_u32_e64 v13, null, s25, v11, vcc_lo
	global_load_dword v12, v[12:13], off
	s_waitcnt vmcnt(0)
	v_subrev_nc_u32_e32 v12, s59, v12
	v_cmpx_ne_u32_e64 v12, v9
	s_cbranch_execz .LBB13_71
; %bb.73:                               ;   in Loop: Header=BB13_72 Depth=4
	v_add_nc_u32_e32 v1, 1, v1
	s_andn2_b32 s74, s74, exec_lo
	s_andn2_b32 s73, s73, exec_lo
	v_cmp_ge_i32_e32 vcc_lo, v1, v31
	s_and_b32 s76, vcc_lo, exec_lo
	s_or_b32 s74, s74, s76
	s_branch .LBB13_71
.LBB13_74:                              ;   in Loop: Header=BB13_14 Depth=3
	s_inst_prefetch 0x2
	s_or_b32 exec_lo, exec_lo, s71
	s_and_saveexec_b32 s71, s72
	s_xor_b32 s71, exec_lo, s71
	s_cbranch_execz .LBB13_76
; %bb.75:                               ;   in Loop: Header=BB13_14 Depth=3
	v_add_co_u32 v10, vcc_lo, s26, v10
	v_add_co_ci_u32_e64 v11, null, s27, v11, vcc_lo
	v_add_co_u32 v12, vcc_lo, s44, v7
	v_add_co_ci_u32_e64 v13, null, s45, v8, vcc_lo
	global_load_dword v1, v[10:11], off
	global_load_dword v10, v[12:13], off
	s_waitcnt vmcnt(0)
	v_fmac_f32_e32 v5, v1, v10
.LBB13_76:                              ;   in Loop: Header=BB13_14 Depth=3
	s_or_b32 exec_lo, exec_lo, s71
.LBB13_77:                              ;   in Loop: Header=BB13_14 Depth=3
	s_or_b32 exec_lo, exec_lo, s70
                                        ; implicit-def: $vgpr11
                                        ; implicit-def: $vgpr10
                                        ; implicit-def: $vgpr36
	s_andn2_saveexec_b32 s69, s69
	s_cbranch_execz .LBB13_65
.LBB13_78:                              ;   in Loop: Header=BB13_14 Depth=3
	s_mov_b32 s70, 0
                                        ; implicit-def: $sgpr71
                                        ; implicit-def: $sgpr73
                                        ; implicit-def: $sgpr72
	s_inst_prefetch 0x1
	s_branch .LBB13_80
	.p2align	6
.LBB13_79:                              ;   in Loop: Header=BB13_80 Depth=4
	s_or_b32 exec_lo, exec_lo, s74
	s_and_b32 s74, exec_lo, s73
	s_or_b32 s70, s74, s70
	s_andn2_b32 s71, s71, exec_lo
	s_and_b32 s74, s72, exec_lo
	s_or_b32 s71, s71, s74
	s_andn2_b32 exec_lo, exec_lo, s70
	s_cbranch_execz .LBB13_82
.LBB13_80:                              ;   Parent Loop BB13_5 Depth=1
                                        ;     Parent Loop BB13_9 Depth=2
                                        ;       Parent Loop BB13_14 Depth=3
                                        ; =>      This Inner Loop Header: Depth=4
	v_add_nc_u32_e32 v12, v10, v11
	s_or_b32 s72, s72, exec_lo
	s_or_b32 s73, s73, exec_lo
	s_mov_b32 s74, exec_lo
	v_ashrrev_i32_e32 v13, 31, v12
	v_lshlrev_b64 v[12:13], 2, v[12:13]
	v_add_co_u32 v15, vcc_lo, s16, v12
	v_add_co_ci_u32_e64 v16, null, s17, v13, vcc_lo
	global_load_dword v1, v[15:16], off
	s_waitcnt vmcnt(0)
	v_subrev_nc_u32_e32 v1, s60, v1
	v_cmpx_ne_u32_e64 v1, v3
	s_cbranch_execz .LBB13_79
; %bb.81:                               ;   in Loop: Header=BB13_80 Depth=4
	v_add_nc_u32_e32 v11, 1, v11
	s_andn2_b32 s73, s73, exec_lo
	s_andn2_b32 s72, s72, exec_lo
	v_cmp_ge_i32_e32 vcc_lo, v11, v36
	s_and_b32 s75, vcc_lo, exec_lo
	s_or_b32 s73, s73, s75
	s_branch .LBB13_79
.LBB13_82:                              ;   in Loop: Header=BB13_14 Depth=3
	s_inst_prefetch 0x2
	s_or_b32 exec_lo, exec_lo, s70
	s_and_saveexec_b32 s70, s71
	s_xor_b32 s70, exec_lo, s70
	s_cbranch_execz .LBB13_84
; %bb.83:                               ;   in Loop: Header=BB13_14 Depth=3
	v_add_co_u32 v10, vcc_lo, s18, v12
	v_add_co_ci_u32_e64 v11, null, s19, v13, vcc_lo
	global_load_dword v1, v[10:11], off
	s_waitcnt vmcnt(0)
	v_add_f32_e32 v5, v5, v1
.LBB13_84:                              ;   in Loop: Header=BB13_14 Depth=3
	s_or_b32 exec_lo, exec_lo, s70
	s_or_b32 exec_lo, exec_lo, s69
	s_mov_b32 s69, exec_lo
	v_cmpx_eq_u32_e64 v3, v9
	s_cbranch_execnz .LBB13_66
	s_branch .LBB13_67
.LBB13_85:                              ;   in Loop: Header=BB13_5 Depth=1
	v_or_b32_e32 v7, 32, v23
	v_xor_b32_e32 v6, 16, v23
	v_xor_b32_e32 v5, 8, v23
	;; [unrolled: 1-line block ×5, first 2 shown]
	s_and_b32 vcc_lo, exec_lo, s54
	s_cbranch_vccnz .LBB13_88
; %bb.86:                               ;   in Loop: Header=BB13_5 Depth=1
	s_andn2_b32 vcc_lo, exec_lo, s33
	s_cbranch_vccz .LBB13_99
.LBB13_87:                              ;   in Loop: Header=BB13_5 Depth=1
	s_and_saveexec_b32 s10, s7
	s_cbranch_execnz .LBB13_110
	s_branch .LBB13_121
.LBB13_88:                              ;   in Loop: Header=BB13_5 Depth=1
	v_cmp_gt_i32_e32 vcc_lo, 32, v7
	v_cndmask_b32_e32 v8, v23, v7, vcc_lo
	v_cmp_gt_i32_e32 vcc_lo, 32, v6
	v_lshlrev_b32_e32 v8, 2, v8
	v_cndmask_b32_e32 v9, v23, v6, vcc_lo
	ds_bpermute_b32 v8, v8, v24
	v_lshlrev_b32_e32 v9, 2, v9
	s_waitcnt lgkmcnt(0)
	v_cmp_lt_f32_e32 vcc_lo, v24, v8
	v_cndmask_b32_e32 v8, v24, v8, vcc_lo
	v_cmp_gt_i32_e32 vcc_lo, 32, v5
	ds_bpermute_b32 v9, v9, v8
	v_cndmask_b32_e32 v10, v23, v5, vcc_lo
	v_lshlrev_b32_e32 v10, 2, v10
	s_waitcnt lgkmcnt(0)
	v_cmp_lt_f32_e32 vcc_lo, v8, v9
	v_cndmask_b32_e32 v8, v8, v9, vcc_lo
	v_cmp_gt_i32_e32 vcc_lo, 32, v4
	ds_bpermute_b32 v9, v10, v8
	v_cndmask_b32_e32 v10, v23, v4, vcc_lo
	;; [unrolled: 7-line block ×4, first 2 shown]
	s_waitcnt lgkmcnt(0)
	v_cmp_lt_f32_e32 vcc_lo, v8, v9
	v_cndmask_b32_e32 v8, v8, v9, vcc_lo
	v_lshlrev_b32_e32 v9, 2, v10
	ds_bpermute_b32 v9, v9, v8
	s_and_saveexec_b32 s9, s0
	s_cbranch_execz .LBB13_90
; %bb.89:                               ;   in Loop: Header=BB13_5 Depth=1
	s_waitcnt lgkmcnt(0)
	v_cmp_lt_f32_e32 vcc_lo, v8, v9
	v_cndmask_b32_e32 v8, v8, v9, vcc_lo
	ds_write_b32 v26, v8
.LBB13_90:                              ;   in Loop: Header=BB13_5 Depth=1
	s_or_b32 exec_lo, exec_lo, s9
	s_waitcnt lgkmcnt(0)
	s_waitcnt_vscnt null, 0x0
	s_barrier
	buffer_gl0_inv
	s_and_saveexec_b32 s9, s1
	s_cbranch_execz .LBB13_92
; %bb.91:                               ;   in Loop: Header=BB13_5 Depth=1
	ds_read2_b32 v[8:9], v19 offset1:8
	s_waitcnt lgkmcnt(0)
	v_cmp_lt_f32_e32 vcc_lo, v8, v9
	v_cndmask_b32_e32 v8, v8, v9, vcc_lo
	ds_write_b32 v19, v8
.LBB13_92:                              ;   in Loop: Header=BB13_5 Depth=1
	s_or_b32 exec_lo, exec_lo, s9
	s_waitcnt lgkmcnt(0)
	s_barrier
	buffer_gl0_inv
	s_and_saveexec_b32 s9, s2
	s_cbranch_execz .LBB13_94
; %bb.93:                               ;   in Loop: Header=BB13_5 Depth=1
	ds_read2_b32 v[8:9], v19 offset1:4
	s_waitcnt lgkmcnt(0)
	v_cmp_lt_f32_e32 vcc_lo, v8, v9
	v_cndmask_b32_e32 v8, v8, v9, vcc_lo
	ds_write_b32 v19, v8
.LBB13_94:                              ;   in Loop: Header=BB13_5 Depth=1
	s_or_b32 exec_lo, exec_lo, s9
	s_waitcnt lgkmcnt(0)
	;; [unrolled: 13-line block ×3, first 2 shown]
	s_barrier
	buffer_gl0_inv
	s_and_saveexec_b32 s9, s6
	s_cbranch_execz .LBB13_98
; %bb.97:                               ;   in Loop: Header=BB13_5 Depth=1
	ds_read_b64 v[8:9], v2
	s_waitcnt lgkmcnt(0)
	v_cmp_lt_f32_e32 vcc_lo, v8, v9
	v_cndmask_b32_e32 v8, v8, v9, vcc_lo
	ds_write_b32 v2, v8
.LBB13_98:                              ;   in Loop: Header=BB13_5 Depth=1
	s_or_b32 exec_lo, exec_lo, s9
	s_waitcnt lgkmcnt(0)
	s_barrier
	buffer_gl0_inv
	ds_read_b32 v8, v2
	s_load_dword s9, s[52:53], 0x0
	s_waitcnt lgkmcnt(0)
	v_div_scale_f32 v9, null, s9, s9, v8
	v_rcp_f32_e32 v10, v9
	v_fma_f32 v11, -v9, v10, 1.0
	v_fmac_f32_e32 v10, v11, v10
	v_div_scale_f32 v11, vcc_lo, v8, s9, v8
	v_mul_f32_e32 v12, v11, v10
	v_fma_f32 v13, -v9, v12, v11
	v_fmac_f32_e32 v12, v13, v10
	v_fma_f32 v9, -v9, v12, v11
	v_div_fmas_f32 v9, v9, v10, v12
	v_div_fixup_f32 v24, v9, s9, v8
	s_andn2_b32 vcc_lo, exec_lo, s33
	s_cbranch_vccnz .LBB13_87
.LBB13_99:                              ;   in Loop: Header=BB13_5 Depth=1
	v_cmp_gt_i32_e32 vcc_lo, 32, v7
	v_cndmask_b32_e32 v7, v23, v7, vcc_lo
	v_cmp_gt_i32_e32 vcc_lo, 32, v6
	v_lshlrev_b32_e32 v7, 2, v7
	v_cndmask_b32_e32 v6, v23, v6, vcc_lo
	ds_bpermute_b32 v7, v7, v20
	v_lshlrev_b32_e32 v6, 2, v6
	s_waitcnt lgkmcnt(0)
	v_cmp_lt_f32_e32 vcc_lo, v20, v7
	v_cndmask_b32_e32 v7, v20, v7, vcc_lo
	v_cmp_gt_i32_e32 vcc_lo, 32, v5
	ds_bpermute_b32 v6, v6, v7
	v_cndmask_b32_e32 v5, v23, v5, vcc_lo
	v_lshlrev_b32_e32 v5, 2, v5
	s_waitcnt lgkmcnt(0)
	v_cmp_lt_f32_e32 vcc_lo, v7, v6
	v_cndmask_b32_e32 v6, v7, v6, vcc_lo
	v_cmp_gt_i32_e32 vcc_lo, 32, v4
	ds_bpermute_b32 v5, v5, v6
	v_cndmask_b32_e32 v4, v23, v4, vcc_lo
	;; [unrolled: 7-line block ×4, first 2 shown]
	s_waitcnt lgkmcnt(0)
	v_cmp_lt_f32_e32 vcc_lo, v4, v3
	v_cndmask_b32_e32 v1, v4, v3, vcc_lo
	v_lshlrev_b32_e32 v3, 2, v5
	ds_bpermute_b32 v3, v3, v1
	s_and_saveexec_b32 s9, s0
	s_cbranch_execz .LBB13_101
; %bb.100:                              ;   in Loop: Header=BB13_5 Depth=1
	s_waitcnt lgkmcnt(0)
	v_cmp_lt_f32_e32 vcc_lo, v1, v3
	v_cndmask_b32_e32 v1, v1, v3, vcc_lo
	ds_write_b32 v26, v1
.LBB13_101:                             ;   in Loop: Header=BB13_5 Depth=1
	s_or_b32 exec_lo, exec_lo, s9
	s_waitcnt lgkmcnt(0)
	s_waitcnt_vscnt null, 0x0
	s_barrier
	buffer_gl0_inv
	s_and_saveexec_b32 s9, s1
	s_cbranch_execz .LBB13_103
; %bb.102:                              ;   in Loop: Header=BB13_5 Depth=1
	ds_read2_b32 v[3:4], v19 offset1:8
	s_waitcnt lgkmcnt(0)
	v_cmp_lt_f32_e32 vcc_lo, v3, v4
	v_cndmask_b32_e32 v1, v3, v4, vcc_lo
	ds_write_b32 v19, v1
.LBB13_103:                             ;   in Loop: Header=BB13_5 Depth=1
	s_or_b32 exec_lo, exec_lo, s9
	s_waitcnt lgkmcnt(0)
	s_barrier
	buffer_gl0_inv
	s_and_saveexec_b32 s9, s2
	s_cbranch_execz .LBB13_105
; %bb.104:                              ;   in Loop: Header=BB13_5 Depth=1
	ds_read2_b32 v[3:4], v19 offset1:4
	s_waitcnt lgkmcnt(0)
	v_cmp_lt_f32_e32 vcc_lo, v3, v4
	v_cndmask_b32_e32 v1, v3, v4, vcc_lo
	ds_write_b32 v19, v1
.LBB13_105:                             ;   in Loop: Header=BB13_5 Depth=1
	s_or_b32 exec_lo, exec_lo, s9
	s_waitcnt lgkmcnt(0)
	;; [unrolled: 13-line block ×3, first 2 shown]
	s_barrier
	buffer_gl0_inv
	s_and_saveexec_b32 s9, s6
	s_cbranch_execz .LBB13_109
; %bb.108:                              ;   in Loop: Header=BB13_5 Depth=1
	ds_read_b64 v[3:4], v2
	s_waitcnt lgkmcnt(0)
	v_cmp_lt_f32_e32 vcc_lo, v3, v4
	v_cndmask_b32_e32 v1, v3, v4, vcc_lo
	ds_write_b32 v2, v1
.LBB13_109:                             ;   in Loop: Header=BB13_5 Depth=1
	s_or_b32 exec_lo, exec_lo, s9
	s_waitcnt lgkmcnt(0)
	s_barrier
	buffer_gl0_inv
	ds_read_b32 v1, v2
	s_load_dword s9, s[52:53], 0x0
	s_waitcnt lgkmcnt(0)
	v_div_scale_f32 v3, null, s9, s9, v1
	v_rcp_f32_e32 v4, v3
	v_fma_f32 v5, -v3, v4, 1.0
	v_fmac_f32_e32 v4, v5, v4
	v_div_scale_f32 v5, vcc_lo, v1, s9, v1
	v_mul_f32_e32 v6, v5, v4
	v_fma_f32 v7, -v3, v6, v5
	v_fmac_f32_e32 v6, v7, v4
	v_fma_f32 v3, -v3, v6, v5
	v_div_fmas_f32 v3, v3, v4, v6
	v_div_fixup_f32 v20, v3, s9, v1
	s_and_saveexec_b32 s10, s7
	s_cbranch_execz .LBB13_121
.LBB13_110:                             ;   in Loop: Header=BB13_5 Depth=1
	v_mov_b32_e32 v3, v25
	s_mov_b32 s65, 0
	s_branch .LBB13_112
.LBB13_111:                             ;   in Loop: Header=BB13_112 Depth=2
	s_or_b32 exec_lo, exec_lo, s66
	v_add_nc_u32_e32 v3, 16, v3
	v_cmp_le_u32_e32 vcc_lo, s61, v3
	s_or_b32 s65, vcc_lo, s65
	s_andn2_b32 exec_lo, exec_lo, s65
	s_cbranch_execz .LBB13_121
.LBB13_112:                             ;   Parent Loop BB13_5 Depth=1
                                        ; =>  This Loop Header: Depth=2
                                        ;       Child Loop BB13_115 Depth 3
                                        ;       Child Loop BB13_118 Depth 3
	s_mov_b32 s66, exec_lo
	v_cmpx_gt_i32_e64 s35, v3
	s_cbranch_execz .LBB13_111
; %bb.113:                              ;   in Loop: Header=BB13_112 Depth=2
	v_ashrrev_i32_e32 v4, 31, v3
	s_mov_b32 s67, exec_lo
	v_lshlrev_b64 v[4:5], 2, v[3:4]
	v_add_co_u32 v6, vcc_lo, s20, v4
	v_add_co_ci_u32_e64 v7, null, s21, v5, vcc_lo
	v_add_co_u32 v8, vcc_lo, s22, v4
	v_add_co_ci_u32_e64 v9, null, s23, v5, vcc_lo
	global_load_dword v1, v[6:7], off
	global_load_dword v7, v[8:9], off
	s_waitcnt vmcnt(1)
	v_add_nc_u32_e32 v6, v28, v1
	s_waitcnt vmcnt(0)
	v_subrev_nc_u32_e32 v1, s59, v7
	v_cmpx_lt_i32_e64 v6, v1
	s_cbranch_execz .LBB13_116
; %bb.114:                              ;   in Loop: Header=BB13_112 Depth=2
	v_ashrrev_i32_e32 v7, 31, v6
	s_mov_b32 s68, 0
	v_lshlrev_b64 v[9:10], 2, v[6:7]
	v_add_co_u32 v7, vcc_lo, s50, v9
	v_add_co_ci_u32_e64 v8, null, s51, v10, vcc_lo
	v_add_co_u32 v9, vcc_lo, s26, v9
	v_add_co_ci_u32_e64 v10, null, s27, v10, vcc_lo
	.p2align	6
.LBB13_115:                             ;   Parent Loop BB13_5 Depth=1
                                        ;     Parent Loop BB13_112 Depth=2
                                        ; =>    This Inner Loop Header: Depth=3
	global_load_dword v11, v[7:8], off
	v_add_nc_u32_e32 v6, 64, v6
	v_add_co_u32 v7, vcc_lo, 0x100, v7
	v_add_co_ci_u32_e64 v8, null, 0, v8, vcc_lo
	v_cmp_ge_i32_e32 vcc_lo, v6, v1
	s_or_b32 s68, vcc_lo, s68
	s_waitcnt vmcnt(0)
	global_store_dword v[9:10], v11, off
	v_add_co_u32 v9, s9, 0x100, v9
	v_add_co_ci_u32_e64 v10, null, 0, v10, s9
	s_andn2_b32 exec_lo, exec_lo, s68
	s_cbranch_execnz .LBB13_115
.LBB13_116:                             ;   in Loop: Header=BB13_112 Depth=2
	s_or_b32 exec_lo, exec_lo, s67
	v_add_co_u32 v6, vcc_lo, s12, v4
	v_add_co_ci_u32_e64 v7, null, s13, v5, vcc_lo
	v_add_co_u32 v8, vcc_lo, s14, v4
	v_add_co_ci_u32_e64 v9, null, s15, v5, vcc_lo
	global_load_dword v1, v[6:7], off
	global_load_dword v7, v[8:9], off
	s_mov_b32 s67, exec_lo
	s_waitcnt vmcnt(1)
	v_add_nc_u32_e32 v6, v29, v1
	s_waitcnt vmcnt(0)
	v_subrev_nc_u32_e32 v1, s60, v7
	v_cmpx_lt_i32_e64 v6, v1
	s_cbranch_execz .LBB13_119
; %bb.117:                              ;   in Loop: Header=BB13_112 Depth=2
	v_ashrrev_i32_e32 v7, 31, v6
	s_mov_b32 s68, 0
	v_lshlrev_b64 v[9:10], 2, v[6:7]
	v_add_co_u32 v7, vcc_lo, s48, v9
	v_add_co_ci_u32_e64 v8, null, s49, v10, vcc_lo
	v_add_co_u32 v9, vcc_lo, s18, v9
	v_add_co_ci_u32_e64 v10, null, s19, v10, vcc_lo
	.p2align	6
.LBB13_118:                             ;   Parent Loop BB13_5 Depth=1
                                        ;     Parent Loop BB13_112 Depth=2
                                        ; =>    This Inner Loop Header: Depth=3
	global_load_dword v11, v[7:8], off
	v_add_nc_u32_e32 v6, 64, v6
	v_add_co_u32 v7, vcc_lo, 0x100, v7
	v_add_co_ci_u32_e64 v8, null, 0, v8, vcc_lo
	v_cmp_ge_i32_e32 vcc_lo, v6, v1
	s_or_b32 s68, vcc_lo, s68
	s_waitcnt vmcnt(0)
	global_store_dword v[9:10], v11, off
	v_add_co_u32 v9, s9, 0x100, v9
	v_add_co_ci_u32_e64 v10, null, 0, v10, s9
	s_andn2_b32 exec_lo, exec_lo, s68
	s_cbranch_execnz .LBB13_118
.LBB13_119:                             ;   in Loop: Header=BB13_112 Depth=2
	s_or_b32 exec_lo, exec_lo, s67
	s_and_b32 exec_lo, exec_lo, s8
	s_cbranch_execz .LBB13_111
; %bb.120:                              ;   in Loop: Header=BB13_112 Depth=2
	v_add_co_u32 v6, vcc_lo, s46, v4
	v_add_co_ci_u32_e64 v7, null, s47, v5, vcc_lo
	v_add_co_u32 v4, vcc_lo, s44, v4
	v_add_co_ci_u32_e64 v5, null, s45, v5, vcc_lo
	global_load_dword v1, v[6:7], off
	s_waitcnt vmcnt(0)
	global_store_dword v[4:5], v1, off
	s_branch .LBB13_111
.LBB13_121:                             ;   in Loop: Header=BB13_5 Depth=1
	s_or_b32 exec_lo, exec_lo, s10
	s_mov_b32 s10, -1
	s_and_b32 vcc_lo, exec_lo, s55
	s_mov_b32 s65, -1
	s_cbranch_vccz .LBB13_131
; %bb.122:                              ;   in Loop: Header=BB13_5 Depth=1
	s_and_b32 vcc_lo, exec_lo, s63
	s_mov_b32 s9, -1
                                        ; implicit-def: $sgpr65
	s_cbranch_vccz .LBB13_128
; %bb.123:                              ;   in Loop: Header=BB13_5 Depth=1
	s_and_b32 vcc_lo, exec_lo, s62
                                        ; implicit-def: $sgpr65
	s_cbranch_vccz .LBB13_125
; %bb.124:                              ;   in Loop: Header=BB13_5 Depth=1
	v_cmp_ge_f32_e64 s65, s34, v20
	s_mov_b32 s9, 0
.LBB13_125:                             ;   in Loop: Header=BB13_5 Depth=1
	s_andn2_b32 vcc_lo, exec_lo, s9
	s_cbranch_vccnz .LBB13_127
; %bb.126:                              ;   in Loop: Header=BB13_5 Depth=1
	v_cmp_ge_f32_e32 vcc_lo, s34, v24
	s_andn2_b32 s9, s65, exec_lo
	s_and_b32 s65, vcc_lo, exec_lo
	s_or_b32 s65, s9, s65
.LBB13_127:                             ;   in Loop: Header=BB13_5 Depth=1
	s_mov_b32 s9, 0
.LBB13_128:                             ;   in Loop: Header=BB13_5 Depth=1
	s_andn2_b32 vcc_lo, exec_lo, s9
	s_cbranch_vccnz .LBB13_130
; %bb.129:                              ;   in Loop: Header=BB13_5 Depth=1
	v_cmp_ge_f32_e32 vcc_lo, s34, v24
	v_cmp_ge_f32_e64 s9, s34, v20
	s_andn2_b32 s65, s65, exec_lo
	s_and_b32 s9, vcc_lo, s9
	s_and_b32 s9, s9, exec_lo
	s_or_b32 s65, s65, s9
.LBB13_130:                             ;   in Loop: Header=BB13_5 Depth=1
	s_xor_b32 s65, s65, -1
.LBB13_131:                             ;   in Loop: Header=BB13_5 Depth=1
	v_mov_b32_e32 v1, s64
	s_and_saveexec_b32 s9, s65
	s_cbranch_execz .LBB13_4
; %bb.132:                              ;   in Loop: Header=BB13_5 Depth=1
	s_add_i32 s64, s64, 1
	v_mov_b32_e32 v1, s11
	s_cmp_eq_u32 s64, s11
	s_cselect_b32 s10, -1, 0
	s_orn2_b32 s10, s10, exec_lo
	s_branch .LBB13_4
.LBB13_133:
	s_or_b32 exec_lo, exec_lo, s56
	s_or_b32 exec_lo, exec_lo, s57
	s_andn2_b32 vcc_lo, exec_lo, s55
	s_cbranch_vccnz .LBB13_2
.LBB13_134:
	v_or_b32_e32 v2, 32, v23
	v_xor_b32_e32 v3, 16, v23
	s_mov_b32 s0, exec_lo
	v_cmp_gt_i32_e32 vcc_lo, 32, v2
	v_cndmask_b32_e32 v2, v23, v2, vcc_lo
	v_cmp_gt_i32_e32 vcc_lo, 32, v3
	v_lshlrev_b32_e32 v2, 2, v2
	v_cndmask_b32_e32 v3, v23, v3, vcc_lo
	ds_bpermute_b32 v2, v2, v1
	v_lshlrev_b32_e32 v3, 2, v3
	s_waitcnt lgkmcnt(0)
	v_max_i32_e32 v1, v1, v2
	ds_bpermute_b32 v2, v3, v1
	v_xor_b32_e32 v3, 8, v23
	v_cmp_gt_i32_e32 vcc_lo, 32, v3
	v_cndmask_b32_e32 v3, v23, v3, vcc_lo
	v_lshlrev_b32_e32 v3, 2, v3
	s_waitcnt lgkmcnt(0)
	v_max_i32_e32 v1, v1, v2
	ds_bpermute_b32 v2, v3, v1
	v_xor_b32_e32 v3, 4, v23
	v_cmp_gt_i32_e32 vcc_lo, 32, v3
	v_cndmask_b32_e32 v3, v23, v3, vcc_lo
	;; [unrolled: 7-line block ×4, first 2 shown]
	s_waitcnt lgkmcnt(0)
	v_max_i32_e32 v1, v1, v2
	v_lshlrev_b32_e32 v2, 2, v3
	ds_bpermute_b32 v2, v2, v1
	v_cmpx_eq_u32_e32 63, v22
	s_cbranch_execz .LBB13_136
; %bb.135:
	v_lshlrev_b32_e32 v3, 2, v21
	s_waitcnt lgkmcnt(0)
	v_max_i32_e32 v1, v1, v2
	ds_write_b32 v3, v1 offset:64
.LBB13_136:
	s_or_b32 exec_lo, exec_lo, s0
	s_mov_b32 s0, exec_lo
	s_waitcnt lgkmcnt(0)
	s_waitcnt_vscnt null, 0x0
	s_barrier
	buffer_gl0_inv
	v_cmpx_gt_u32_e32 8, v0
	s_cbranch_execz .LBB13_138
; %bb.137:
	ds_read2_b32 v[1:2], v19 offset0:16 offset1:24
	s_waitcnt lgkmcnt(0)
	v_max_i32_e32 v1, v1, v2
	ds_write_b32 v19, v1 offset:64
.LBB13_138:
	s_or_b32 exec_lo, exec_lo, s0
	s_mov_b32 s0, exec_lo
	s_waitcnt lgkmcnt(0)
	s_barrier
	buffer_gl0_inv
	v_cmpx_gt_u32_e32 4, v0
	s_cbranch_execz .LBB13_140
; %bb.139:
	ds_read2_b32 v[1:2], v19 offset0:16 offset1:20
	s_waitcnt lgkmcnt(0)
	v_max_i32_e32 v1, v1, v2
	ds_write_b32 v19, v1 offset:64
.LBB13_140:
	s_or_b32 exec_lo, exec_lo, s0
	s_mov_b32 s0, exec_lo
	s_waitcnt lgkmcnt(0)
	s_barrier
	buffer_gl0_inv
	v_cmpx_gt_u32_e32 2, v0
	s_cbranch_execz .LBB13_142
; %bb.141:
	ds_read2_b32 v[1:2], v19 offset0:16 offset1:18
	s_waitcnt lgkmcnt(0)
	v_max_i32_e32 v1, v1, v2
	ds_write_b32 v19, v1 offset:64
.LBB13_142:
	s_or_b32 exec_lo, exec_lo, s0
	v_cmp_eq_u32_e32 vcc_lo, 0, v0
	s_waitcnt lgkmcnt(0)
	s_barrier
	buffer_gl0_inv
	s_and_saveexec_b32 s0, vcc_lo
	s_cbranch_execz .LBB13_144
; %bb.143:
	v_mov_b32_e32 v3, 0
	ds_read_b64 v[1:2], v3 offset:64
	s_waitcnt lgkmcnt(0)
	v_max_i32_e32 v1, v1, v2
	ds_write_b32 v3, v1 offset:64
.LBB13_144:
	s_or_b32 exec_lo, exec_lo, s0
	s_waitcnt lgkmcnt(0)
	s_barrier
	buffer_gl0_inv
	s_and_saveexec_b32 s0, vcc_lo
	s_cbranch_execz .LBB13_147
; %bb.145:
	v_mbcnt_lo_u32_b32 v1, exec_lo, 0
	v_cmp_eq_u32_e32 vcc_lo, 0, v1
	s_and_b32 exec_lo, exec_lo, vcc_lo
	s_cbranch_execz .LBB13_147
; %bb.146:
	v_mov_b32_e32 v1, 0
	s_load_dwordx2 s[2:3], s[4:5], 0x8
	ds_read_b32 v2, v1 offset:64
	s_waitcnt lgkmcnt(0)
	v_add_nc_u32_e32 v2, 1, v2
	global_atomic_smax v1, v2, s[2:3]
.LBB13_147:
	s_or_b32 exec_lo, exec_lo, s0
	v_cmp_eq_u32_e32 vcc_lo, 0, v0
	s_and_b32 s0, vcc_lo, s54
	s_and_saveexec_b32 s1, s0
	s_cbranch_execz .LBB13_154
.LBB13_148:
	v_mov_b32_e32 v0, 0x7fc00000
	s_mov_b32 s0, exec_lo
.LBB13_149:                             ; =>This Inner Loop Header: Depth=1
	s_ff1_i32_b32 s2, s0
	v_max_f32_e32 v0, v0, v0
	v_readlane_b32 s3, v24, s2
	s_lshl_b32 s2, 1, s2
	s_andn2_b32 s0, s0, s2
	s_cmp_lg_u32 s0, 0
	v_max_f32_e64 v1, s3, s3
	v_max_f32_e32 v0, v0, v1
	s_cbranch_scc1 .LBB13_149
; %bb.150:
	v_mbcnt_lo_u32_b32 v1, exec_lo, 0
	s_mov_b32 s2, 0
	s_mov_b32 s3, exec_lo
	v_cmpx_eq_u32_e32 0, v1
	s_xor_b32 s3, exec_lo, s3
	s_cbranch_execz .LBB13_154
; %bb.151:
	v_mov_b32_e32 v2, 0
	v_max_f32_e32 v3, v0, v0
	global_load_dword v1, v2, s[28:29]
.LBB13_152:                             ; =>This Inner Loop Header: Depth=1
	s_waitcnt vmcnt(0)
	v_max_f32_e32 v0, v1, v1
	v_max_f32_e32 v0, v0, v3
	global_atomic_cmpswap v0, v2, v[0:1], s[28:29] glc
	s_waitcnt vmcnt(0)
	v_cmp_eq_u32_e64 s0, v0, v1
	v_mov_b32_e32 v1, v0
	s_or_b32 s2, s0, s2
	s_andn2_b32 exec_lo, exec_lo, s2
	s_cbranch_execnz .LBB13_152
; %bb.153:
	s_or_b32 exec_lo, exec_lo, s2
.LBB13_154:
	s_or_b32 exec_lo, exec_lo, s1
	s_and_b32 s0, vcc_lo, s33
	s_and_saveexec_b32 s1, s0
	s_cbranch_execz .LBB13_160
; %bb.155:
	v_mov_b32_e32 v0, 0x7fc00000
	s_mov_b32 s0, exec_lo
.LBB13_156:                             ; =>This Inner Loop Header: Depth=1
	s_ff1_i32_b32 s1, s0
	v_max_f32_e32 v0, v0, v0
	v_readlane_b32 s2, v20, s1
	s_lshl_b32 s1, 1, s1
	s_andn2_b32 s0, s0, s1
	s_cmp_lg_u32 s0, 0
	v_max_f32_e64 v1, s2, s2
	v_max_f32_e32 v0, v0, v1
	s_cbranch_scc1 .LBB13_156
; %bb.157:
	v_mbcnt_lo_u32_b32 v1, exec_lo, 0
	s_mov_b32 s0, 0
	s_mov_b32 s1, exec_lo
	v_cmpx_eq_u32_e32 0, v1
	s_xor_b32 s1, exec_lo, s1
	s_cbranch_execz .LBB13_160
; %bb.158:
	v_mov_b32_e32 v2, 0
	v_max_f32_e32 v3, v0, v0
	global_load_dword v1, v2, s[30:31]
.LBB13_159:                             ; =>This Inner Loop Header: Depth=1
	s_waitcnt vmcnt(0)
	v_max_f32_e32 v0, v1, v1
	v_max_f32_e32 v0, v0, v3
	global_atomic_cmpswap v0, v2, v[0:1], s[30:31] glc
	s_waitcnt vmcnt(0)
	v_cmp_eq_u32_e32 vcc_lo, v0, v1
	v_mov_b32_e32 v1, v0
	s_or_b32 s0, vcc_lo, s0
	s_andn2_b32 exec_lo, exec_lo, s0
	s_cbranch_execnz .LBB13_159
.LBB13_160:
	s_endpgm
	.section	.rodata,"a",@progbits
	.p2align	6, 0x0
	.amdhsa_kernel _ZN9rocsparseL6kernelILi1024ELi64EfiiEEvbbbT3_PS1_NS_15floating_traitsIT1_E6data_tES1_T2_PKS7_S9_PKS1_PKS4_21rocsparse_index_base_S9_S9_SB_PS4_SF_SE_S9_S9_SB_SF_SF_SE_SF_SF_PS6_SG_PKS6_
		.amdhsa_group_segment_fixed_size 128
		.amdhsa_private_segment_fixed_size 0
		.amdhsa_kernarg_size 208
		.amdhsa_user_sgpr_count 6
		.amdhsa_user_sgpr_private_segment_buffer 1
		.amdhsa_user_sgpr_dispatch_ptr 0
		.amdhsa_user_sgpr_queue_ptr 0
		.amdhsa_user_sgpr_kernarg_segment_ptr 1
		.amdhsa_user_sgpr_dispatch_id 0
		.amdhsa_user_sgpr_flat_scratch_init 0
		.amdhsa_user_sgpr_private_segment_size 0
		.amdhsa_wavefront_size32 1
		.amdhsa_uses_dynamic_stack 0
		.amdhsa_system_sgpr_private_segment_wavefront_offset 0
		.amdhsa_system_sgpr_workgroup_id_x 1
		.amdhsa_system_sgpr_workgroup_id_y 0
		.amdhsa_system_sgpr_workgroup_id_z 0
		.amdhsa_system_sgpr_workgroup_info 0
		.amdhsa_system_vgpr_workitem_id 0
		.amdhsa_next_free_vgpr 45
		.amdhsa_next_free_sgpr 79
		.amdhsa_reserve_vcc 1
		.amdhsa_reserve_flat_scratch 0
		.amdhsa_float_round_mode_32 0
		.amdhsa_float_round_mode_16_64 0
		.amdhsa_float_denorm_mode_32 3
		.amdhsa_float_denorm_mode_16_64 3
		.amdhsa_dx10_clamp 1
		.amdhsa_ieee_mode 1
		.amdhsa_fp16_overflow 0
		.amdhsa_workgroup_processor_mode 1
		.amdhsa_memory_ordered 1
		.amdhsa_forward_progress 1
		.amdhsa_shared_vgpr_count 0
		.amdhsa_exception_fp_ieee_invalid_op 0
		.amdhsa_exception_fp_denorm_src 0
		.amdhsa_exception_fp_ieee_div_zero 0
		.amdhsa_exception_fp_ieee_overflow 0
		.amdhsa_exception_fp_ieee_underflow 0
		.amdhsa_exception_fp_ieee_inexact 0
		.amdhsa_exception_int_div_zero 0
	.end_amdhsa_kernel
	.section	.text._ZN9rocsparseL6kernelILi1024ELi64EfiiEEvbbbT3_PS1_NS_15floating_traitsIT1_E6data_tES1_T2_PKS7_S9_PKS1_PKS4_21rocsparse_index_base_S9_S9_SB_PS4_SF_SE_S9_S9_SB_SF_SF_SE_SF_SF_PS6_SG_PKS6_,"axG",@progbits,_ZN9rocsparseL6kernelILi1024ELi64EfiiEEvbbbT3_PS1_NS_15floating_traitsIT1_E6data_tES1_T2_PKS7_S9_PKS1_PKS4_21rocsparse_index_base_S9_S9_SB_PS4_SF_SE_S9_S9_SB_SF_SF_SE_SF_SF_PS6_SG_PKS6_,comdat
.Lfunc_end13:
	.size	_ZN9rocsparseL6kernelILi1024ELi64EfiiEEvbbbT3_PS1_NS_15floating_traitsIT1_E6data_tES1_T2_PKS7_S9_PKS1_PKS4_21rocsparse_index_base_S9_S9_SB_PS4_SF_SE_S9_S9_SB_SF_SF_SE_SF_SF_PS6_SG_PKS6_, .Lfunc_end13-_ZN9rocsparseL6kernelILi1024ELi64EfiiEEvbbbT3_PS1_NS_15floating_traitsIT1_E6data_tES1_T2_PKS7_S9_PKS1_PKS4_21rocsparse_index_base_S9_S9_SB_PS4_SF_SE_S9_S9_SB_SF_SF_SE_SF_SF_PS6_SG_PKS6_
                                        ; -- End function
	.set _ZN9rocsparseL6kernelILi1024ELi64EfiiEEvbbbT3_PS1_NS_15floating_traitsIT1_E6data_tES1_T2_PKS7_S9_PKS1_PKS4_21rocsparse_index_base_S9_S9_SB_PS4_SF_SE_S9_S9_SB_SF_SF_SE_SF_SF_PS6_SG_PKS6_.num_vgpr, 45
	.set _ZN9rocsparseL6kernelILi1024ELi64EfiiEEvbbbT3_PS1_NS_15floating_traitsIT1_E6data_tES1_T2_PKS7_S9_PKS1_PKS4_21rocsparse_index_base_S9_S9_SB_PS4_SF_SE_S9_S9_SB_SF_SF_SE_SF_SF_PS6_SG_PKS6_.num_agpr, 0
	.set _ZN9rocsparseL6kernelILi1024ELi64EfiiEEvbbbT3_PS1_NS_15floating_traitsIT1_E6data_tES1_T2_PKS7_S9_PKS1_PKS4_21rocsparse_index_base_S9_S9_SB_PS4_SF_SE_S9_S9_SB_SF_SF_SE_SF_SF_PS6_SG_PKS6_.numbered_sgpr, 79
	.set _ZN9rocsparseL6kernelILi1024ELi64EfiiEEvbbbT3_PS1_NS_15floating_traitsIT1_E6data_tES1_T2_PKS7_S9_PKS1_PKS4_21rocsparse_index_base_S9_S9_SB_PS4_SF_SE_S9_S9_SB_SF_SF_SE_SF_SF_PS6_SG_PKS6_.num_named_barrier, 0
	.set _ZN9rocsparseL6kernelILi1024ELi64EfiiEEvbbbT3_PS1_NS_15floating_traitsIT1_E6data_tES1_T2_PKS7_S9_PKS1_PKS4_21rocsparse_index_base_S9_S9_SB_PS4_SF_SE_S9_S9_SB_SF_SF_SE_SF_SF_PS6_SG_PKS6_.private_seg_size, 0
	.set _ZN9rocsparseL6kernelILi1024ELi64EfiiEEvbbbT3_PS1_NS_15floating_traitsIT1_E6data_tES1_T2_PKS7_S9_PKS1_PKS4_21rocsparse_index_base_S9_S9_SB_PS4_SF_SE_S9_S9_SB_SF_SF_SE_SF_SF_PS6_SG_PKS6_.uses_vcc, 1
	.set _ZN9rocsparseL6kernelILi1024ELi64EfiiEEvbbbT3_PS1_NS_15floating_traitsIT1_E6data_tES1_T2_PKS7_S9_PKS1_PKS4_21rocsparse_index_base_S9_S9_SB_PS4_SF_SE_S9_S9_SB_SF_SF_SE_SF_SF_PS6_SG_PKS6_.uses_flat_scratch, 0
	.set _ZN9rocsparseL6kernelILi1024ELi64EfiiEEvbbbT3_PS1_NS_15floating_traitsIT1_E6data_tES1_T2_PKS7_S9_PKS1_PKS4_21rocsparse_index_base_S9_S9_SB_PS4_SF_SE_S9_S9_SB_SF_SF_SE_SF_SF_PS6_SG_PKS6_.has_dyn_sized_stack, 0
	.set _ZN9rocsparseL6kernelILi1024ELi64EfiiEEvbbbT3_PS1_NS_15floating_traitsIT1_E6data_tES1_T2_PKS7_S9_PKS1_PKS4_21rocsparse_index_base_S9_S9_SB_PS4_SF_SE_S9_S9_SB_SF_SF_SE_SF_SF_PS6_SG_PKS6_.has_recursion, 0
	.set _ZN9rocsparseL6kernelILi1024ELi64EfiiEEvbbbT3_PS1_NS_15floating_traitsIT1_E6data_tES1_T2_PKS7_S9_PKS1_PKS4_21rocsparse_index_base_S9_S9_SB_PS4_SF_SE_S9_S9_SB_SF_SF_SE_SF_SF_PS6_SG_PKS6_.has_indirect_call, 0
	.section	.AMDGPU.csdata,"",@progbits
; Kernel info:
; codeLenInByte = 5668
; TotalNumSgprs: 81
; NumVgprs: 45
; ScratchSize: 0
; MemoryBound: 0
; FloatMode: 240
; IeeeMode: 1
; LDSByteSize: 128 bytes/workgroup (compile time only)
; SGPRBlocks: 0
; VGPRBlocks: 5
; NumSGPRsForWavesPerEU: 81
; NumVGPRsForWavesPerEU: 45
; Occupancy: 16
; WaveLimiterHint : 1
; COMPUTE_PGM_RSRC2:SCRATCH_EN: 0
; COMPUTE_PGM_RSRC2:USER_SGPR: 6
; COMPUTE_PGM_RSRC2:TRAP_HANDLER: 0
; COMPUTE_PGM_RSRC2:TGID_X_EN: 1
; COMPUTE_PGM_RSRC2:TGID_Y_EN: 0
; COMPUTE_PGM_RSRC2:TGID_Z_EN: 0
; COMPUTE_PGM_RSRC2:TIDIG_COMP_CNT: 0
	.section	.text._ZN9rocsparseL14kernel_freerunILi1024ELi1EdiiEEvT3_S1_T2_PKS2_S4_PKS1_PKT1_21rocsparse_index_base_S4_S4_S6_PS7_SB_SA_S4_S4_S6_SB_SB_SA_SB_SB_,"axG",@progbits,_ZN9rocsparseL14kernel_freerunILi1024ELi1EdiiEEvT3_S1_T2_PKS2_S4_PKS1_PKT1_21rocsparse_index_base_S4_S4_S6_PS7_SB_SA_S4_S4_S6_SB_SB_SA_SB_SB_,comdat
	.globl	_ZN9rocsparseL14kernel_freerunILi1024ELi1EdiiEEvT3_S1_T2_PKS2_S4_PKS1_PKT1_21rocsparse_index_base_S4_S4_S6_PS7_SB_SA_S4_S4_S6_SB_SB_SA_SB_SB_ ; -- Begin function _ZN9rocsparseL14kernel_freerunILi1024ELi1EdiiEEvT3_S1_T2_PKS2_S4_PKS1_PKT1_21rocsparse_index_base_S4_S4_S6_PS7_SB_SA_S4_S4_S6_SB_SB_SA_SB_SB_
	.p2align	8
	.type	_ZN9rocsparseL14kernel_freerunILi1024ELi1EdiiEEvT3_S1_T2_PKS2_S4_PKS1_PKT1_21rocsparse_index_base_S4_S4_S6_PS7_SB_SA_S4_S4_S6_SB_SB_SA_SB_SB_,@function
_ZN9rocsparseL14kernel_freerunILi1024ELi1EdiiEEvT3_S1_T2_PKS2_S4_PKS1_PKT1_21rocsparse_index_base_S4_S4_S6_PS7_SB_SA_S4_S4_S6_SB_SB_SA_SB_SB_: ; @_ZN9rocsparseL14kernel_freerunILi1024ELi1EdiiEEvT3_S1_T2_PKS2_S4_PKS1_PKT1_21rocsparse_index_base_S4_S4_S6_PS7_SB_SA_S4_S4_S6_SB_SB_SA_SB_SB_
; %bb.0:
	s_load_dwordx2 s[34:35], s[4:5], 0x0
	s_lshl_b32 s40, s6, 10
	s_mov_b32 s33, 0
	v_or_b32_e32 v0, s40, v0
	s_waitcnt lgkmcnt(0)
	v_cmp_gt_i32_e32 vcc_lo, s35, v0
	s_cmp_gt_i32 s34, 0
	s_cselect_b32 s0, -1, 0
	s_and_b32 s0, vcc_lo, s0
	s_and_saveexec_b32 s1, s0
	s_cbranch_execz .LBB14_51
; %bb.1:
	s_clause 0x1
	s_load_dwordx8 s[8:15], s[4:5], 0x38
	s_load_dwordx8 s[16:23], s[4:5], 0x10
	v_ashrrev_i32_e32 v1, 31, v0
	s_addk_i32 s40, 0x400
	v_cmp_gt_u32_e64 s0, s40, v0
	v_lshlrev_b64 v[1:2], 2, v[0:1]
	s_waitcnt lgkmcnt(0)
	v_add_co_u32 v3, vcc_lo, s8, v1
	v_add_co_ci_u32_e64 v4, null, s9, v2, vcc_lo
	v_add_co_u32 v5, vcc_lo, s10, v1
	v_add_co_ci_u32_e64 v6, null, s11, v2, vcc_lo
	global_load_dword v7, v[3:4], off
	v_add_co_u32 v3, vcc_lo, s16, v1
	v_add_co_ci_u32_e64 v4, null, s17, v2, vcc_lo
	v_add_co_u32 v1, vcc_lo, s18, v1
	v_add_co_ci_u32_e64 v2, null, s19, v2, vcc_lo
	global_load_dword v5, v[5:6], off
	global_load_dword v6, v[3:4], off
	;; [unrolled: 1-line block ×3, first 2 shown]
	s_clause 0x6
	s_load_dword s38, s[4:5], 0x60
	s_load_dword s39, s[4:5], 0x30
	s_load_dwordx2 s[6:7], s[4:5], 0x58
	s_load_dwordx4 s[16:19], s[4:5], 0x98
	s_load_dwordx8 s[24:31], s[4:5], 0x68
	s_load_dwordx2 s[36:37], s[4:5], 0x88
	s_load_dword s4, s[4:5], 0x90
	s_waitcnt vmcnt(3) lgkmcnt(0)
	v_subrev_nc_u32_e32 v1, s38, v7
	v_ashrrev_i32_e32 v2, 31, v1
	s_waitcnt vmcnt(2)
	v_sub_nc_u32_e32 v16, v5, v7
	s_waitcnt vmcnt(1)
	v_subrev_nc_u32_e32 v17, s39, v6
	v_lshlrev_b64 v[3:4], 2, v[1:2]
	s_waitcnt vmcnt(0)
	v_cmp_lt_i32_e64 s1, v6, v8
	v_lshlrev_b64 v[5:6], 3, v[1:2]
	v_subrev_nc_u32_e32 v18, s39, v8
	v_cmp_lt_i32_e64 s2, 0, v16
	v_add_co_u32 v19, vcc_lo, s12, v3
	v_add_co_ci_u32_e64 v20, null, s13, v4, vcc_lo
	v_add_co_u32 v21, vcc_lo, s14, v5
	v_add_co_ci_u32_e64 v22, null, s15, v6, vcc_lo
	v_mov_b32_e32 v3, 0
	s_branch .LBB14_3
.LBB14_2:                               ;   in Loop: Header=BB14_3 Depth=1
	s_or_b32 exec_lo, exec_lo, s5
	s_add_i32 s33, s33, 1
	s_cmp_eq_u32 s33, s34
	s_cbranch_scc1 .LBB14_51
.LBB14_3:                               ; =>This Loop Header: Depth=1
                                        ;     Child Loop BB14_6 Depth 2
                                        ;       Child Loop BB14_10 Depth 3
                                        ;       Child Loop BB14_26 Depth 3
	;; [unrolled: 1-line block ×3, first 2 shown]
                                        ;     Child Loop BB14_44 Depth 2
                                        ;       Child Loop BB14_47 Depth 3
                                        ;       Child Loop BB14_50 Depth 3
	s_and_saveexec_b32 s5, s1
	s_cbranch_execz .LBB14_40
; %bb.4:                                ;   in Loop: Header=BB14_3 Depth=1
	v_mov_b32_e32 v4, v17
	s_mov_b32 s41, 0
	s_branch .LBB14_6
.LBB14_5:                               ;   in Loop: Header=BB14_6 Depth=2
	s_or_b32 exec_lo, exec_lo, s42
	v_add_nc_u32_e32 v4, 1, v4
	v_cmp_ge_i32_e32 vcc_lo, v4, v18
	s_or_b32 s41, vcc_lo, s41
	s_andn2_b32 exec_lo, exec_lo, s41
	s_cbranch_execz .LBB14_40
.LBB14_6:                               ;   Parent Loop BB14_3 Depth=1
                                        ; =>  This Loop Header: Depth=2
                                        ;       Child Loop BB14_10 Depth 3
                                        ;       Child Loop BB14_26 Depth 3
                                        ;       Child Loop BB14_36 Depth 3
	v_ashrrev_i32_e32 v5, 31, v4
	v_lshlrev_b64 v[6:7], 2, v[4:5]
	v_add_co_u32 v6, vcc_lo, s20, v6
	v_add_co_ci_u32_e64 v7, null, s21, v7, vcc_lo
	global_load_dword v2, v[6:7], off
	s_waitcnt vmcnt(0)
	v_subrev_nc_u32_e32 v6, s39, v2
	v_ashrrev_i32_e32 v7, 31, v6
	v_lshlrev_b64 v[8:9], 2, v[6:7]
	v_add_co_u32 v10, vcc_lo, s24, v8
	v_add_co_ci_u32_e64 v11, null, s25, v9, vcc_lo
	v_add_co_u32 v8, vcc_lo, s26, v8
	v_add_co_ci_u32_e64 v9, null, s27, v9, vcc_lo
	global_load_dword v2, v[10:11], off
	global_load_dword v10, v[8:9], off
	v_mov_b32_e32 v9, 0
	v_mov_b32_e32 v11, 0
	;; [unrolled: 1-line block ×3, first 2 shown]
	s_waitcnt vmcnt(1)
	v_subrev_nc_u32_e32 v8, s4, v2
	s_waitcnt vmcnt(0)
	v_sub_nc_u32_e32 v23, v10, v2
	v_mov_b32_e32 v2, v9
	s_and_saveexec_b32 s42, s2
	s_cbranch_execz .LBB14_14
; %bb.7:                                ;   in Loop: Header=BB14_6 Depth=2
	v_ashrrev_i32_e32 v9, 31, v8
	v_mov_b32_e32 v11, 0
	v_mov_b32_e32 v12, 0
	;; [unrolled: 1-line block ×3, first 2 shown]
	s_mov_b32 s43, 0
	v_lshlrev_b64 v[13:14], 2, v[8:9]
	v_lshlrev_b64 v[9:10], 3, v[8:9]
                                        ; implicit-def: $sgpr44
	v_add_co_u32 v13, vcc_lo, s28, v13
	v_add_co_ci_u32_e64 v14, null, s29, v14, vcc_lo
	v_add_co_u32 v15, vcc_lo, s30, v9
	v_add_co_ci_u32_e64 v24, null, s31, v10, vcc_lo
	v_mov_b32_e32 v9, 0
	s_branch .LBB14_10
.LBB14_8:                               ;   in Loop: Header=BB14_10 Depth=3
	s_or_b32 exec_lo, exec_lo, s3
	v_cmp_le_i32_e32 vcc_lo, v25, v26
	v_cmp_ge_i32_e64 s3, v25, v26
	v_add_co_ci_u32_e64 v2, null, 0, v2, vcc_lo
	v_add_co_ci_u32_e64 v9, null, 0, v9, s3
	s_andn2_b32 s3, s44, exec_lo
	v_cmp_ge_i32_e32 vcc_lo, v2, v16
	s_and_b32 s44, vcc_lo, exec_lo
	s_or_b32 s44, s3, s44
.LBB14_9:                               ;   in Loop: Header=BB14_10 Depth=3
	s_or_b32 exec_lo, exec_lo, s45
	s_and_b32 s3, exec_lo, s44
	s_or_b32 s43, s3, s43
	s_andn2_b32 exec_lo, exec_lo, s43
	s_cbranch_execz .LBB14_13
.LBB14_10:                              ;   Parent Loop BB14_3 Depth=1
                                        ;     Parent Loop BB14_6 Depth=2
                                        ; =>    This Inner Loop Header: Depth=3
	s_or_b32 s44, s44, exec_lo
	s_mov_b32 s45, exec_lo
	v_cmpx_lt_i32_e64 v9, v23
	s_cbranch_execz .LBB14_9
; %bb.11:                               ;   in Loop: Header=BB14_10 Depth=3
	v_mov_b32_e32 v10, v3
	v_lshlrev_b64 v[25:26], 2, v[2:3]
	s_mov_b32 s3, exec_lo
	v_lshlrev_b64 v[27:28], 2, v[9:10]
	v_add_co_u32 v25, vcc_lo, v19, v25
	v_add_co_ci_u32_e64 v26, null, v20, v26, vcc_lo
	v_add_co_u32 v27, vcc_lo, v13, v27
	v_add_co_ci_u32_e64 v28, null, v14, v28, vcc_lo
	global_load_dword v25, v[25:26], off
	global_load_dword v26, v[27:28], off
	s_waitcnt vmcnt(1)
	v_subrev_nc_u32_e32 v25, s38, v25
	s_waitcnt vmcnt(0)
	v_subrev_nc_u32_e32 v26, s4, v26
	v_cmpx_eq_u32_e64 v25, v26
	s_cbranch_execz .LBB14_8
; %bb.12:                               ;   in Loop: Header=BB14_10 Depth=3
	v_lshlrev_b64 v[27:28], 3, v[2:3]
	v_lshlrev_b64 v[29:30], 3, v[9:10]
	v_add_co_u32 v27, vcc_lo, v21, v27
	v_add_co_ci_u32_e64 v28, null, v22, v28, vcc_lo
	v_add_co_u32 v29, vcc_lo, v15, v29
	v_add_co_ci_u32_e64 v30, null, v24, v30, vcc_lo
	global_load_dwordx2 v[27:28], v[27:28], off
	global_load_dwordx2 v[29:30], v[29:30], off
	s_waitcnt vmcnt(0)
	v_fma_f64 v[11:12], v[27:28], v[29:30], v[11:12]
	s_branch .LBB14_8
.LBB14_13:                              ;   in Loop: Header=BB14_6 Depth=2
	s_or_b32 exec_lo, exec_lo, s43
.LBB14_14:                              ;   in Loop: Header=BB14_6 Depth=2
	s_or_b32 exec_lo, exec_lo, s42
	v_lshlrev_b64 v[13:14], 3, v[4:5]
	v_cmp_le_i32_e64 s3, v0, v6
	s_mov_b32 s42, exec_lo
	v_add_co_u32 v13, vcc_lo, s22, v13
	v_add_co_ci_u32_e64 v14, null, s23, v14, vcc_lo
	global_load_dwordx2 v[13:14], v[13:14], off
	s_waitcnt vmcnt(0)
	v_add_f64 v[10:11], v[13:14], -v[11:12]
	v_cmpx_gt_i32_e64 v0, v6
	s_cbranch_execz .LBB14_18
; %bb.15:                               ;   in Loop: Header=BB14_6 Depth=2
	v_lshlrev_b64 v[12:13], 3, v[6:7]
	v_mov_b32_e32 v14, 0
	v_mov_b32_e32 v15, 0
	s_mov_b32 s43, exec_lo
	v_add_co_u32 v12, vcc_lo, s16, v12
	v_add_co_ci_u32_e64 v13, null, s17, v13, vcc_lo
	global_load_dwordx2 v[12:13], v[12:13], off
	s_waitcnt vmcnt(0)
	v_cmpx_lg_f64_e32 0, v[12:13]
	s_cbranch_execz .LBB14_17
; %bb.16:                               ;   in Loop: Header=BB14_6 Depth=2
	v_div_scale_f64 v[14:15], null, v[12:13], v[12:13], v[10:11]
	v_rcp_f64_e32 v[24:25], v[14:15]
	v_fma_f64 v[26:27], -v[14:15], v[24:25], 1.0
	v_fma_f64 v[24:25], v[24:25], v[26:27], v[24:25]
	v_fma_f64 v[26:27], -v[14:15], v[24:25], 1.0
	v_fma_f64 v[24:25], v[24:25], v[26:27], v[24:25]
	v_div_scale_f64 v[26:27], vcc_lo, v[10:11], v[12:13], v[10:11]
	v_mul_f64 v[28:29], v[26:27], v[24:25]
	v_fma_f64 v[14:15], -v[14:15], v[28:29], v[26:27]
	v_div_fmas_f64 v[14:15], v[14:15], v[24:25], v[28:29]
	v_div_fixup_f64 v[14:15], v[14:15], v[12:13], v[10:11]
.LBB14_17:                              ;   in Loop: Header=BB14_6 Depth=2
	s_or_b32 exec_lo, exec_lo, s43
	v_mov_b32_e32 v10, v14
	v_mov_b32_e32 v11, v15
.LBB14_18:                              ;   in Loop: Header=BB14_6 Depth=2
	s_or_b32 exec_lo, exec_lo, s42
	v_cmp_class_f64_e64 s43, v[10:11], 0x1f8
	s_and_saveexec_b32 s42, s43
	s_cbranch_execz .LBB14_5
; %bb.19:                               ;   in Loop: Header=BB14_6 Depth=2
	s_and_saveexec_b32 s43, s3
	s_xor_b32 s3, exec_lo, s43
	s_cbranch_execz .LBB14_32
; %bb.20:                               ;   in Loop: Header=BB14_6 Depth=2
	s_mov_b32 s43, exec_lo
	v_cmpx_ge_i32_e64 v0, v6
	s_xor_b32 s43, exec_lo, s43
	s_cbranch_execz .LBB14_22
; %bb.21:                               ;   in Loop: Header=BB14_6 Depth=2
	v_lshlrev_b64 v[5:6], 3, v[6:7]
                                        ; implicit-def: $vgpr9
                                        ; implicit-def: $vgpr23
                                        ; implicit-def: $vgpr8
	v_add_co_u32 v5, vcc_lo, s18, v5
	v_add_co_ci_u32_e64 v6, null, s19, v6, vcc_lo
	global_store_dwordx2 v[5:6], v[10:11], off
                                        ; implicit-def: $vgpr10_vgpr11
.LBB14_22:                              ;   in Loop: Header=BB14_6 Depth=2
	s_andn2_saveexec_b32 s43, s43
	s_cbranch_execz .LBB14_31
; %bb.23:                               ;   in Loop: Header=BB14_6 Depth=2
	s_mov_b32 s44, exec_lo
	v_cmpx_lt_i32_e64 v9, v23
	s_cbranch_execz .LBB14_30
; %bb.24:                               ;   in Loop: Header=BB14_6 Depth=2
	s_mov_b32 s45, 0
                                        ; implicit-def: $sgpr46
                                        ; implicit-def: $sgpr48
                                        ; implicit-def: $sgpr47
	s_inst_prefetch 0x1
	s_branch .LBB14_26
	.p2align	6
.LBB14_25:                              ;   in Loop: Header=BB14_26 Depth=3
	s_or_b32 exec_lo, exec_lo, s49
	s_and_b32 s49, exec_lo, s48
	s_or_b32 s45, s49, s45
	s_andn2_b32 s46, s46, exec_lo
	s_and_b32 s49, s47, exec_lo
	s_or_b32 s46, s46, s49
	s_andn2_b32 exec_lo, exec_lo, s45
	s_cbranch_execz .LBB14_28
.LBB14_26:                              ;   Parent Loop BB14_3 Depth=1
                                        ;     Parent Loop BB14_6 Depth=2
                                        ; =>    This Inner Loop Header: Depth=3
	v_add_nc_u32_e32 v5, v8, v9
	s_or_b32 s47, s47, exec_lo
	s_or_b32 s48, s48, exec_lo
	s_mov_b32 s49, exec_lo
	v_ashrrev_i32_e32 v6, 31, v5
	v_lshlrev_b64 v[12:13], 2, v[5:6]
	v_add_co_u32 v12, vcc_lo, s28, v12
	v_add_co_ci_u32_e64 v13, null, s29, v13, vcc_lo
	global_load_dword v2, v[12:13], off
	s_waitcnt vmcnt(0)
	v_subrev_nc_u32_e32 v2, s4, v2
	v_cmpx_ne_u32_e64 v2, v0
	s_cbranch_execz .LBB14_25
; %bb.27:                               ;   in Loop: Header=BB14_26 Depth=3
	v_add_nc_u32_e32 v9, 1, v9
	s_andn2_b32 s48, s48, exec_lo
	s_andn2_b32 s47, s47, exec_lo
	v_cmp_ge_i32_e32 vcc_lo, v9, v23
	s_and_b32 s50, vcc_lo, exec_lo
	s_or_b32 s48, s48, s50
	s_branch .LBB14_25
.LBB14_28:                              ;   in Loop: Header=BB14_6 Depth=2
	s_inst_prefetch 0x2
	s_or_b32 exec_lo, exec_lo, s45
	s_and_saveexec_b32 s45, s46
	s_xor_b32 s45, exec_lo, s45
	s_cbranch_execz .LBB14_30
; %bb.29:                               ;   in Loop: Header=BB14_6 Depth=2
	v_lshlrev_b64 v[5:6], 3, v[5:6]
	v_add_co_u32 v5, vcc_lo, s36, v5
	v_add_co_ci_u32_e64 v6, null, s37, v6, vcc_lo
	global_store_dwordx2 v[5:6], v[10:11], off
.LBB14_30:                              ;   in Loop: Header=BB14_6 Depth=2
	s_or_b32 exec_lo, exec_lo, s44
.LBB14_31:                              ;   in Loop: Header=BB14_6 Depth=2
	s_or_b32 exec_lo, exec_lo, s43
                                        ; implicit-def: $vgpr10_vgpr11
                                        ; implicit-def: $vgpr6_vgpr7
.LBB14_32:                              ;   in Loop: Header=BB14_6 Depth=2
	s_andn2_saveexec_b32 s3, s3
	s_cbranch_execz .LBB14_5
; %bb.33:                               ;   in Loop: Header=BB14_6 Depth=2
	v_cmp_lt_i32_e32 vcc_lo, v2, v16
	s_and_b32 exec_lo, exec_lo, vcc_lo
	s_cbranch_execz .LBB14_5
; %bb.34:                               ;   in Loop: Header=BB14_6 Depth=2
	s_mov_b32 s3, 0
                                        ; implicit-def: $sgpr43
                                        ; implicit-def: $sgpr45
                                        ; implicit-def: $sgpr44
	s_inst_prefetch 0x1
	s_branch .LBB14_36
	.p2align	6
.LBB14_35:                              ;   in Loop: Header=BB14_36 Depth=3
	s_or_b32 exec_lo, exec_lo, s46
	s_and_b32 s46, exec_lo, s45
	s_or_b32 s3, s46, s3
	s_andn2_b32 s43, s43, exec_lo
	s_and_b32 s46, s44, exec_lo
	s_or_b32 s43, s43, s46
	s_andn2_b32 exec_lo, exec_lo, s3
	s_cbranch_execz .LBB14_38
.LBB14_36:                              ;   Parent Loop BB14_3 Depth=1
                                        ;     Parent Loop BB14_6 Depth=2
                                        ; =>    This Inner Loop Header: Depth=3
	v_add_nc_u32_e32 v7, v1, v2
	s_or_b32 s44, s44, exec_lo
	s_or_b32 s45, s45, exec_lo
	s_mov_b32 s46, exec_lo
	v_ashrrev_i32_e32 v8, 31, v7
	v_lshlrev_b64 v[12:13], 2, v[7:8]
	v_add_co_u32 v12, vcc_lo, s12, v12
	v_add_co_ci_u32_e64 v13, null, s13, v13, vcc_lo
	global_load_dword v5, v[12:13], off
	s_waitcnt vmcnt(0)
	v_subrev_nc_u32_e32 v5, s38, v5
	v_cmpx_ne_u32_e64 v5, v6
	s_cbranch_execz .LBB14_35
; %bb.37:                               ;   in Loop: Header=BB14_36 Depth=3
	v_add_nc_u32_e32 v2, 1, v2
	s_andn2_b32 s45, s45, exec_lo
	s_andn2_b32 s44, s44, exec_lo
	v_cmp_ge_i32_e32 vcc_lo, v2, v16
	s_and_b32 s47, vcc_lo, exec_lo
	s_or_b32 s45, s45, s47
	s_branch .LBB14_35
.LBB14_38:                              ;   in Loop: Header=BB14_6 Depth=2
	s_inst_prefetch 0x2
	s_or_b32 exec_lo, exec_lo, s3
	s_and_saveexec_b32 s3, s43
	s_xor_b32 s3, exec_lo, s3
	s_cbranch_execz .LBB14_5
; %bb.39:                               ;   in Loop: Header=BB14_6 Depth=2
	v_lshlrev_b64 v[5:6], 3, v[7:8]
	v_add_co_u32 v5, vcc_lo, s6, v5
	v_add_co_ci_u32_e64 v6, null, s7, v6, vcc_lo
	global_store_dwordx2 v[5:6], v[10:11], off
	s_branch .LBB14_5
.LBB14_40:                              ;   in Loop: Header=BB14_3 Depth=1
	s_or_b32 exec_lo, exec_lo, s5
	s_and_saveexec_b32 s5, s0
	s_cbranch_execz .LBB14_2
; %bb.41:                               ;   in Loop: Header=BB14_3 Depth=1
	v_mov_b32_e32 v4, v0
	s_mov_b32 s41, 0
	s_branch .LBB14_44
.LBB14_42:                              ;   in Loop: Header=BB14_44 Depth=2
	s_or_b32 exec_lo, exec_lo, s43
	v_lshlrev_b64 v[5:6], 3, v[4:5]
	v_add_co_u32 v7, vcc_lo, s18, v5
	v_add_co_ci_u32_e64 v8, null, s19, v6, vcc_lo
	v_add_co_u32 v5, vcc_lo, s16, v5
	v_add_co_ci_u32_e64 v6, null, s17, v6, vcc_lo
	global_load_dwordx2 v[7:8], v[7:8], off
	s_waitcnt vmcnt(0)
	global_store_dwordx2 v[5:6], v[7:8], off
.LBB14_43:                              ;   in Loop: Header=BB14_44 Depth=2
	s_or_b32 exec_lo, exec_lo, s42
	v_add_nc_u32_e32 v4, 0x400, v4
	v_cmp_le_u32_e32 vcc_lo, s40, v4
	s_or_b32 s41, vcc_lo, s41
	s_andn2_b32 exec_lo, exec_lo, s41
	s_cbranch_execz .LBB14_2
.LBB14_44:                              ;   Parent Loop BB14_3 Depth=1
                                        ; =>  This Loop Header: Depth=2
                                        ;       Child Loop BB14_47 Depth 3
                                        ;       Child Loop BB14_50 Depth 3
	s_mov_b32 s42, exec_lo
	v_cmpx_gt_i32_e64 s35, v4
	s_cbranch_execz .LBB14_43
; %bb.45:                               ;   in Loop: Header=BB14_44 Depth=2
	v_ashrrev_i32_e32 v5, 31, v4
	s_mov_b32 s43, exec_lo
	v_lshlrev_b64 v[6:7], 2, v[4:5]
	v_add_co_u32 v8, vcc_lo, s8, v6
	v_add_co_ci_u32_e64 v9, null, s9, v7, vcc_lo
	v_add_co_u32 v10, vcc_lo, s10, v6
	v_add_co_ci_u32_e64 v11, null, s11, v7, vcc_lo
	global_load_dword v8, v[8:9], off
	global_load_dword v2, v[10:11], off
	s_waitcnt vmcnt(0)
	v_cmpx_lt_i32_e64 v8, v2
	s_cbranch_execz .LBB14_48
; %bb.46:                               ;   in Loop: Header=BB14_44 Depth=2
	v_subrev_nc_u32_e32 v8, s38, v8
	v_subrev_nc_u32_e32 v2, s38, v2
	s_mov_b32 s44, 0
	v_ashrrev_i32_e32 v9, 31, v8
	v_lshlrev_b64 v[11:12], 3, v[8:9]
	v_add_co_u32 v9, vcc_lo, s6, v11
	v_add_co_ci_u32_e64 v10, null, s7, v12, vcc_lo
	v_add_co_u32 v11, vcc_lo, s14, v11
	v_add_co_ci_u32_e64 v12, null, s15, v12, vcc_lo
	.p2align	6
.LBB14_47:                              ;   Parent Loop BB14_3 Depth=1
                                        ;     Parent Loop BB14_44 Depth=2
                                        ; =>    This Inner Loop Header: Depth=3
	global_load_dwordx2 v[13:14], v[9:10], off
	v_add_nc_u32_e32 v8, 1, v8
	v_add_co_u32 v9, vcc_lo, v9, 8
	v_add_co_ci_u32_e64 v10, null, 0, v10, vcc_lo
	v_cmp_ge_i32_e32 vcc_lo, v8, v2
	s_or_b32 s44, vcc_lo, s44
	s_waitcnt vmcnt(0)
	global_store_dwordx2 v[11:12], v[13:14], off
	v_add_co_u32 v11, s3, v11, 8
	v_add_co_ci_u32_e64 v12, null, 0, v12, s3
	s_andn2_b32 exec_lo, exec_lo, s44
	s_cbranch_execnz .LBB14_47
.LBB14_48:                              ;   in Loop: Header=BB14_44 Depth=2
	s_or_b32 exec_lo, exec_lo, s43
	v_add_co_u32 v8, vcc_lo, s24, v6
	v_add_co_ci_u32_e64 v9, null, s25, v7, vcc_lo
	v_add_co_u32 v10, vcc_lo, s26, v6
	v_add_co_ci_u32_e64 v11, null, s27, v7, vcc_lo
	global_load_dword v6, v[8:9], off
	global_load_dword v2, v[10:11], off
	s_mov_b32 s43, exec_lo
	s_waitcnt vmcnt(0)
	v_cmpx_lt_i32_e64 v6, v2
	s_cbranch_execz .LBB14_42
; %bb.49:                               ;   in Loop: Header=BB14_44 Depth=2
	v_subrev_nc_u32_e32 v6, s4, v6
	v_subrev_nc_u32_e32 v2, s4, v2
	s_mov_b32 s44, 0
	v_ashrrev_i32_e32 v7, 31, v6
	v_lshlrev_b64 v[9:10], 3, v[6:7]
	v_add_co_u32 v7, vcc_lo, s36, v9
	v_add_co_ci_u32_e64 v8, null, s37, v10, vcc_lo
	v_add_co_u32 v9, vcc_lo, s30, v9
	v_add_co_ci_u32_e64 v10, null, s31, v10, vcc_lo
	.p2align	6
.LBB14_50:                              ;   Parent Loop BB14_3 Depth=1
                                        ;     Parent Loop BB14_44 Depth=2
                                        ; =>    This Inner Loop Header: Depth=3
	global_load_dwordx2 v[11:12], v[7:8], off
	v_add_nc_u32_e32 v6, 1, v6
	v_add_co_u32 v7, vcc_lo, v7, 8
	v_add_co_ci_u32_e64 v8, null, 0, v8, vcc_lo
	v_cmp_ge_i32_e32 vcc_lo, v6, v2
	s_or_b32 s44, vcc_lo, s44
	s_waitcnt vmcnt(0)
	global_store_dwordx2 v[9:10], v[11:12], off
	v_add_co_u32 v9, s3, v9, 8
	v_add_co_ci_u32_e64 v10, null, 0, v10, s3
	s_andn2_b32 exec_lo, exec_lo, s44
	s_cbranch_execnz .LBB14_50
	s_branch .LBB14_42
.LBB14_51:
	s_endpgm
	.section	.rodata,"a",@progbits
	.p2align	6, 0x0
	.amdhsa_kernel _ZN9rocsparseL14kernel_freerunILi1024ELi1EdiiEEvT3_S1_T2_PKS2_S4_PKS1_PKT1_21rocsparse_index_base_S4_S4_S6_PS7_SB_SA_S4_S4_S6_SB_SB_SA_SB_SB_
		.amdhsa_group_segment_fixed_size 0
		.amdhsa_private_segment_fixed_size 0
		.amdhsa_kernarg_size 168
		.amdhsa_user_sgpr_count 6
		.amdhsa_user_sgpr_private_segment_buffer 1
		.amdhsa_user_sgpr_dispatch_ptr 0
		.amdhsa_user_sgpr_queue_ptr 0
		.amdhsa_user_sgpr_kernarg_segment_ptr 1
		.amdhsa_user_sgpr_dispatch_id 0
		.amdhsa_user_sgpr_flat_scratch_init 0
		.amdhsa_user_sgpr_private_segment_size 0
		.amdhsa_wavefront_size32 1
		.amdhsa_uses_dynamic_stack 0
		.amdhsa_system_sgpr_private_segment_wavefront_offset 0
		.amdhsa_system_sgpr_workgroup_id_x 1
		.amdhsa_system_sgpr_workgroup_id_y 0
		.amdhsa_system_sgpr_workgroup_id_z 0
		.amdhsa_system_sgpr_workgroup_info 0
		.amdhsa_system_vgpr_workitem_id 0
		.amdhsa_next_free_vgpr 31
		.amdhsa_next_free_sgpr 51
		.amdhsa_reserve_vcc 1
		.amdhsa_reserve_flat_scratch 0
		.amdhsa_float_round_mode_32 0
		.amdhsa_float_round_mode_16_64 0
		.amdhsa_float_denorm_mode_32 3
		.amdhsa_float_denorm_mode_16_64 3
		.amdhsa_dx10_clamp 1
		.amdhsa_ieee_mode 1
		.amdhsa_fp16_overflow 0
		.amdhsa_workgroup_processor_mode 1
		.amdhsa_memory_ordered 1
		.amdhsa_forward_progress 1
		.amdhsa_shared_vgpr_count 0
		.amdhsa_exception_fp_ieee_invalid_op 0
		.amdhsa_exception_fp_denorm_src 0
		.amdhsa_exception_fp_ieee_div_zero 0
		.amdhsa_exception_fp_ieee_overflow 0
		.amdhsa_exception_fp_ieee_underflow 0
		.amdhsa_exception_fp_ieee_inexact 0
		.amdhsa_exception_int_div_zero 0
	.end_amdhsa_kernel
	.section	.text._ZN9rocsparseL14kernel_freerunILi1024ELi1EdiiEEvT3_S1_T2_PKS2_S4_PKS1_PKT1_21rocsparse_index_base_S4_S4_S6_PS7_SB_SA_S4_S4_S6_SB_SB_SA_SB_SB_,"axG",@progbits,_ZN9rocsparseL14kernel_freerunILi1024ELi1EdiiEEvT3_S1_T2_PKS2_S4_PKS1_PKT1_21rocsparse_index_base_S4_S4_S6_PS7_SB_SA_S4_S4_S6_SB_SB_SA_SB_SB_,comdat
.Lfunc_end14:
	.size	_ZN9rocsparseL14kernel_freerunILi1024ELi1EdiiEEvT3_S1_T2_PKS2_S4_PKS1_PKT1_21rocsparse_index_base_S4_S4_S6_PS7_SB_SA_S4_S4_S6_SB_SB_SA_SB_SB_, .Lfunc_end14-_ZN9rocsparseL14kernel_freerunILi1024ELi1EdiiEEvT3_S1_T2_PKS2_S4_PKS1_PKT1_21rocsparse_index_base_S4_S4_S6_PS7_SB_SA_S4_S4_S6_SB_SB_SA_SB_SB_
                                        ; -- End function
	.set _ZN9rocsparseL14kernel_freerunILi1024ELi1EdiiEEvT3_S1_T2_PKS2_S4_PKS1_PKT1_21rocsparse_index_base_S4_S4_S6_PS7_SB_SA_S4_S4_S6_SB_SB_SA_SB_SB_.num_vgpr, 31
	.set _ZN9rocsparseL14kernel_freerunILi1024ELi1EdiiEEvT3_S1_T2_PKS2_S4_PKS1_PKT1_21rocsparse_index_base_S4_S4_S6_PS7_SB_SA_S4_S4_S6_SB_SB_SA_SB_SB_.num_agpr, 0
	.set _ZN9rocsparseL14kernel_freerunILi1024ELi1EdiiEEvT3_S1_T2_PKS2_S4_PKS1_PKT1_21rocsparse_index_base_S4_S4_S6_PS7_SB_SA_S4_S4_S6_SB_SB_SA_SB_SB_.numbered_sgpr, 51
	.set _ZN9rocsparseL14kernel_freerunILi1024ELi1EdiiEEvT3_S1_T2_PKS2_S4_PKS1_PKT1_21rocsparse_index_base_S4_S4_S6_PS7_SB_SA_S4_S4_S6_SB_SB_SA_SB_SB_.num_named_barrier, 0
	.set _ZN9rocsparseL14kernel_freerunILi1024ELi1EdiiEEvT3_S1_T2_PKS2_S4_PKS1_PKT1_21rocsparse_index_base_S4_S4_S6_PS7_SB_SA_S4_S4_S6_SB_SB_SA_SB_SB_.private_seg_size, 0
	.set _ZN9rocsparseL14kernel_freerunILi1024ELi1EdiiEEvT3_S1_T2_PKS2_S4_PKS1_PKT1_21rocsparse_index_base_S4_S4_S6_PS7_SB_SA_S4_S4_S6_SB_SB_SA_SB_SB_.uses_vcc, 1
	.set _ZN9rocsparseL14kernel_freerunILi1024ELi1EdiiEEvT3_S1_T2_PKS2_S4_PKS1_PKT1_21rocsparse_index_base_S4_S4_S6_PS7_SB_SA_S4_S4_S6_SB_SB_SA_SB_SB_.uses_flat_scratch, 0
	.set _ZN9rocsparseL14kernel_freerunILi1024ELi1EdiiEEvT3_S1_T2_PKS2_S4_PKS1_PKT1_21rocsparse_index_base_S4_S4_S6_PS7_SB_SA_S4_S4_S6_SB_SB_SA_SB_SB_.has_dyn_sized_stack, 0
	.set _ZN9rocsparseL14kernel_freerunILi1024ELi1EdiiEEvT3_S1_T2_PKS2_S4_PKS1_PKT1_21rocsparse_index_base_S4_S4_S6_PS7_SB_SA_S4_S4_S6_SB_SB_SA_SB_SB_.has_recursion, 0
	.set _ZN9rocsparseL14kernel_freerunILi1024ELi1EdiiEEvT3_S1_T2_PKS2_S4_PKS1_PKT1_21rocsparse_index_base_S4_S4_S6_PS7_SB_SA_S4_S4_S6_SB_SB_SA_SB_SB_.has_indirect_call, 0
	.section	.AMDGPU.csdata,"",@progbits
; Kernel info:
; codeLenInByte = 2384
; TotalNumSgprs: 53
; NumVgprs: 31
; ScratchSize: 0
; MemoryBound: 1
; FloatMode: 240
; IeeeMode: 1
; LDSByteSize: 0 bytes/workgroup (compile time only)
; SGPRBlocks: 0
; VGPRBlocks: 3
; NumSGPRsForWavesPerEU: 53
; NumVGPRsForWavesPerEU: 31
; Occupancy: 16
; WaveLimiterHint : 1
; COMPUTE_PGM_RSRC2:SCRATCH_EN: 0
; COMPUTE_PGM_RSRC2:USER_SGPR: 6
; COMPUTE_PGM_RSRC2:TRAP_HANDLER: 0
; COMPUTE_PGM_RSRC2:TGID_X_EN: 1
; COMPUTE_PGM_RSRC2:TGID_Y_EN: 0
; COMPUTE_PGM_RSRC2:TGID_Z_EN: 0
; COMPUTE_PGM_RSRC2:TIDIG_COMP_CNT: 0
	.section	.text._ZN9rocsparseL14kernel_freerunILi1024ELi2EdiiEEvT3_S1_T2_PKS2_S4_PKS1_PKT1_21rocsparse_index_base_S4_S4_S6_PS7_SB_SA_S4_S4_S6_SB_SB_SA_SB_SB_,"axG",@progbits,_ZN9rocsparseL14kernel_freerunILi1024ELi2EdiiEEvT3_S1_T2_PKS2_S4_PKS1_PKT1_21rocsparse_index_base_S4_S4_S6_PS7_SB_SA_S4_S4_S6_SB_SB_SA_SB_SB_,comdat
	.globl	_ZN9rocsparseL14kernel_freerunILi1024ELi2EdiiEEvT3_S1_T2_PKS2_S4_PKS1_PKT1_21rocsparse_index_base_S4_S4_S6_PS7_SB_SA_S4_S4_S6_SB_SB_SA_SB_SB_ ; -- Begin function _ZN9rocsparseL14kernel_freerunILi1024ELi2EdiiEEvT3_S1_T2_PKS2_S4_PKS1_PKT1_21rocsparse_index_base_S4_S4_S6_PS7_SB_SA_S4_S4_S6_SB_SB_SA_SB_SB_
	.p2align	8
	.type	_ZN9rocsparseL14kernel_freerunILi1024ELi2EdiiEEvT3_S1_T2_PKS2_S4_PKS1_PKT1_21rocsparse_index_base_S4_S4_S6_PS7_SB_SA_S4_S4_S6_SB_SB_SA_SB_SB_,@function
_ZN9rocsparseL14kernel_freerunILi1024ELi2EdiiEEvT3_S1_T2_PKS2_S4_PKS1_PKT1_21rocsparse_index_base_S4_S4_S6_PS7_SB_SA_S4_S4_S6_SB_SB_SA_SB_SB_: ; @_ZN9rocsparseL14kernel_freerunILi1024ELi2EdiiEEvT3_S1_T2_PKS2_S4_PKS1_PKT1_21rocsparse_index_base_S4_S4_S6_PS7_SB_SA_S4_S4_S6_SB_SB_SA_SB_SB_
; %bb.0:
	s_load_dwordx2 s[34:35], s[4:5], 0x0
	v_lshrrev_b32_e32 v1, 1, v0
	s_lshl_b32 s46, s6, 10
	s_mov_b32 s7, 0
	v_or_b32_e32 v1, s46, v1
	s_waitcnt lgkmcnt(0)
	v_cmp_gt_i32_e32 vcc_lo, s35, v1
	s_cmp_gt_i32 s34, 0
	s_cselect_b32 s0, -1, 0
	s_and_b32 s0, vcc_lo, s0
	s_and_saveexec_b32 s1, s0
	s_cbranch_execz .LBB15_90
; %bb.1:
	s_clause 0x1
	s_load_dwordx8 s[8:15], s[4:5], 0x38
	s_load_dwordx8 s[16:23], s[4:5], 0x10
	v_ashrrev_i32_e32 v2, 31, v1
	s_load_dwordx8 s[24:31], s[4:5], 0x68
	s_addk_i32 s46, 0x400
	v_cmp_gt_u32_e64 s0, s46, v1
	v_lshlrev_b64 v[2:3], 2, v[1:2]
	s_waitcnt lgkmcnt(0)
	v_add_co_u32 v4, vcc_lo, s8, v2
	v_add_co_ci_u32_e64 v5, null, s9, v3, vcc_lo
	v_add_co_u32 v6, vcc_lo, s10, v2
	v_add_co_ci_u32_e64 v7, null, s11, v3, vcc_lo
	global_load_dword v13, v[4:5], off
	v_add_co_u32 v4, vcc_lo, s16, v2
	v_add_co_ci_u32_e64 v5, null, s17, v3, vcc_lo
	v_add_co_u32 v2, vcc_lo, s18, v2
	v_add_co_ci_u32_e64 v3, null, s19, v3, vcc_lo
	global_load_dword v14, v[6:7], off
	global_load_dword v15, v[4:5], off
	;; [unrolled: 1-line block ×3, first 2 shown]
	s_clause 0x2
	s_load_dword s33, s[4:5], 0x30
	s_load_dword s44, s[4:5], 0x60
	;; [unrolled: 1-line block ×3, first 2 shown]
	v_or_b32_e32 v2, 0x200, v1
	v_and_b32_e32 v4, 1, v0
	s_clause 0x2
	s_load_dwordx2 s[40:41], s[4:5], 0x88
	s_load_dwordx2 s[42:43], s[4:5], 0x58
	s_load_dwordx4 s[36:39], s[4:5], 0x98
	v_ashrrev_i32_e32 v3, 31, v2
	v_cmp_eq_u32_e64 s1, 0, v4
	v_cmp_gt_i32_e64 s2, s35, v2
	v_lshlrev_b64 v[11:12], 2, v[2:3]
	v_add_co_u32 v3, vcc_lo, s10, v11
	s_waitcnt lgkmcnt(0)
	v_subrev_nc_u32_e32 v0, s33, v4
	v_subrev_nc_u32_e32 v28, s44, v4
	;; [unrolled: 1-line block ×3, first 2 shown]
	v_add_co_ci_u32_e64 v4, null, s11, v12, vcc_lo
	v_add_co_u32 v7, vcc_lo, s8, v11
	v_add_co_ci_u32_e64 v8, null, s9, v12, vcc_lo
	v_add_co_u32 v9, vcc_lo, s16, v11
	;; [unrolled: 2-line block ×3, first 2 shown]
	v_add_co_ci_u32_e64 v12, null, s19, v12, vcc_lo
	s_waitcnt vmcnt(3)
	v_subrev_nc_u32_e32 v5, s44, v13
	v_ashrrev_i32_e32 v6, 31, v5
	s_waitcnt vmcnt(2)
	v_sub_nc_u32_e32 v30, v14, v13
	s_waitcnt vmcnt(1)
	v_add_nc_u32_e32 v31, v0, v15
	v_lshlrev_b64 v[13:14], 2, v[5:6]
	s_waitcnt vmcnt(0)
	v_subrev_nc_u32_e32 v32, s33, v16
	v_lshlrev_b64 v[15:16], 3, v[5:6]
	v_cmp_lt_i32_e64 s4, 0, v30
	v_cmp_lt_i32_e64 s3, v31, v32
	v_add_co_u32 v6, vcc_lo, s12, v13
	v_add_co_ci_u32_e64 v33, null, s13, v14, vcc_lo
	v_add_co_u32 v34, vcc_lo, s14, v15
	v_add_co_ci_u32_e64 v35, null, s15, v16, vcc_lo
	v_mov_b32_e32 v14, 0
	s_branch .LBB15_3
.LBB15_2:                               ;   in Loop: Header=BB15_3 Depth=1
	s_or_b32 exec_lo, exec_lo, s6
	s_add_i32 s7, s7, 1
	s_cmp_eq_u32 s7, s34
	s_cbranch_scc1 .LBB15_90
.LBB15_3:                               ; =>This Loop Header: Depth=1
                                        ;     Child Loop BB15_6 Depth 2
                                        ;       Child Loop BB15_10 Depth 3
                                        ;       Child Loop BB15_26 Depth 3
	;; [unrolled: 1-line block ×3, first 2 shown]
                                        ;     Child Loop BB15_44 Depth 2
                                        ;       Child Loop BB15_48 Depth 3
                                        ;       Child Loop BB15_64 Depth 3
	;; [unrolled: 1-line block ×3, first 2 shown]
                                        ;     Child Loop BB15_81 Depth 2
                                        ;       Child Loop BB15_84 Depth 3
                                        ;       Child Loop BB15_87 Depth 3
	s_and_saveexec_b32 s6, s3
	s_cbranch_execz .LBB15_40
; %bb.4:                                ;   in Loop: Header=BB15_3 Depth=1
	v_mov_b32_e32 v15, v31
	s_mov_b32 s16, 0
	s_branch .LBB15_6
.LBB15_5:                               ;   in Loop: Header=BB15_6 Depth=2
	s_or_b32 exec_lo, exec_lo, s17
	v_add_nc_u32_e32 v15, 2, v15
	v_cmp_ge_i32_e32 vcc_lo, v15, v32
	s_or_b32 s16, vcc_lo, s16
	s_andn2_b32 exec_lo, exec_lo, s16
	s_cbranch_execz .LBB15_40
.LBB15_6:                               ;   Parent Loop BB15_3 Depth=1
                                        ; =>  This Loop Header: Depth=2
                                        ;       Child Loop BB15_10 Depth 3
                                        ;       Child Loop BB15_26 Depth 3
	;; [unrolled: 1-line block ×3, first 2 shown]
	v_ashrrev_i32_e32 v16, 31, v15
	v_lshlrev_b64 v[17:18], 2, v[15:16]
	v_add_co_u32 v17, vcc_lo, s20, v17
	v_add_co_ci_u32_e64 v18, null, s21, v18, vcc_lo
	global_load_dword v13, v[17:18], off
	s_waitcnt vmcnt(0)
	v_subrev_nc_u32_e32 v17, s33, v13
	v_ashrrev_i32_e32 v18, 31, v17
	v_lshlrev_b64 v[19:20], 2, v[17:18]
	v_add_co_u32 v21, vcc_lo, s24, v19
	v_add_co_ci_u32_e64 v22, null, s25, v20, vcc_lo
	v_add_co_u32 v19, vcc_lo, s26, v19
	v_add_co_ci_u32_e64 v20, null, s27, v20, vcc_lo
	global_load_dword v13, v[21:22], off
	global_load_dword v21, v[19:20], off
	v_mov_b32_e32 v20, 0
	v_mov_b32_e32 v22, 0
	;; [unrolled: 1-line block ×3, first 2 shown]
	s_waitcnt vmcnt(1)
	v_subrev_nc_u32_e32 v19, s45, v13
	s_waitcnt vmcnt(0)
	v_sub_nc_u32_e32 v27, v21, v13
	v_mov_b32_e32 v13, v20
	s_and_saveexec_b32 s17, s4
	s_cbranch_execz .LBB15_14
; %bb.7:                                ;   in Loop: Header=BB15_6 Depth=2
	v_ashrrev_i32_e32 v20, 31, v19
	v_mov_b32_e32 v22, 0
	v_mov_b32_e32 v23, 0
	;; [unrolled: 1-line block ×3, first 2 shown]
	s_mov_b32 s18, 0
	v_lshlrev_b64 v[24:25], 2, v[19:20]
	v_lshlrev_b64 v[20:21], 3, v[19:20]
                                        ; implicit-def: $sgpr19
	v_add_co_u32 v24, vcc_lo, s28, v24
	v_add_co_ci_u32_e64 v25, null, s29, v25, vcc_lo
	v_add_co_u32 v26, vcc_lo, s30, v20
	v_add_co_ci_u32_e64 v36, null, s31, v21, vcc_lo
	v_mov_b32_e32 v20, 0
	s_branch .LBB15_10
.LBB15_8:                               ;   in Loop: Header=BB15_10 Depth=3
	s_or_b32 exec_lo, exec_lo, s5
	v_cmp_le_i32_e32 vcc_lo, v37, v38
	v_cmp_ge_i32_e64 s5, v37, v38
	v_add_co_ci_u32_e64 v13, null, 0, v13, vcc_lo
	v_add_co_ci_u32_e64 v20, null, 0, v20, s5
	s_andn2_b32 s5, s19, exec_lo
	v_cmp_ge_i32_e32 vcc_lo, v13, v30
	s_and_b32 s19, vcc_lo, exec_lo
	s_or_b32 s19, s5, s19
.LBB15_9:                               ;   in Loop: Header=BB15_10 Depth=3
	s_or_b32 exec_lo, exec_lo, s47
	s_and_b32 s5, exec_lo, s19
	s_or_b32 s18, s5, s18
	s_andn2_b32 exec_lo, exec_lo, s18
	s_cbranch_execz .LBB15_13
.LBB15_10:                              ;   Parent Loop BB15_3 Depth=1
                                        ;     Parent Loop BB15_6 Depth=2
                                        ; =>    This Inner Loop Header: Depth=3
	s_or_b32 s19, s19, exec_lo
	s_mov_b32 s47, exec_lo
	v_cmpx_lt_i32_e64 v20, v27
	s_cbranch_execz .LBB15_9
; %bb.11:                               ;   in Loop: Header=BB15_10 Depth=3
	v_mov_b32_e32 v21, v14
	v_lshlrev_b64 v[37:38], 2, v[13:14]
	s_mov_b32 s5, exec_lo
	v_lshlrev_b64 v[39:40], 2, v[20:21]
	v_add_co_u32 v37, vcc_lo, v6, v37
	v_add_co_ci_u32_e64 v38, null, v33, v38, vcc_lo
	v_add_co_u32 v39, vcc_lo, v24, v39
	v_add_co_ci_u32_e64 v40, null, v25, v40, vcc_lo
	global_load_dword v37, v[37:38], off
	global_load_dword v38, v[39:40], off
	s_waitcnt vmcnt(1)
	v_subrev_nc_u32_e32 v37, s44, v37
	s_waitcnt vmcnt(0)
	v_subrev_nc_u32_e32 v38, s45, v38
	v_cmpx_eq_u32_e64 v37, v38
	s_cbranch_execz .LBB15_8
; %bb.12:                               ;   in Loop: Header=BB15_10 Depth=3
	v_lshlrev_b64 v[39:40], 3, v[13:14]
	v_lshlrev_b64 v[41:42], 3, v[20:21]
	v_add_co_u32 v39, vcc_lo, v34, v39
	v_add_co_ci_u32_e64 v40, null, v35, v40, vcc_lo
	v_add_co_u32 v41, vcc_lo, v26, v41
	v_add_co_ci_u32_e64 v42, null, v36, v42, vcc_lo
	global_load_dwordx2 v[39:40], v[39:40], off
	global_load_dwordx2 v[41:42], v[41:42], off
	s_waitcnt vmcnt(0)
	v_fma_f64 v[22:23], v[39:40], v[41:42], v[22:23]
	s_branch .LBB15_8
.LBB15_13:                              ;   in Loop: Header=BB15_6 Depth=2
	s_or_b32 exec_lo, exec_lo, s18
.LBB15_14:                              ;   in Loop: Header=BB15_6 Depth=2
	s_or_b32 exec_lo, exec_lo, s17
	v_lshlrev_b64 v[24:25], 3, v[15:16]
	v_cmp_le_i32_e64 s5, v1, v17
	s_mov_b32 s17, exec_lo
	v_add_co_u32 v24, vcc_lo, s22, v24
	v_add_co_ci_u32_e64 v25, null, s23, v25, vcc_lo
	global_load_dwordx2 v[24:25], v[24:25], off
	s_waitcnt vmcnt(0)
	v_add_f64 v[21:22], v[24:25], -v[22:23]
	v_cmpx_gt_i32_e64 v1, v17
	s_cbranch_execz .LBB15_18
; %bb.15:                               ;   in Loop: Header=BB15_6 Depth=2
	v_lshlrev_b64 v[23:24], 3, v[17:18]
	v_mov_b32_e32 v25, 0
	v_mov_b32_e32 v26, 0
	s_mov_b32 s18, exec_lo
	v_add_co_u32 v23, vcc_lo, s36, v23
	v_add_co_ci_u32_e64 v24, null, s37, v24, vcc_lo
	global_load_dwordx2 v[23:24], v[23:24], off
	s_waitcnt vmcnt(0)
	v_cmpx_lg_f64_e32 0, v[23:24]
	s_cbranch_execz .LBB15_17
; %bb.16:                               ;   in Loop: Header=BB15_6 Depth=2
	v_div_scale_f64 v[25:26], null, v[23:24], v[23:24], v[21:22]
	v_rcp_f64_e32 v[36:37], v[25:26]
	v_fma_f64 v[38:39], -v[25:26], v[36:37], 1.0
	v_fma_f64 v[36:37], v[36:37], v[38:39], v[36:37]
	v_fma_f64 v[38:39], -v[25:26], v[36:37], 1.0
	v_fma_f64 v[36:37], v[36:37], v[38:39], v[36:37]
	v_div_scale_f64 v[38:39], vcc_lo, v[21:22], v[23:24], v[21:22]
	v_mul_f64 v[40:41], v[38:39], v[36:37]
	v_fma_f64 v[25:26], -v[25:26], v[40:41], v[38:39]
	v_div_fmas_f64 v[25:26], v[25:26], v[36:37], v[40:41]
	v_div_fixup_f64 v[25:26], v[25:26], v[23:24], v[21:22]
.LBB15_17:                              ;   in Loop: Header=BB15_6 Depth=2
	s_or_b32 exec_lo, exec_lo, s18
	v_mov_b32_e32 v21, v25
	v_mov_b32_e32 v22, v26
.LBB15_18:                              ;   in Loop: Header=BB15_6 Depth=2
	s_or_b32 exec_lo, exec_lo, s17
	v_cmp_class_f64_e64 s18, v[21:22], 0x1f8
	s_and_saveexec_b32 s17, s18
	s_cbranch_execz .LBB15_5
; %bb.19:                               ;   in Loop: Header=BB15_6 Depth=2
	s_and_saveexec_b32 s18, s5
	s_xor_b32 s5, exec_lo, s18
	s_cbranch_execz .LBB15_32
; %bb.20:                               ;   in Loop: Header=BB15_6 Depth=2
	s_mov_b32 s18, exec_lo
	v_cmpx_ge_i32_e64 v1, v17
	s_xor_b32 s18, exec_lo, s18
	s_cbranch_execz .LBB15_22
; %bb.21:                               ;   in Loop: Header=BB15_6 Depth=2
	v_lshlrev_b64 v[16:17], 3, v[17:18]
                                        ; implicit-def: $vgpr20
                                        ; implicit-def: $vgpr27
                                        ; implicit-def: $vgpr19
	v_add_co_u32 v16, vcc_lo, s38, v16
	v_add_co_ci_u32_e64 v17, null, s39, v17, vcc_lo
	global_store_dwordx2 v[16:17], v[21:22], off
                                        ; implicit-def: $vgpr21_vgpr22
.LBB15_22:                              ;   in Loop: Header=BB15_6 Depth=2
	s_andn2_saveexec_b32 s18, s18
	s_cbranch_execz .LBB15_31
; %bb.23:                               ;   in Loop: Header=BB15_6 Depth=2
	s_mov_b32 s19, exec_lo
	v_cmpx_lt_i32_e64 v20, v27
	s_cbranch_execz .LBB15_30
; %bb.24:                               ;   in Loop: Header=BB15_6 Depth=2
	s_mov_b32 s47, 0
                                        ; implicit-def: $sgpr48
                                        ; implicit-def: $sgpr50
                                        ; implicit-def: $sgpr49
	s_inst_prefetch 0x1
	s_branch .LBB15_26
	.p2align	6
.LBB15_25:                              ;   in Loop: Header=BB15_26 Depth=3
	s_or_b32 exec_lo, exec_lo, s51
	s_and_b32 s51, exec_lo, s50
	s_or_b32 s47, s51, s47
	s_andn2_b32 s48, s48, exec_lo
	s_and_b32 s51, s49, exec_lo
	s_or_b32 s48, s48, s51
	s_andn2_b32 exec_lo, exec_lo, s47
	s_cbranch_execz .LBB15_28
.LBB15_26:                              ;   Parent Loop BB15_3 Depth=1
                                        ;     Parent Loop BB15_6 Depth=2
                                        ; =>    This Inner Loop Header: Depth=3
	v_add_nc_u32_e32 v16, v19, v20
	s_or_b32 s49, s49, exec_lo
	s_or_b32 s50, s50, exec_lo
	s_mov_b32 s51, exec_lo
	v_ashrrev_i32_e32 v17, 31, v16
	v_lshlrev_b64 v[23:24], 2, v[16:17]
	v_add_co_u32 v23, vcc_lo, s28, v23
	v_add_co_ci_u32_e64 v24, null, s29, v24, vcc_lo
	global_load_dword v13, v[23:24], off
	s_waitcnt vmcnt(0)
	v_subrev_nc_u32_e32 v13, s45, v13
	v_cmpx_ne_u32_e64 v13, v1
	s_cbranch_execz .LBB15_25
; %bb.27:                               ;   in Loop: Header=BB15_26 Depth=3
	v_add_nc_u32_e32 v20, 1, v20
	s_andn2_b32 s50, s50, exec_lo
	s_andn2_b32 s49, s49, exec_lo
	v_cmp_ge_i32_e32 vcc_lo, v20, v27
	s_and_b32 s52, vcc_lo, exec_lo
	s_or_b32 s50, s50, s52
	s_branch .LBB15_25
.LBB15_28:                              ;   in Loop: Header=BB15_6 Depth=2
	s_inst_prefetch 0x2
	s_or_b32 exec_lo, exec_lo, s47
	s_and_saveexec_b32 s47, s48
	s_xor_b32 s47, exec_lo, s47
	s_cbranch_execz .LBB15_30
; %bb.29:                               ;   in Loop: Header=BB15_6 Depth=2
	v_lshlrev_b64 v[16:17], 3, v[16:17]
	v_add_co_u32 v16, vcc_lo, s40, v16
	v_add_co_ci_u32_e64 v17, null, s41, v17, vcc_lo
	global_store_dwordx2 v[16:17], v[21:22], off
.LBB15_30:                              ;   in Loop: Header=BB15_6 Depth=2
	s_or_b32 exec_lo, exec_lo, s19
.LBB15_31:                              ;   in Loop: Header=BB15_6 Depth=2
	s_or_b32 exec_lo, exec_lo, s18
                                        ; implicit-def: $vgpr21_vgpr22
                                        ; implicit-def: $vgpr17_vgpr18
.LBB15_32:                              ;   in Loop: Header=BB15_6 Depth=2
	s_andn2_saveexec_b32 s5, s5
	s_cbranch_execz .LBB15_5
; %bb.33:                               ;   in Loop: Header=BB15_6 Depth=2
	v_cmp_lt_i32_e32 vcc_lo, v13, v30
	s_and_b32 exec_lo, exec_lo, vcc_lo
	s_cbranch_execz .LBB15_5
; %bb.34:                               ;   in Loop: Header=BB15_6 Depth=2
	s_mov_b32 s5, 0
                                        ; implicit-def: $sgpr18
                                        ; implicit-def: $sgpr47
                                        ; implicit-def: $sgpr19
	s_inst_prefetch 0x1
	s_branch .LBB15_36
	.p2align	6
.LBB15_35:                              ;   in Loop: Header=BB15_36 Depth=3
	s_or_b32 exec_lo, exec_lo, s48
	s_and_b32 s48, exec_lo, s47
	s_or_b32 s5, s48, s5
	s_andn2_b32 s18, s18, exec_lo
	s_and_b32 s48, s19, exec_lo
	s_or_b32 s18, s18, s48
	s_andn2_b32 exec_lo, exec_lo, s5
	s_cbranch_execz .LBB15_38
.LBB15_36:                              ;   Parent Loop BB15_3 Depth=1
                                        ;     Parent Loop BB15_6 Depth=2
                                        ; =>    This Inner Loop Header: Depth=3
	v_add_nc_u32_e32 v18, v5, v13
	s_or_b32 s19, s19, exec_lo
	s_or_b32 s47, s47, exec_lo
	s_mov_b32 s48, exec_lo
	v_ashrrev_i32_e32 v19, 31, v18
	v_lshlrev_b64 v[23:24], 2, v[18:19]
	v_add_co_u32 v23, vcc_lo, s12, v23
	v_add_co_ci_u32_e64 v24, null, s13, v24, vcc_lo
	global_load_dword v16, v[23:24], off
	s_waitcnt vmcnt(0)
	v_subrev_nc_u32_e32 v16, s44, v16
	v_cmpx_ne_u32_e64 v16, v17
	s_cbranch_execz .LBB15_35
; %bb.37:                               ;   in Loop: Header=BB15_36 Depth=3
	v_add_nc_u32_e32 v13, 1, v13
	s_andn2_b32 s47, s47, exec_lo
	s_andn2_b32 s19, s19, exec_lo
	v_cmp_ge_i32_e32 vcc_lo, v13, v30
	s_and_b32 s49, vcc_lo, exec_lo
	s_or_b32 s47, s47, s49
	s_branch .LBB15_35
.LBB15_38:                              ;   in Loop: Header=BB15_6 Depth=2
	s_inst_prefetch 0x2
	s_or_b32 exec_lo, exec_lo, s5
	s_and_saveexec_b32 s5, s18
	s_xor_b32 s5, exec_lo, s5
	s_cbranch_execz .LBB15_5
; %bb.39:                               ;   in Loop: Header=BB15_6 Depth=2
	v_lshlrev_b64 v[16:17], 3, v[18:19]
	v_add_co_u32 v16, vcc_lo, s42, v16
	v_add_co_ci_u32_e64 v17, null, s43, v17, vcc_lo
	global_store_dwordx2 v[16:17], v[21:22], off
	s_branch .LBB15_5
.LBB15_40:                              ;   in Loop: Header=BB15_3 Depth=1
	s_or_b32 exec_lo, exec_lo, s6
	s_and_saveexec_b32 s16, s2
	s_cbranch_execz .LBB15_78
; %bb.41:                               ;   in Loop: Header=BB15_3 Depth=1
	global_load_dword v13, v[9:10], off
	global_load_dword v16, v[11:12], off
	s_waitcnt vmcnt(1)
	v_add_nc_u32_e32 v15, v0, v13
	s_waitcnt vmcnt(0)
	v_subrev_nc_u32_e32 v36, s33, v16
	v_cmp_lt_i32_e32 vcc_lo, v15, v36
	s_and_b32 exec_lo, exec_lo, vcc_lo
	s_cbranch_execz .LBB15_78
; %bb.42:                               ;   in Loop: Header=BB15_3 Depth=1
	global_load_dword v13, v[7:8], off
	global_load_dword v16, v[3:4], off
	s_mov_b32 s17, 0
	s_waitcnt vmcnt(1)
	v_subrev_nc_u32_e32 v17, s44, v13
	s_waitcnt vmcnt(0)
	v_sub_nc_u32_e32 v37, v16, v13
	v_ashrrev_i32_e32 v18, 31, v17
	v_cmp_lt_i32_e64 s5, 0, v37
	v_lshlrev_b64 v[19:20], 2, v[17:18]
	v_lshlrev_b64 v[21:22], 3, v[17:18]
	v_add_co_u32 v38, vcc_lo, s12, v19
	v_add_co_ci_u32_e64 v39, null, s13, v20, vcc_lo
	v_add_co_u32 v40, vcc_lo, s14, v21
	v_add_co_ci_u32_e64 v41, null, s15, v22, vcc_lo
	s_branch .LBB15_44
.LBB15_43:                              ;   in Loop: Header=BB15_44 Depth=2
	s_or_b32 exec_lo, exec_lo, s18
	v_add_nc_u32_e32 v15, 2, v15
	v_cmp_ge_i32_e32 vcc_lo, v15, v36
	s_or_b32 s17, vcc_lo, s17
	s_andn2_b32 exec_lo, exec_lo, s17
	s_cbranch_execz .LBB15_78
.LBB15_44:                              ;   Parent Loop BB15_3 Depth=1
                                        ; =>  This Loop Header: Depth=2
                                        ;       Child Loop BB15_48 Depth 3
                                        ;       Child Loop BB15_64 Depth 3
	;; [unrolled: 1-line block ×3, first 2 shown]
	v_ashrrev_i32_e32 v16, 31, v15
	v_lshlrev_b64 v[18:19], 2, v[15:16]
	v_add_co_u32 v18, vcc_lo, s20, v18
	v_add_co_ci_u32_e64 v19, null, s21, v19, vcc_lo
	global_load_dword v13, v[18:19], off
	s_waitcnt vmcnt(0)
	v_subrev_nc_u32_e32 v18, s33, v13
	v_ashrrev_i32_e32 v19, 31, v18
	v_lshlrev_b64 v[20:21], 2, v[18:19]
	v_add_co_u32 v22, vcc_lo, s24, v20
	v_add_co_ci_u32_e64 v23, null, s25, v21, vcc_lo
	v_add_co_u32 v20, vcc_lo, s26, v20
	v_add_co_ci_u32_e64 v21, null, s27, v21, vcc_lo
	global_load_dword v13, v[22:23], off
	global_load_dword v22, v[20:21], off
	v_mov_b32_e32 v21, 0
	v_mov_b32_e32 v23, 0
	;; [unrolled: 1-line block ×3, first 2 shown]
	s_waitcnt vmcnt(1)
	v_subrev_nc_u32_e32 v20, s45, v13
	s_waitcnt vmcnt(0)
	v_sub_nc_u32_e32 v42, v22, v13
	v_mov_b32_e32 v13, v21
	s_and_saveexec_b32 s18, s5
	s_cbranch_execz .LBB15_52
; %bb.45:                               ;   in Loop: Header=BB15_44 Depth=2
	v_ashrrev_i32_e32 v21, 31, v20
	v_mov_b32_e32 v23, 0
	v_mov_b32_e32 v24, 0
	;; [unrolled: 1-line block ×3, first 2 shown]
	s_mov_b32 s19, 0
	v_lshlrev_b64 v[25:26], 2, v[20:21]
	v_lshlrev_b64 v[21:22], 3, v[20:21]
                                        ; implicit-def: $sgpr47
	v_add_co_u32 v25, vcc_lo, s28, v25
	v_add_co_ci_u32_e64 v26, null, s29, v26, vcc_lo
	v_add_co_u32 v27, vcc_lo, s30, v21
	v_add_co_ci_u32_e64 v43, null, s31, v22, vcc_lo
	v_mov_b32_e32 v21, 0
	s_branch .LBB15_48
.LBB15_46:                              ;   in Loop: Header=BB15_48 Depth=3
	s_or_b32 exec_lo, exec_lo, s6
	v_cmp_le_i32_e32 vcc_lo, v44, v45
	v_cmp_ge_i32_e64 s6, v44, v45
	v_add_co_ci_u32_e64 v13, null, 0, v13, vcc_lo
	v_add_co_ci_u32_e64 v21, null, 0, v21, s6
	s_andn2_b32 s6, s47, exec_lo
	v_cmp_ge_i32_e32 vcc_lo, v13, v37
	s_and_b32 s47, vcc_lo, exec_lo
	s_or_b32 s47, s6, s47
.LBB15_47:                              ;   in Loop: Header=BB15_48 Depth=3
	s_or_b32 exec_lo, exec_lo, s48
	s_and_b32 s6, exec_lo, s47
	s_or_b32 s19, s6, s19
	s_andn2_b32 exec_lo, exec_lo, s19
	s_cbranch_execz .LBB15_51
.LBB15_48:                              ;   Parent Loop BB15_3 Depth=1
                                        ;     Parent Loop BB15_44 Depth=2
                                        ; =>    This Inner Loop Header: Depth=3
	s_or_b32 s47, s47, exec_lo
	s_mov_b32 s48, exec_lo
	v_cmpx_lt_i32_e64 v21, v42
	s_cbranch_execz .LBB15_47
; %bb.49:                               ;   in Loop: Header=BB15_48 Depth=3
	v_mov_b32_e32 v22, v14
	v_lshlrev_b64 v[44:45], 2, v[13:14]
	s_mov_b32 s6, exec_lo
	v_lshlrev_b64 v[46:47], 2, v[21:22]
	v_add_co_u32 v44, vcc_lo, v38, v44
	v_add_co_ci_u32_e64 v45, null, v39, v45, vcc_lo
	v_add_co_u32 v46, vcc_lo, v25, v46
	v_add_co_ci_u32_e64 v47, null, v26, v47, vcc_lo
	global_load_dword v44, v[44:45], off
	global_load_dword v45, v[46:47], off
	s_waitcnt vmcnt(1)
	v_subrev_nc_u32_e32 v44, s44, v44
	s_waitcnt vmcnt(0)
	v_subrev_nc_u32_e32 v45, s45, v45
	v_cmpx_eq_u32_e64 v44, v45
	s_cbranch_execz .LBB15_46
; %bb.50:                               ;   in Loop: Header=BB15_48 Depth=3
	v_lshlrev_b64 v[46:47], 3, v[13:14]
	v_lshlrev_b64 v[48:49], 3, v[21:22]
	v_add_co_u32 v46, vcc_lo, v40, v46
	v_add_co_ci_u32_e64 v47, null, v41, v47, vcc_lo
	v_add_co_u32 v48, vcc_lo, v27, v48
	v_add_co_ci_u32_e64 v49, null, v43, v49, vcc_lo
	global_load_dwordx2 v[46:47], v[46:47], off
	global_load_dwordx2 v[48:49], v[48:49], off
	s_waitcnt vmcnt(0)
	v_fma_f64 v[23:24], v[46:47], v[48:49], v[23:24]
	s_branch .LBB15_46
.LBB15_51:                              ;   in Loop: Header=BB15_44 Depth=2
	s_or_b32 exec_lo, exec_lo, s19
.LBB15_52:                              ;   in Loop: Header=BB15_44 Depth=2
	s_or_b32 exec_lo, exec_lo, s18
	v_lshlrev_b64 v[25:26], 3, v[15:16]
	v_cmp_le_i32_e64 s6, v2, v18
	s_mov_b32 s18, exec_lo
	v_add_co_u32 v25, vcc_lo, s22, v25
	v_add_co_ci_u32_e64 v26, null, s23, v26, vcc_lo
	global_load_dwordx2 v[25:26], v[25:26], off
	s_waitcnt vmcnt(0)
	v_add_f64 v[22:23], v[25:26], -v[23:24]
	v_cmpx_gt_i32_e64 v2, v18
	s_cbranch_execz .LBB15_56
; %bb.53:                               ;   in Loop: Header=BB15_44 Depth=2
	v_lshlrev_b64 v[24:25], 3, v[18:19]
	v_mov_b32_e32 v26, 0
	v_mov_b32_e32 v27, 0
	s_mov_b32 s19, exec_lo
	v_add_co_u32 v24, vcc_lo, s36, v24
	v_add_co_ci_u32_e64 v25, null, s37, v25, vcc_lo
	global_load_dwordx2 v[24:25], v[24:25], off
	s_waitcnt vmcnt(0)
	v_cmpx_lg_f64_e32 0, v[24:25]
	s_cbranch_execz .LBB15_55
; %bb.54:                               ;   in Loop: Header=BB15_44 Depth=2
	v_div_scale_f64 v[26:27], null, v[24:25], v[24:25], v[22:23]
	v_rcp_f64_e32 v[43:44], v[26:27]
	v_fma_f64 v[45:46], -v[26:27], v[43:44], 1.0
	v_fma_f64 v[43:44], v[43:44], v[45:46], v[43:44]
	v_fma_f64 v[45:46], -v[26:27], v[43:44], 1.0
	v_fma_f64 v[43:44], v[43:44], v[45:46], v[43:44]
	v_div_scale_f64 v[45:46], vcc_lo, v[22:23], v[24:25], v[22:23]
	v_mul_f64 v[47:48], v[45:46], v[43:44]
	v_fma_f64 v[26:27], -v[26:27], v[47:48], v[45:46]
	v_div_fmas_f64 v[26:27], v[26:27], v[43:44], v[47:48]
	v_div_fixup_f64 v[26:27], v[26:27], v[24:25], v[22:23]
.LBB15_55:                              ;   in Loop: Header=BB15_44 Depth=2
	s_or_b32 exec_lo, exec_lo, s19
	v_mov_b32_e32 v22, v26
	v_mov_b32_e32 v23, v27
.LBB15_56:                              ;   in Loop: Header=BB15_44 Depth=2
	s_or_b32 exec_lo, exec_lo, s18
	v_cmp_class_f64_e64 s19, v[22:23], 0x1f8
	s_and_saveexec_b32 s18, s19
	s_cbranch_execz .LBB15_43
; %bb.57:                               ;   in Loop: Header=BB15_44 Depth=2
	s_and_saveexec_b32 s19, s6
	s_xor_b32 s6, exec_lo, s19
	s_cbranch_execz .LBB15_70
; %bb.58:                               ;   in Loop: Header=BB15_44 Depth=2
	s_mov_b32 s19, exec_lo
	v_cmpx_ge_i32_e64 v2, v18
	s_xor_b32 s19, exec_lo, s19
	s_cbranch_execz .LBB15_60
; %bb.59:                               ;   in Loop: Header=BB15_44 Depth=2
	v_lshlrev_b64 v[18:19], 3, v[18:19]
                                        ; implicit-def: $vgpr21
                                        ; implicit-def: $vgpr42
                                        ; implicit-def: $vgpr20
	v_add_co_u32 v18, vcc_lo, s38, v18
	v_add_co_ci_u32_e64 v19, null, s39, v19, vcc_lo
	global_store_dwordx2 v[18:19], v[22:23], off
                                        ; implicit-def: $vgpr22_vgpr23
.LBB15_60:                              ;   in Loop: Header=BB15_44 Depth=2
	s_andn2_saveexec_b32 s19, s19
	s_cbranch_execz .LBB15_69
; %bb.61:                               ;   in Loop: Header=BB15_44 Depth=2
	s_mov_b32 s47, exec_lo
	v_cmpx_lt_i32_e64 v21, v42
	s_cbranch_execz .LBB15_68
; %bb.62:                               ;   in Loop: Header=BB15_44 Depth=2
	s_mov_b32 s48, 0
                                        ; implicit-def: $sgpr49
                                        ; implicit-def: $sgpr51
                                        ; implicit-def: $sgpr50
	s_inst_prefetch 0x1
	s_branch .LBB15_64
	.p2align	6
.LBB15_63:                              ;   in Loop: Header=BB15_64 Depth=3
	s_or_b32 exec_lo, exec_lo, s52
	s_and_b32 s52, exec_lo, s51
	s_or_b32 s48, s52, s48
	s_andn2_b32 s49, s49, exec_lo
	s_and_b32 s52, s50, exec_lo
	s_or_b32 s49, s49, s52
	s_andn2_b32 exec_lo, exec_lo, s48
	s_cbranch_execz .LBB15_66
.LBB15_64:                              ;   Parent Loop BB15_3 Depth=1
                                        ;     Parent Loop BB15_44 Depth=2
                                        ; =>    This Inner Loop Header: Depth=3
	v_add_nc_u32_e32 v18, v20, v21
	s_or_b32 s50, s50, exec_lo
	s_or_b32 s51, s51, exec_lo
	s_mov_b32 s52, exec_lo
	v_ashrrev_i32_e32 v19, 31, v18
	v_lshlrev_b64 v[24:25], 2, v[18:19]
	v_add_co_u32 v24, vcc_lo, s28, v24
	v_add_co_ci_u32_e64 v25, null, s29, v25, vcc_lo
	global_load_dword v13, v[24:25], off
	s_waitcnt vmcnt(0)
	v_subrev_nc_u32_e32 v13, s45, v13
	v_cmpx_ne_u32_e64 v13, v2
	s_cbranch_execz .LBB15_63
; %bb.65:                               ;   in Loop: Header=BB15_64 Depth=3
	v_add_nc_u32_e32 v21, 1, v21
	s_andn2_b32 s51, s51, exec_lo
	s_andn2_b32 s50, s50, exec_lo
	v_cmp_ge_i32_e32 vcc_lo, v21, v42
	s_and_b32 s53, vcc_lo, exec_lo
	s_or_b32 s51, s51, s53
	s_branch .LBB15_63
.LBB15_66:                              ;   in Loop: Header=BB15_44 Depth=2
	s_inst_prefetch 0x2
	s_or_b32 exec_lo, exec_lo, s48
	s_and_saveexec_b32 s48, s49
	s_xor_b32 s48, exec_lo, s48
	s_cbranch_execz .LBB15_68
; %bb.67:                               ;   in Loop: Header=BB15_44 Depth=2
	v_lshlrev_b64 v[18:19], 3, v[18:19]
	v_add_co_u32 v18, vcc_lo, s40, v18
	v_add_co_ci_u32_e64 v19, null, s41, v19, vcc_lo
	global_store_dwordx2 v[18:19], v[22:23], off
.LBB15_68:                              ;   in Loop: Header=BB15_44 Depth=2
	s_or_b32 exec_lo, exec_lo, s47
.LBB15_69:                              ;   in Loop: Header=BB15_44 Depth=2
	s_or_b32 exec_lo, exec_lo, s19
                                        ; implicit-def: $vgpr22_vgpr23
                                        ; implicit-def: $vgpr18_vgpr19
.LBB15_70:                              ;   in Loop: Header=BB15_44 Depth=2
	s_andn2_saveexec_b32 s6, s6
	s_cbranch_execz .LBB15_43
; %bb.71:                               ;   in Loop: Header=BB15_44 Depth=2
	v_cmp_lt_i32_e32 vcc_lo, v13, v37
	s_and_b32 exec_lo, exec_lo, vcc_lo
	s_cbranch_execz .LBB15_43
; %bb.72:                               ;   in Loop: Header=BB15_44 Depth=2
	s_mov_b32 s6, 0
                                        ; implicit-def: $sgpr19
                                        ; implicit-def: $sgpr48
                                        ; implicit-def: $sgpr47
	s_inst_prefetch 0x1
	s_branch .LBB15_74
	.p2align	6
.LBB15_73:                              ;   in Loop: Header=BB15_74 Depth=3
	s_or_b32 exec_lo, exec_lo, s49
	s_and_b32 s49, exec_lo, s48
	s_or_b32 s6, s49, s6
	s_andn2_b32 s19, s19, exec_lo
	s_and_b32 s49, s47, exec_lo
	s_or_b32 s19, s19, s49
	s_andn2_b32 exec_lo, exec_lo, s6
	s_cbranch_execz .LBB15_76
.LBB15_74:                              ;   Parent Loop BB15_3 Depth=1
                                        ;     Parent Loop BB15_44 Depth=2
                                        ; =>    This Inner Loop Header: Depth=3
	v_add_nc_u32_e32 v19, v17, v13
	s_or_b32 s47, s47, exec_lo
	s_or_b32 s48, s48, exec_lo
	s_mov_b32 s49, exec_lo
	v_ashrrev_i32_e32 v20, 31, v19
	v_lshlrev_b64 v[24:25], 2, v[19:20]
	v_add_co_u32 v24, vcc_lo, s12, v24
	v_add_co_ci_u32_e64 v25, null, s13, v25, vcc_lo
	global_load_dword v16, v[24:25], off
	s_waitcnt vmcnt(0)
	v_subrev_nc_u32_e32 v16, s44, v16
	v_cmpx_ne_u32_e64 v16, v18
	s_cbranch_execz .LBB15_73
; %bb.75:                               ;   in Loop: Header=BB15_74 Depth=3
	v_add_nc_u32_e32 v13, 1, v13
	s_andn2_b32 s48, s48, exec_lo
	s_andn2_b32 s47, s47, exec_lo
	v_cmp_ge_i32_e32 vcc_lo, v13, v37
	s_and_b32 s50, vcc_lo, exec_lo
	s_or_b32 s48, s48, s50
	s_branch .LBB15_73
.LBB15_76:                              ;   in Loop: Header=BB15_44 Depth=2
	s_inst_prefetch 0x2
	s_or_b32 exec_lo, exec_lo, s6
	s_and_saveexec_b32 s6, s19
	s_xor_b32 s6, exec_lo, s6
	s_cbranch_execz .LBB15_43
; %bb.77:                               ;   in Loop: Header=BB15_44 Depth=2
	v_lshlrev_b64 v[18:19], 3, v[19:20]
	v_add_co_u32 v18, vcc_lo, s42, v18
	v_add_co_ci_u32_e64 v19, null, s43, v19, vcc_lo
	global_store_dwordx2 v[18:19], v[22:23], off
	s_branch .LBB15_43
.LBB15_78:                              ;   in Loop: Header=BB15_3 Depth=1
	s_or_b32 exec_lo, exec_lo, s16
	s_and_saveexec_b32 s6, s0
	s_cbranch_execz .LBB15_2
; %bb.79:                               ;   in Loop: Header=BB15_3 Depth=1
	v_mov_b32_e32 v15, v1
	s_mov_b32 s16, 0
	s_branch .LBB15_81
.LBB15_80:                              ;   in Loop: Header=BB15_81 Depth=2
	s_or_b32 exec_lo, exec_lo, s17
	v_add_nc_u32_e32 v15, 0x200, v15
	v_cmp_le_u32_e32 vcc_lo, s46, v15
	s_or_b32 s16, vcc_lo, s16
	s_andn2_b32 exec_lo, exec_lo, s16
	s_cbranch_execz .LBB15_2
.LBB15_81:                              ;   Parent Loop BB15_3 Depth=1
                                        ; =>  This Loop Header: Depth=2
                                        ;       Child Loop BB15_84 Depth 3
                                        ;       Child Loop BB15_87 Depth 3
	s_mov_b32 s17, exec_lo
	v_cmpx_gt_i32_e64 s35, v15
	s_cbranch_execz .LBB15_80
; %bb.82:                               ;   in Loop: Header=BB15_81 Depth=2
	v_ashrrev_i32_e32 v16, 31, v15
	s_mov_b32 s18, exec_lo
	v_lshlrev_b64 v[17:18], 2, v[15:16]
	v_add_co_u32 v19, vcc_lo, s8, v17
	v_add_co_ci_u32_e64 v20, null, s9, v18, vcc_lo
	v_add_co_u32 v21, vcc_lo, s10, v17
	v_add_co_ci_u32_e64 v22, null, s11, v18, vcc_lo
	global_load_dword v13, v[19:20], off
	global_load_dword v20, v[21:22], off
	s_waitcnt vmcnt(1)
	v_add_nc_u32_e32 v19, v28, v13
	s_waitcnt vmcnt(0)
	v_subrev_nc_u32_e32 v13, s44, v20
	v_cmpx_lt_i32_e64 v19, v13
	s_cbranch_execz .LBB15_85
; %bb.83:                               ;   in Loop: Header=BB15_81 Depth=2
	v_ashrrev_i32_e32 v20, 31, v19
	s_mov_b32 s19, 0
	v_lshlrev_b64 v[22:23], 3, v[19:20]
	v_add_co_u32 v20, vcc_lo, s42, v22
	v_add_co_ci_u32_e64 v21, null, s43, v23, vcc_lo
	v_add_co_u32 v22, vcc_lo, s14, v22
	v_add_co_ci_u32_e64 v23, null, s15, v23, vcc_lo
	.p2align	6
.LBB15_84:                              ;   Parent Loop BB15_3 Depth=1
                                        ;     Parent Loop BB15_81 Depth=2
                                        ; =>    This Inner Loop Header: Depth=3
	global_load_dwordx2 v[24:25], v[20:21], off
	v_add_nc_u32_e32 v19, 2, v19
	v_add_co_u32 v20, vcc_lo, v20, 16
	v_add_co_ci_u32_e64 v21, null, 0, v21, vcc_lo
	v_cmp_ge_i32_e32 vcc_lo, v19, v13
	s_or_b32 s19, vcc_lo, s19
	s_waitcnt vmcnt(0)
	global_store_dwordx2 v[22:23], v[24:25], off
	v_add_co_u32 v22, s5, v22, 16
	v_add_co_ci_u32_e64 v23, null, 0, v23, s5
	s_andn2_b32 exec_lo, exec_lo, s19
	s_cbranch_execnz .LBB15_84
.LBB15_85:                              ;   in Loop: Header=BB15_81 Depth=2
	s_or_b32 exec_lo, exec_lo, s18
	v_add_co_u32 v19, vcc_lo, s24, v17
	v_add_co_ci_u32_e64 v20, null, s25, v18, vcc_lo
	v_add_co_u32 v17, vcc_lo, s26, v17
	v_add_co_ci_u32_e64 v18, null, s27, v18, vcc_lo
	global_load_dword v13, v[19:20], off
	global_load_dword v18, v[17:18], off
	s_mov_b32 s18, exec_lo
	s_waitcnt vmcnt(1)
	v_add_nc_u32_e32 v17, v29, v13
	s_waitcnt vmcnt(0)
	v_subrev_nc_u32_e32 v13, s45, v18
	v_cmpx_lt_i32_e64 v17, v13
	s_cbranch_execz .LBB15_88
; %bb.86:                               ;   in Loop: Header=BB15_81 Depth=2
	v_ashrrev_i32_e32 v18, 31, v17
	s_mov_b32 s19, 0
	v_lshlrev_b64 v[20:21], 3, v[17:18]
	v_add_co_u32 v18, vcc_lo, s40, v20
	v_add_co_ci_u32_e64 v19, null, s41, v21, vcc_lo
	v_add_co_u32 v20, vcc_lo, s30, v20
	v_add_co_ci_u32_e64 v21, null, s31, v21, vcc_lo
	.p2align	6
.LBB15_87:                              ;   Parent Loop BB15_3 Depth=1
                                        ;     Parent Loop BB15_81 Depth=2
                                        ; =>    This Inner Loop Header: Depth=3
	global_load_dwordx2 v[22:23], v[18:19], off
	v_add_nc_u32_e32 v17, 2, v17
	v_add_co_u32 v18, vcc_lo, v18, 16
	v_add_co_ci_u32_e64 v19, null, 0, v19, vcc_lo
	v_cmp_ge_i32_e32 vcc_lo, v17, v13
	s_or_b32 s19, vcc_lo, s19
	s_waitcnt vmcnt(0)
	global_store_dwordx2 v[20:21], v[22:23], off
	v_add_co_u32 v20, s5, v20, 16
	v_add_co_ci_u32_e64 v21, null, 0, v21, s5
	s_andn2_b32 exec_lo, exec_lo, s19
	s_cbranch_execnz .LBB15_87
.LBB15_88:                              ;   in Loop: Header=BB15_81 Depth=2
	s_or_b32 exec_lo, exec_lo, s18
	s_and_b32 exec_lo, exec_lo, s1
	s_cbranch_execz .LBB15_80
; %bb.89:                               ;   in Loop: Header=BB15_81 Depth=2
	v_lshlrev_b64 v[16:17], 3, v[15:16]
	v_add_co_u32 v18, vcc_lo, s38, v16
	v_add_co_ci_u32_e64 v19, null, s39, v17, vcc_lo
	v_add_co_u32 v16, vcc_lo, s36, v16
	v_add_co_ci_u32_e64 v17, null, s37, v17, vcc_lo
	global_load_dwordx2 v[18:19], v[18:19], off
	s_waitcnt vmcnt(0)
	global_store_dwordx2 v[16:17], v[18:19], off
	s_branch .LBB15_80
.LBB15_90:
	s_endpgm
	.section	.rodata,"a",@progbits
	.p2align	6, 0x0
	.amdhsa_kernel _ZN9rocsparseL14kernel_freerunILi1024ELi2EdiiEEvT3_S1_T2_PKS2_S4_PKS1_PKT1_21rocsparse_index_base_S4_S4_S6_PS7_SB_SA_S4_S4_S6_SB_SB_SA_SB_SB_
		.amdhsa_group_segment_fixed_size 0
		.amdhsa_private_segment_fixed_size 0
		.amdhsa_kernarg_size 168
		.amdhsa_user_sgpr_count 6
		.amdhsa_user_sgpr_private_segment_buffer 1
		.amdhsa_user_sgpr_dispatch_ptr 0
		.amdhsa_user_sgpr_queue_ptr 0
		.amdhsa_user_sgpr_kernarg_segment_ptr 1
		.amdhsa_user_sgpr_dispatch_id 0
		.amdhsa_user_sgpr_flat_scratch_init 0
		.amdhsa_user_sgpr_private_segment_size 0
		.amdhsa_wavefront_size32 1
		.amdhsa_uses_dynamic_stack 0
		.amdhsa_system_sgpr_private_segment_wavefront_offset 0
		.amdhsa_system_sgpr_workgroup_id_x 1
		.amdhsa_system_sgpr_workgroup_id_y 0
		.amdhsa_system_sgpr_workgroup_id_z 0
		.amdhsa_system_sgpr_workgroup_info 0
		.amdhsa_system_vgpr_workitem_id 0
		.amdhsa_next_free_vgpr 50
		.amdhsa_next_free_sgpr 54
		.amdhsa_reserve_vcc 1
		.amdhsa_reserve_flat_scratch 0
		.amdhsa_float_round_mode_32 0
		.amdhsa_float_round_mode_16_64 0
		.amdhsa_float_denorm_mode_32 3
		.amdhsa_float_denorm_mode_16_64 3
		.amdhsa_dx10_clamp 1
		.amdhsa_ieee_mode 1
		.amdhsa_fp16_overflow 0
		.amdhsa_workgroup_processor_mode 1
		.amdhsa_memory_ordered 1
		.amdhsa_forward_progress 1
		.amdhsa_shared_vgpr_count 0
		.amdhsa_exception_fp_ieee_invalid_op 0
		.amdhsa_exception_fp_denorm_src 0
		.amdhsa_exception_fp_ieee_div_zero 0
		.amdhsa_exception_fp_ieee_overflow 0
		.amdhsa_exception_fp_ieee_underflow 0
		.amdhsa_exception_fp_ieee_inexact 0
		.amdhsa_exception_int_div_zero 0
	.end_amdhsa_kernel
	.section	.text._ZN9rocsparseL14kernel_freerunILi1024ELi2EdiiEEvT3_S1_T2_PKS2_S4_PKS1_PKT1_21rocsparse_index_base_S4_S4_S6_PS7_SB_SA_S4_S4_S6_SB_SB_SA_SB_SB_,"axG",@progbits,_ZN9rocsparseL14kernel_freerunILi1024ELi2EdiiEEvT3_S1_T2_PKS2_S4_PKS1_PKT1_21rocsparse_index_base_S4_S4_S6_PS7_SB_SA_S4_S4_S6_SB_SB_SA_SB_SB_,comdat
.Lfunc_end15:
	.size	_ZN9rocsparseL14kernel_freerunILi1024ELi2EdiiEEvT3_S1_T2_PKS2_S4_PKS1_PKT1_21rocsparse_index_base_S4_S4_S6_PS7_SB_SA_S4_S4_S6_SB_SB_SA_SB_SB_, .Lfunc_end15-_ZN9rocsparseL14kernel_freerunILi1024ELi2EdiiEEvT3_S1_T2_PKS2_S4_PKS1_PKT1_21rocsparse_index_base_S4_S4_S6_PS7_SB_SA_S4_S4_S6_SB_SB_SA_SB_SB_
                                        ; -- End function
	.set _ZN9rocsparseL14kernel_freerunILi1024ELi2EdiiEEvT3_S1_T2_PKS2_S4_PKS1_PKT1_21rocsparse_index_base_S4_S4_S6_PS7_SB_SA_S4_S4_S6_SB_SB_SA_SB_SB_.num_vgpr, 50
	.set _ZN9rocsparseL14kernel_freerunILi1024ELi2EdiiEEvT3_S1_T2_PKS2_S4_PKS1_PKT1_21rocsparse_index_base_S4_S4_S6_PS7_SB_SA_S4_S4_S6_SB_SB_SA_SB_SB_.num_agpr, 0
	.set _ZN9rocsparseL14kernel_freerunILi1024ELi2EdiiEEvT3_S1_T2_PKS2_S4_PKS1_PKT1_21rocsparse_index_base_S4_S4_S6_PS7_SB_SA_S4_S4_S6_SB_SB_SA_SB_SB_.numbered_sgpr, 54
	.set _ZN9rocsparseL14kernel_freerunILi1024ELi2EdiiEEvT3_S1_T2_PKS2_S4_PKS1_PKT1_21rocsparse_index_base_S4_S4_S6_PS7_SB_SA_S4_S4_S6_SB_SB_SA_SB_SB_.num_named_barrier, 0
	.set _ZN9rocsparseL14kernel_freerunILi1024ELi2EdiiEEvT3_S1_T2_PKS2_S4_PKS1_PKT1_21rocsparse_index_base_S4_S4_S6_PS7_SB_SA_S4_S4_S6_SB_SB_SA_SB_SB_.private_seg_size, 0
	.set _ZN9rocsparseL14kernel_freerunILi1024ELi2EdiiEEvT3_S1_T2_PKS2_S4_PKS1_PKT1_21rocsparse_index_base_S4_S4_S6_PS7_SB_SA_S4_S4_S6_SB_SB_SA_SB_SB_.uses_vcc, 1
	.set _ZN9rocsparseL14kernel_freerunILi1024ELi2EdiiEEvT3_S1_T2_PKS2_S4_PKS1_PKT1_21rocsparse_index_base_S4_S4_S6_PS7_SB_SA_S4_S4_S6_SB_SB_SA_SB_SB_.uses_flat_scratch, 0
	.set _ZN9rocsparseL14kernel_freerunILi1024ELi2EdiiEEvT3_S1_T2_PKS2_S4_PKS1_PKT1_21rocsparse_index_base_S4_S4_S6_PS7_SB_SA_S4_S4_S6_SB_SB_SA_SB_SB_.has_dyn_sized_stack, 0
	.set _ZN9rocsparseL14kernel_freerunILi1024ELi2EdiiEEvT3_S1_T2_PKS2_S4_PKS1_PKT1_21rocsparse_index_base_S4_S4_S6_PS7_SB_SA_S4_S4_S6_SB_SB_SA_SB_SB_.has_recursion, 0
	.set _ZN9rocsparseL14kernel_freerunILi1024ELi2EdiiEEvT3_S1_T2_PKS2_S4_PKS1_PKT1_21rocsparse_index_base_S4_S4_S6_PS7_SB_SA_S4_S4_S6_SB_SB_SA_SB_SB_.has_indirect_call, 0
	.section	.AMDGPU.csdata,"",@progbits
; Kernel info:
; codeLenInByte = 3992
; TotalNumSgprs: 56
; NumVgprs: 50
; ScratchSize: 0
; MemoryBound: 1
; FloatMode: 240
; IeeeMode: 1
; LDSByteSize: 0 bytes/workgroup (compile time only)
; SGPRBlocks: 0
; VGPRBlocks: 6
; NumSGPRsForWavesPerEU: 56
; NumVGPRsForWavesPerEU: 50
; Occupancy: 16
; WaveLimiterHint : 1
; COMPUTE_PGM_RSRC2:SCRATCH_EN: 0
; COMPUTE_PGM_RSRC2:USER_SGPR: 6
; COMPUTE_PGM_RSRC2:TRAP_HANDLER: 0
; COMPUTE_PGM_RSRC2:TGID_X_EN: 1
; COMPUTE_PGM_RSRC2:TGID_Y_EN: 0
; COMPUTE_PGM_RSRC2:TGID_Z_EN: 0
; COMPUTE_PGM_RSRC2:TIDIG_COMP_CNT: 0
	.section	.text._ZN9rocsparseL14kernel_freerunILi1024ELi4EdiiEEvT3_S1_T2_PKS2_S4_PKS1_PKT1_21rocsparse_index_base_S4_S4_S6_PS7_SB_SA_S4_S4_S6_SB_SB_SA_SB_SB_,"axG",@progbits,_ZN9rocsparseL14kernel_freerunILi1024ELi4EdiiEEvT3_S1_T2_PKS2_S4_PKS1_PKT1_21rocsparse_index_base_S4_S4_S6_PS7_SB_SA_S4_S4_S6_SB_SB_SA_SB_SB_,comdat
	.globl	_ZN9rocsparseL14kernel_freerunILi1024ELi4EdiiEEvT3_S1_T2_PKS2_S4_PKS1_PKT1_21rocsparse_index_base_S4_S4_S6_PS7_SB_SA_S4_S4_S6_SB_SB_SA_SB_SB_ ; -- Begin function _ZN9rocsparseL14kernel_freerunILi1024ELi4EdiiEEvT3_S1_T2_PKS2_S4_PKS1_PKT1_21rocsparse_index_base_S4_S4_S6_PS7_SB_SA_S4_S4_S6_SB_SB_SA_SB_SB_
	.p2align	8
	.type	_ZN9rocsparseL14kernel_freerunILi1024ELi4EdiiEEvT3_S1_T2_PKS2_S4_PKS1_PKT1_21rocsparse_index_base_S4_S4_S6_PS7_SB_SA_S4_S4_S6_SB_SB_SA_SB_SB_,@function
_ZN9rocsparseL14kernel_freerunILi1024ELi4EdiiEEvT3_S1_T2_PKS2_S4_PKS1_PKT1_21rocsparse_index_base_S4_S4_S6_PS7_SB_SA_S4_S4_S6_SB_SB_SA_SB_SB_: ; @_ZN9rocsparseL14kernel_freerunILi1024ELi4EdiiEEvT3_S1_T2_PKS2_S4_PKS1_PKT1_21rocsparse_index_base_S4_S4_S6_PS7_SB_SA_S4_S4_S6_SB_SB_SA_SB_SB_
; %bb.0:
	s_load_dwordx2 s[34:35], s[4:5], 0x0
	v_lshrrev_b32_e32 v1, 2, v0
	s_lshl_b32 s0, s6, 10
	s_mov_b32 s33, 0
	v_or_b32_e32 v16, s0, v1
	s_waitcnt lgkmcnt(0)
	v_cmp_gt_i32_e32 vcc_lo, s35, v16
	s_cmp_gt_i32 s34, 0
	s_cselect_b32 s1, -1, 0
	s_and_b32 s1, vcc_lo, s1
	s_and_saveexec_b32 s2, s1
	s_cbranch_execz .LBB16_55
; %bb.1:
	s_clause 0x8
	s_load_dword s42, s[4:5], 0x30
	s_load_dword s43, s[4:5], 0x60
	;; [unrolled: 1-line block ×3, first 2 shown]
	s_load_dwordx2 s[6:7], s[4:5], 0x88
	s_load_dwordx2 s[40:41], s[4:5], 0x58
	s_load_dwordx4 s[36:39], s[4:5], 0x98
	s_load_dwordx8 s[8:15], s[4:5], 0x68
	s_load_dwordx8 s[16:23], s[4:5], 0x38
	s_load_dwordx8 s[24:31], s[4:5], 0x10
	v_and_b32_e32 v0, 3, v0
	s_add_i32 s4, s0, 0x400
	v_mov_b32_e32 v1, 0
	v_cmp_gt_u32_e64 s0, s4, v16
	v_cmp_eq_u32_e64 s1, 0, v0
	s_waitcnt lgkmcnt(0)
	v_subrev_nc_u32_e32 v17, s42, v0
	v_subrev_nc_u32_e32 v18, s43, v0
	;; [unrolled: 1-line block ×3, first 2 shown]
	s_branch .LBB16_3
.LBB16_2:                               ;   in Loop: Header=BB16_3 Depth=1
	s_or_b32 exec_lo, exec_lo, s3
	s_add_i32 s33, s33, 1
	s_cmp_eq_u32 s33, s34
	s_cbranch_scc1 .LBB16_55
.LBB16_3:                               ; =>This Loop Header: Depth=1
                                        ;     Child Loop BB16_5 Depth 2
                                        ;       Child Loop BB16_9 Depth 3
                                        ;         Child Loop BB16_13 Depth 4
                                        ;         Child Loop BB16_29 Depth 4
	;; [unrolled: 1-line block ×3, first 2 shown]
                                        ;     Child Loop BB16_46 Depth 2
                                        ;       Child Loop BB16_49 Depth 3
                                        ;       Child Loop BB16_52 Depth 3
	s_mov_b32 s5, 0
	s_branch .LBB16_5
.LBB16_4:                               ;   in Loop: Header=BB16_5 Depth=2
	s_or_b32 exec_lo, exec_lo, s45
	s_add_i32 s5, s5, 1
	s_cmp_eq_u32 s5, 4
	s_cbranch_scc1 .LBB16_43
.LBB16_5:                               ;   Parent Loop BB16_3 Depth=1
                                        ; =>  This Loop Header: Depth=2
                                        ;       Child Loop BB16_9 Depth 3
                                        ;         Child Loop BB16_13 Depth 4
                                        ;         Child Loop BB16_29 Depth 4
	;; [unrolled: 1-line block ×3, first 2 shown]
	v_lshl_add_u32 v2, s5, 8, v16
	s_mov_b32 s45, exec_lo
	v_cmpx_gt_i32_e64 s35, v2
	s_cbranch_execz .LBB16_4
; %bb.6:                                ;   in Loop: Header=BB16_5 Depth=2
	v_ashrrev_i32_e32 v3, 31, v2
	v_lshlrev_b64 v[4:5], 2, v[2:3]
	v_add_co_u32 v6, vcc_lo, s24, v4
	v_add_co_ci_u32_e64 v7, null, s25, v5, vcc_lo
	v_add_co_u32 v8, vcc_lo, s26, v4
	v_add_co_ci_u32_e64 v9, null, s27, v5, vcc_lo
	global_load_dword v0, v[6:7], off
	global_load_dword v6, v[8:9], off
	s_waitcnt vmcnt(1)
	v_add_nc_u32_e32 v3, v17, v0
	s_waitcnt vmcnt(0)
	v_subrev_nc_u32_e32 v20, s42, v6
	v_cmp_lt_i32_e32 vcc_lo, v3, v20
	s_and_b32 exec_lo, exec_lo, vcc_lo
	s_cbranch_execz .LBB16_4
; %bb.7:                                ;   in Loop: Header=BB16_5 Depth=2
	v_add_co_u32 v6, vcc_lo, s16, v4
	v_add_co_ci_u32_e64 v7, null, s17, v5, vcc_lo
	v_add_co_u32 v4, vcc_lo, s18, v4
	v_add_co_ci_u32_e64 v5, null, s19, v5, vcc_lo
	global_load_dword v0, v[6:7], off
	s_mov_b32 s46, 0
	global_load_dword v4, v[4:5], off
	s_waitcnt vmcnt(1)
	v_subrev_nc_u32_e32 v5, s43, v0
	s_waitcnt vmcnt(0)
	v_sub_nc_u32_e32 v21, v4, v0
	v_ashrrev_i32_e32 v6, 31, v5
	v_cmp_lt_i32_e64 s2, 0, v21
	v_lshlrev_b64 v[7:8], 2, v[5:6]
	v_lshlrev_b64 v[9:10], 3, v[5:6]
	v_add_co_u32 v22, vcc_lo, s20, v7
	v_add_co_ci_u32_e64 v23, null, s21, v8, vcc_lo
	v_add_co_u32 v24, vcc_lo, s22, v9
	v_add_co_ci_u32_e64 v25, null, s23, v10, vcc_lo
	s_branch .LBB16_9
.LBB16_8:                               ;   in Loop: Header=BB16_9 Depth=3
	s_or_b32 exec_lo, exec_lo, s47
	v_add_nc_u32_e32 v3, 4, v3
	v_cmp_ge_i32_e32 vcc_lo, v3, v20
	s_or_b32 s46, vcc_lo, s46
	s_andn2_b32 exec_lo, exec_lo, s46
	s_cbranch_execz .LBB16_4
.LBB16_9:                               ;   Parent Loop BB16_3 Depth=1
                                        ;     Parent Loop BB16_5 Depth=2
                                        ; =>    This Loop Header: Depth=3
                                        ;         Child Loop BB16_13 Depth 4
                                        ;         Child Loop BB16_29 Depth 4
                                        ;         Child Loop BB16_39 Depth 4
	v_ashrrev_i32_e32 v4, 31, v3
	v_lshlrev_b64 v[6:7], 2, v[3:4]
	v_add_co_u32 v6, vcc_lo, s28, v6
	v_add_co_ci_u32_e64 v7, null, s29, v7, vcc_lo
	global_load_dword v0, v[6:7], off
	s_waitcnt vmcnt(0)
	v_subrev_nc_u32_e32 v6, s42, v0
	v_ashrrev_i32_e32 v7, 31, v6
	v_lshlrev_b64 v[8:9], 2, v[6:7]
	v_add_co_u32 v10, vcc_lo, s8, v8
	v_add_co_ci_u32_e64 v11, null, s9, v9, vcc_lo
	v_add_co_u32 v8, vcc_lo, s10, v8
	v_add_co_ci_u32_e64 v9, null, s11, v9, vcc_lo
	global_load_dword v0, v[10:11], off
	global_load_dword v10, v[8:9], off
	v_mov_b32_e32 v9, 0
	v_mov_b32_e32 v11, 0
	;; [unrolled: 1-line block ×3, first 2 shown]
	s_waitcnt vmcnt(1)
	v_subrev_nc_u32_e32 v8, s44, v0
	s_waitcnt vmcnt(0)
	v_sub_nc_u32_e32 v26, v10, v0
	v_mov_b32_e32 v0, v9
	s_and_saveexec_b32 s47, s2
	s_cbranch_execz .LBB16_17
; %bb.10:                               ;   in Loop: Header=BB16_9 Depth=3
	v_ashrrev_i32_e32 v9, 31, v8
	v_mov_b32_e32 v11, 0
	v_mov_b32_e32 v12, 0
	;; [unrolled: 1-line block ×3, first 2 shown]
	s_mov_b32 s48, 0
	v_lshlrev_b64 v[13:14], 2, v[8:9]
	v_lshlrev_b64 v[9:10], 3, v[8:9]
                                        ; implicit-def: $sgpr49
	v_add_co_u32 v13, vcc_lo, s12, v13
	v_add_co_ci_u32_e64 v14, null, s13, v14, vcc_lo
	v_add_co_u32 v15, vcc_lo, s14, v9
	v_add_co_ci_u32_e64 v27, null, s15, v10, vcc_lo
	v_mov_b32_e32 v9, 0
	s_branch .LBB16_13
.LBB16_11:                              ;   in Loop: Header=BB16_13 Depth=4
	s_or_b32 exec_lo, exec_lo, s3
	v_cmp_le_i32_e32 vcc_lo, v28, v29
	v_cmp_ge_i32_e64 s3, v28, v29
	v_add_co_ci_u32_e64 v0, null, 0, v0, vcc_lo
	v_add_co_ci_u32_e64 v9, null, 0, v9, s3
	s_andn2_b32 s3, s49, exec_lo
	v_cmp_ge_i32_e32 vcc_lo, v0, v21
	s_and_b32 s49, vcc_lo, exec_lo
	s_or_b32 s49, s3, s49
.LBB16_12:                              ;   in Loop: Header=BB16_13 Depth=4
	s_or_b32 exec_lo, exec_lo, s50
	s_and_b32 s3, exec_lo, s49
	s_or_b32 s48, s3, s48
	s_andn2_b32 exec_lo, exec_lo, s48
	s_cbranch_execz .LBB16_16
.LBB16_13:                              ;   Parent Loop BB16_3 Depth=1
                                        ;     Parent Loop BB16_5 Depth=2
                                        ;       Parent Loop BB16_9 Depth=3
                                        ; =>      This Inner Loop Header: Depth=4
	s_or_b32 s49, s49, exec_lo
	s_mov_b32 s50, exec_lo
	v_cmpx_lt_i32_e64 v9, v26
	s_cbranch_execz .LBB16_12
; %bb.14:                               ;   in Loop: Header=BB16_13 Depth=4
	v_mov_b32_e32 v10, v1
	v_lshlrev_b64 v[28:29], 2, v[0:1]
	s_mov_b32 s3, exec_lo
	v_lshlrev_b64 v[30:31], 2, v[9:10]
	v_add_co_u32 v28, vcc_lo, v22, v28
	v_add_co_ci_u32_e64 v29, null, v23, v29, vcc_lo
	v_add_co_u32 v30, vcc_lo, v13, v30
	v_add_co_ci_u32_e64 v31, null, v14, v31, vcc_lo
	global_load_dword v28, v[28:29], off
	global_load_dword v29, v[30:31], off
	s_waitcnt vmcnt(1)
	v_subrev_nc_u32_e32 v28, s43, v28
	s_waitcnt vmcnt(0)
	v_subrev_nc_u32_e32 v29, s44, v29
	v_cmpx_eq_u32_e64 v28, v29
	s_cbranch_execz .LBB16_11
; %bb.15:                               ;   in Loop: Header=BB16_13 Depth=4
	v_lshlrev_b64 v[30:31], 3, v[0:1]
	v_lshlrev_b64 v[32:33], 3, v[9:10]
	v_add_co_u32 v30, vcc_lo, v24, v30
	v_add_co_ci_u32_e64 v31, null, v25, v31, vcc_lo
	v_add_co_u32 v32, vcc_lo, v15, v32
	v_add_co_ci_u32_e64 v33, null, v27, v33, vcc_lo
	global_load_dwordx2 v[30:31], v[30:31], off
	global_load_dwordx2 v[32:33], v[32:33], off
	s_waitcnt vmcnt(0)
	v_fma_f64 v[11:12], v[30:31], v[32:33], v[11:12]
	s_branch .LBB16_11
.LBB16_16:                              ;   in Loop: Header=BB16_9 Depth=3
	s_or_b32 exec_lo, exec_lo, s48
.LBB16_17:                              ;   in Loop: Header=BB16_9 Depth=3
	s_or_b32 exec_lo, exec_lo, s47
	v_lshlrev_b64 v[13:14], 3, v[3:4]
	v_cmp_le_i32_e64 s3, v2, v6
	s_mov_b32 s47, exec_lo
	v_add_co_u32 v13, vcc_lo, s30, v13
	v_add_co_ci_u32_e64 v14, null, s31, v14, vcc_lo
	global_load_dwordx2 v[13:14], v[13:14], off
	s_waitcnt vmcnt(0)
	v_add_f64 v[10:11], v[13:14], -v[11:12]
	v_cmpx_gt_i32_e64 v2, v6
	s_cbranch_execz .LBB16_21
; %bb.18:                               ;   in Loop: Header=BB16_9 Depth=3
	v_lshlrev_b64 v[12:13], 3, v[6:7]
	v_mov_b32_e32 v14, 0
	v_mov_b32_e32 v15, 0
	s_mov_b32 s48, exec_lo
	v_add_co_u32 v12, vcc_lo, s36, v12
	v_add_co_ci_u32_e64 v13, null, s37, v13, vcc_lo
	global_load_dwordx2 v[12:13], v[12:13], off
	s_waitcnt vmcnt(0)
	v_cmpx_lg_f64_e32 0, v[12:13]
	s_cbranch_execz .LBB16_20
; %bb.19:                               ;   in Loop: Header=BB16_9 Depth=3
	v_div_scale_f64 v[14:15], null, v[12:13], v[12:13], v[10:11]
	v_rcp_f64_e32 v[27:28], v[14:15]
	v_fma_f64 v[29:30], -v[14:15], v[27:28], 1.0
	v_fma_f64 v[27:28], v[27:28], v[29:30], v[27:28]
	v_fma_f64 v[29:30], -v[14:15], v[27:28], 1.0
	v_fma_f64 v[27:28], v[27:28], v[29:30], v[27:28]
	v_div_scale_f64 v[29:30], vcc_lo, v[10:11], v[12:13], v[10:11]
	v_mul_f64 v[31:32], v[29:30], v[27:28]
	v_fma_f64 v[14:15], -v[14:15], v[31:32], v[29:30]
	v_div_fmas_f64 v[14:15], v[14:15], v[27:28], v[31:32]
	v_div_fixup_f64 v[14:15], v[14:15], v[12:13], v[10:11]
.LBB16_20:                              ;   in Loop: Header=BB16_9 Depth=3
	s_or_b32 exec_lo, exec_lo, s48
	v_mov_b32_e32 v10, v14
	v_mov_b32_e32 v11, v15
.LBB16_21:                              ;   in Loop: Header=BB16_9 Depth=3
	s_or_b32 exec_lo, exec_lo, s47
	v_cmp_class_f64_e64 s48, v[10:11], 0x1f8
	s_and_saveexec_b32 s47, s48
	s_cbranch_execz .LBB16_8
; %bb.22:                               ;   in Loop: Header=BB16_9 Depth=3
	s_and_saveexec_b32 s48, s3
	s_xor_b32 s3, exec_lo, s48
	s_cbranch_execz .LBB16_35
; %bb.23:                               ;   in Loop: Header=BB16_9 Depth=3
	s_mov_b32 s48, exec_lo
	v_cmpx_ge_i32_e64 v2, v6
	s_xor_b32 s48, exec_lo, s48
	s_cbranch_execz .LBB16_25
; %bb.24:                               ;   in Loop: Header=BB16_9 Depth=3
	v_lshlrev_b64 v[6:7], 3, v[6:7]
                                        ; implicit-def: $vgpr9
                                        ; implicit-def: $vgpr26
                                        ; implicit-def: $vgpr8
	v_add_co_u32 v6, vcc_lo, s38, v6
	v_add_co_ci_u32_e64 v7, null, s39, v7, vcc_lo
	global_store_dwordx2 v[6:7], v[10:11], off
                                        ; implicit-def: $vgpr10_vgpr11
.LBB16_25:                              ;   in Loop: Header=BB16_9 Depth=3
	s_andn2_saveexec_b32 s48, s48
	s_cbranch_execz .LBB16_34
; %bb.26:                               ;   in Loop: Header=BB16_9 Depth=3
	s_mov_b32 s49, exec_lo
	v_cmpx_lt_i32_e64 v9, v26
	s_cbranch_execz .LBB16_33
; %bb.27:                               ;   in Loop: Header=BB16_9 Depth=3
	s_mov_b32 s50, 0
                                        ; implicit-def: $sgpr51
                                        ; implicit-def: $sgpr53
                                        ; implicit-def: $sgpr52
	s_inst_prefetch 0x1
	s_branch .LBB16_29
	.p2align	6
.LBB16_28:                              ;   in Loop: Header=BB16_29 Depth=4
	s_or_b32 exec_lo, exec_lo, s54
	s_and_b32 s54, exec_lo, s53
	s_or_b32 s50, s54, s50
	s_andn2_b32 s51, s51, exec_lo
	s_and_b32 s54, s52, exec_lo
	s_or_b32 s51, s51, s54
	s_andn2_b32 exec_lo, exec_lo, s50
	s_cbranch_execz .LBB16_31
.LBB16_29:                              ;   Parent Loop BB16_3 Depth=1
                                        ;     Parent Loop BB16_5 Depth=2
                                        ;       Parent Loop BB16_9 Depth=3
                                        ; =>      This Inner Loop Header: Depth=4
	v_add_nc_u32_e32 v6, v8, v9
	s_or_b32 s52, s52, exec_lo
	s_or_b32 s53, s53, exec_lo
	s_mov_b32 s54, exec_lo
	v_ashrrev_i32_e32 v7, 31, v6
	v_lshlrev_b64 v[12:13], 2, v[6:7]
	v_add_co_u32 v12, vcc_lo, s12, v12
	v_add_co_ci_u32_e64 v13, null, s13, v13, vcc_lo
	global_load_dword v0, v[12:13], off
	s_waitcnt vmcnt(0)
	v_subrev_nc_u32_e32 v0, s44, v0
	v_cmpx_ne_u32_e64 v0, v2
	s_cbranch_execz .LBB16_28
; %bb.30:                               ;   in Loop: Header=BB16_29 Depth=4
	v_add_nc_u32_e32 v9, 1, v9
	s_andn2_b32 s53, s53, exec_lo
	s_andn2_b32 s52, s52, exec_lo
	v_cmp_ge_i32_e32 vcc_lo, v9, v26
	s_and_b32 s55, vcc_lo, exec_lo
	s_or_b32 s53, s53, s55
	s_branch .LBB16_28
.LBB16_31:                              ;   in Loop: Header=BB16_9 Depth=3
	s_inst_prefetch 0x2
	s_or_b32 exec_lo, exec_lo, s50
	s_and_saveexec_b32 s50, s51
	s_xor_b32 s50, exec_lo, s50
	s_cbranch_execz .LBB16_33
; %bb.32:                               ;   in Loop: Header=BB16_9 Depth=3
	v_lshlrev_b64 v[6:7], 3, v[6:7]
	v_add_co_u32 v6, vcc_lo, s6, v6
	v_add_co_ci_u32_e64 v7, null, s7, v7, vcc_lo
	global_store_dwordx2 v[6:7], v[10:11], off
.LBB16_33:                              ;   in Loop: Header=BB16_9 Depth=3
	s_or_b32 exec_lo, exec_lo, s49
.LBB16_34:                              ;   in Loop: Header=BB16_9 Depth=3
	s_or_b32 exec_lo, exec_lo, s48
                                        ; implicit-def: $vgpr10_vgpr11
                                        ; implicit-def: $vgpr6_vgpr7
.LBB16_35:                              ;   in Loop: Header=BB16_9 Depth=3
	s_andn2_saveexec_b32 s3, s3
	s_cbranch_execz .LBB16_8
; %bb.36:                               ;   in Loop: Header=BB16_9 Depth=3
	v_cmp_lt_i32_e32 vcc_lo, v0, v21
	s_and_b32 exec_lo, exec_lo, vcc_lo
	s_cbranch_execz .LBB16_8
; %bb.37:                               ;   in Loop: Header=BB16_9 Depth=3
	s_mov_b32 s3, 0
                                        ; implicit-def: $sgpr48
                                        ; implicit-def: $sgpr50
                                        ; implicit-def: $sgpr49
	s_inst_prefetch 0x1
	s_branch .LBB16_39
	.p2align	6
.LBB16_38:                              ;   in Loop: Header=BB16_39 Depth=4
	s_or_b32 exec_lo, exec_lo, s51
	s_and_b32 s51, exec_lo, s50
	s_or_b32 s3, s51, s3
	s_andn2_b32 s48, s48, exec_lo
	s_and_b32 s51, s49, exec_lo
	s_or_b32 s48, s48, s51
	s_andn2_b32 exec_lo, exec_lo, s3
	s_cbranch_execz .LBB16_41
.LBB16_39:                              ;   Parent Loop BB16_3 Depth=1
                                        ;     Parent Loop BB16_5 Depth=2
                                        ;       Parent Loop BB16_9 Depth=3
                                        ; =>      This Inner Loop Header: Depth=4
	v_add_nc_u32_e32 v7, v5, v0
	s_or_b32 s49, s49, exec_lo
	s_or_b32 s50, s50, exec_lo
	s_mov_b32 s51, exec_lo
	v_ashrrev_i32_e32 v8, 31, v7
	v_lshlrev_b64 v[12:13], 2, v[7:8]
	v_add_co_u32 v12, vcc_lo, s20, v12
	v_add_co_ci_u32_e64 v13, null, s21, v13, vcc_lo
	global_load_dword v4, v[12:13], off
	s_waitcnt vmcnt(0)
	v_subrev_nc_u32_e32 v4, s43, v4
	v_cmpx_ne_u32_e64 v4, v6
	s_cbranch_execz .LBB16_38
; %bb.40:                               ;   in Loop: Header=BB16_39 Depth=4
	v_add_nc_u32_e32 v0, 1, v0
	s_andn2_b32 s50, s50, exec_lo
	s_andn2_b32 s49, s49, exec_lo
	v_cmp_ge_i32_e32 vcc_lo, v0, v21
	s_and_b32 s52, vcc_lo, exec_lo
	s_or_b32 s50, s50, s52
	s_branch .LBB16_38
.LBB16_41:                              ;   in Loop: Header=BB16_9 Depth=3
	s_inst_prefetch 0x2
	s_or_b32 exec_lo, exec_lo, s3
	s_and_saveexec_b32 s3, s48
	s_xor_b32 s3, exec_lo, s3
	s_cbranch_execz .LBB16_8
; %bb.42:                               ;   in Loop: Header=BB16_9 Depth=3
	v_lshlrev_b64 v[6:7], 3, v[7:8]
	v_add_co_u32 v6, vcc_lo, s40, v6
	v_add_co_ci_u32_e64 v7, null, s41, v7, vcc_lo
	global_store_dwordx2 v[6:7], v[10:11], off
	s_branch .LBB16_8
.LBB16_43:                              ;   in Loop: Header=BB16_3 Depth=1
	s_and_saveexec_b32 s3, s0
	s_cbranch_execz .LBB16_2
; %bb.44:                               ;   in Loop: Header=BB16_3 Depth=1
	v_mov_b32_e32 v2, v16
	s_mov_b32 s5, 0
	s_branch .LBB16_46
.LBB16_45:                              ;   in Loop: Header=BB16_46 Depth=2
	s_or_b32 exec_lo, exec_lo, s45
	v_add_nc_u32_e32 v2, 0x100, v2
	v_cmp_le_u32_e32 vcc_lo, s4, v2
	s_or_b32 s5, vcc_lo, s5
	s_andn2_b32 exec_lo, exec_lo, s5
	s_cbranch_execz .LBB16_2
.LBB16_46:                              ;   Parent Loop BB16_3 Depth=1
                                        ; =>  This Loop Header: Depth=2
                                        ;       Child Loop BB16_49 Depth 3
                                        ;       Child Loop BB16_52 Depth 3
	s_mov_b32 s45, exec_lo
	v_cmpx_gt_i32_e64 s35, v2
	s_cbranch_execz .LBB16_45
; %bb.47:                               ;   in Loop: Header=BB16_46 Depth=2
	v_ashrrev_i32_e32 v3, 31, v2
	s_mov_b32 s46, exec_lo
	v_lshlrev_b64 v[4:5], 2, v[2:3]
	v_add_co_u32 v6, vcc_lo, s16, v4
	v_add_co_ci_u32_e64 v7, null, s17, v5, vcc_lo
	v_add_co_u32 v8, vcc_lo, s18, v4
	v_add_co_ci_u32_e64 v9, null, s19, v5, vcc_lo
	global_load_dword v0, v[6:7], off
	global_load_dword v7, v[8:9], off
	s_waitcnt vmcnt(1)
	v_add_nc_u32_e32 v6, v18, v0
	s_waitcnt vmcnt(0)
	v_subrev_nc_u32_e32 v0, s43, v7
	v_cmpx_lt_i32_e64 v6, v0
	s_cbranch_execz .LBB16_50
; %bb.48:                               ;   in Loop: Header=BB16_46 Depth=2
	v_ashrrev_i32_e32 v7, 31, v6
	s_mov_b32 s47, 0
	v_lshlrev_b64 v[9:10], 3, v[6:7]
	v_add_co_u32 v7, vcc_lo, s40, v9
	v_add_co_ci_u32_e64 v8, null, s41, v10, vcc_lo
	v_add_co_u32 v9, vcc_lo, s22, v9
	v_add_co_ci_u32_e64 v10, null, s23, v10, vcc_lo
	.p2align	6
.LBB16_49:                              ;   Parent Loop BB16_3 Depth=1
                                        ;     Parent Loop BB16_46 Depth=2
                                        ; =>    This Inner Loop Header: Depth=3
	global_load_dwordx2 v[11:12], v[7:8], off
	v_add_nc_u32_e32 v6, 4, v6
	v_add_co_u32 v7, vcc_lo, v7, 32
	v_add_co_ci_u32_e64 v8, null, 0, v8, vcc_lo
	v_cmp_ge_i32_e32 vcc_lo, v6, v0
	s_or_b32 s47, vcc_lo, s47
	s_waitcnt vmcnt(0)
	global_store_dwordx2 v[9:10], v[11:12], off
	v_add_co_u32 v9, s2, v9, 32
	v_add_co_ci_u32_e64 v10, null, 0, v10, s2
	s_andn2_b32 exec_lo, exec_lo, s47
	s_cbranch_execnz .LBB16_49
.LBB16_50:                              ;   in Loop: Header=BB16_46 Depth=2
	s_or_b32 exec_lo, exec_lo, s46
	v_add_co_u32 v6, vcc_lo, s8, v4
	v_add_co_ci_u32_e64 v7, null, s9, v5, vcc_lo
	v_add_co_u32 v4, vcc_lo, s10, v4
	v_add_co_ci_u32_e64 v5, null, s11, v5, vcc_lo
	global_load_dword v0, v[6:7], off
	global_load_dword v5, v[4:5], off
	s_mov_b32 s46, exec_lo
	s_waitcnt vmcnt(1)
	v_add_nc_u32_e32 v4, v19, v0
	s_waitcnt vmcnt(0)
	v_subrev_nc_u32_e32 v0, s44, v5
	v_cmpx_lt_i32_e64 v4, v0
	s_cbranch_execz .LBB16_53
; %bb.51:                               ;   in Loop: Header=BB16_46 Depth=2
	v_ashrrev_i32_e32 v5, 31, v4
	s_mov_b32 s47, 0
	v_lshlrev_b64 v[7:8], 3, v[4:5]
	v_add_co_u32 v5, vcc_lo, s6, v7
	v_add_co_ci_u32_e64 v6, null, s7, v8, vcc_lo
	v_add_co_u32 v7, vcc_lo, s14, v7
	v_add_co_ci_u32_e64 v8, null, s15, v8, vcc_lo
	.p2align	6
.LBB16_52:                              ;   Parent Loop BB16_3 Depth=1
                                        ;     Parent Loop BB16_46 Depth=2
                                        ; =>    This Inner Loop Header: Depth=3
	global_load_dwordx2 v[9:10], v[5:6], off
	v_add_nc_u32_e32 v4, 4, v4
	v_add_co_u32 v5, vcc_lo, v5, 32
	v_add_co_ci_u32_e64 v6, null, 0, v6, vcc_lo
	v_cmp_ge_i32_e32 vcc_lo, v4, v0
	s_or_b32 s47, vcc_lo, s47
	s_waitcnt vmcnt(0)
	global_store_dwordx2 v[7:8], v[9:10], off
	v_add_co_u32 v7, s2, v7, 32
	v_add_co_ci_u32_e64 v8, null, 0, v8, s2
	s_andn2_b32 exec_lo, exec_lo, s47
	s_cbranch_execnz .LBB16_52
.LBB16_53:                              ;   in Loop: Header=BB16_46 Depth=2
	s_or_b32 exec_lo, exec_lo, s46
	s_and_b32 exec_lo, exec_lo, s1
	s_cbranch_execz .LBB16_45
; %bb.54:                               ;   in Loop: Header=BB16_46 Depth=2
	v_lshlrev_b64 v[3:4], 3, v[2:3]
	v_add_co_u32 v5, vcc_lo, s38, v3
	v_add_co_ci_u32_e64 v6, null, s39, v4, vcc_lo
	v_add_co_u32 v3, vcc_lo, s36, v3
	v_add_co_ci_u32_e64 v4, null, s37, v4, vcc_lo
	global_load_dwordx2 v[5:6], v[5:6], off
	s_waitcnt vmcnt(0)
	global_store_dwordx2 v[3:4], v[5:6], off
	s_branch .LBB16_45
.LBB16_55:
	s_endpgm
	.section	.rodata,"a",@progbits
	.p2align	6, 0x0
	.amdhsa_kernel _ZN9rocsparseL14kernel_freerunILi1024ELi4EdiiEEvT3_S1_T2_PKS2_S4_PKS1_PKT1_21rocsparse_index_base_S4_S4_S6_PS7_SB_SA_S4_S4_S6_SB_SB_SA_SB_SB_
		.amdhsa_group_segment_fixed_size 0
		.amdhsa_private_segment_fixed_size 0
		.amdhsa_kernarg_size 168
		.amdhsa_user_sgpr_count 6
		.amdhsa_user_sgpr_private_segment_buffer 1
		.amdhsa_user_sgpr_dispatch_ptr 0
		.amdhsa_user_sgpr_queue_ptr 0
		.amdhsa_user_sgpr_kernarg_segment_ptr 1
		.amdhsa_user_sgpr_dispatch_id 0
		.amdhsa_user_sgpr_flat_scratch_init 0
		.amdhsa_user_sgpr_private_segment_size 0
		.amdhsa_wavefront_size32 1
		.amdhsa_uses_dynamic_stack 0
		.amdhsa_system_sgpr_private_segment_wavefront_offset 0
		.amdhsa_system_sgpr_workgroup_id_x 1
		.amdhsa_system_sgpr_workgroup_id_y 0
		.amdhsa_system_sgpr_workgroup_id_z 0
		.amdhsa_system_sgpr_workgroup_info 0
		.amdhsa_system_vgpr_workitem_id 0
		.amdhsa_next_free_vgpr 34
		.amdhsa_next_free_sgpr 56
		.amdhsa_reserve_vcc 1
		.amdhsa_reserve_flat_scratch 0
		.amdhsa_float_round_mode_32 0
		.amdhsa_float_round_mode_16_64 0
		.amdhsa_float_denorm_mode_32 3
		.amdhsa_float_denorm_mode_16_64 3
		.amdhsa_dx10_clamp 1
		.amdhsa_ieee_mode 1
		.amdhsa_fp16_overflow 0
		.amdhsa_workgroup_processor_mode 1
		.amdhsa_memory_ordered 1
		.amdhsa_forward_progress 1
		.amdhsa_shared_vgpr_count 0
		.amdhsa_exception_fp_ieee_invalid_op 0
		.amdhsa_exception_fp_denorm_src 0
		.amdhsa_exception_fp_ieee_div_zero 0
		.amdhsa_exception_fp_ieee_overflow 0
		.amdhsa_exception_fp_ieee_underflow 0
		.amdhsa_exception_fp_ieee_inexact 0
		.amdhsa_exception_int_div_zero 0
	.end_amdhsa_kernel
	.section	.text._ZN9rocsparseL14kernel_freerunILi1024ELi4EdiiEEvT3_S1_T2_PKS2_S4_PKS1_PKT1_21rocsparse_index_base_S4_S4_S6_PS7_SB_SA_S4_S4_S6_SB_SB_SA_SB_SB_,"axG",@progbits,_ZN9rocsparseL14kernel_freerunILi1024ELi4EdiiEEvT3_S1_T2_PKS2_S4_PKS1_PKT1_21rocsparse_index_base_S4_S4_S6_PS7_SB_SA_S4_S4_S6_SB_SB_SA_SB_SB_,comdat
.Lfunc_end16:
	.size	_ZN9rocsparseL14kernel_freerunILi1024ELi4EdiiEEvT3_S1_T2_PKS2_S4_PKS1_PKT1_21rocsparse_index_base_S4_S4_S6_PS7_SB_SA_S4_S4_S6_SB_SB_SA_SB_SB_, .Lfunc_end16-_ZN9rocsparseL14kernel_freerunILi1024ELi4EdiiEEvT3_S1_T2_PKS2_S4_PKS1_PKT1_21rocsparse_index_base_S4_S4_S6_PS7_SB_SA_S4_S4_S6_SB_SB_SA_SB_SB_
                                        ; -- End function
	.set _ZN9rocsparseL14kernel_freerunILi1024ELi4EdiiEEvT3_S1_T2_PKS2_S4_PKS1_PKT1_21rocsparse_index_base_S4_S4_S6_PS7_SB_SA_S4_S4_S6_SB_SB_SA_SB_SB_.num_vgpr, 34
	.set _ZN9rocsparseL14kernel_freerunILi1024ELi4EdiiEEvT3_S1_T2_PKS2_S4_PKS1_PKT1_21rocsparse_index_base_S4_S4_S6_PS7_SB_SA_S4_S4_S6_SB_SB_SA_SB_SB_.num_agpr, 0
	.set _ZN9rocsparseL14kernel_freerunILi1024ELi4EdiiEEvT3_S1_T2_PKS2_S4_PKS1_PKT1_21rocsparse_index_base_S4_S4_S6_PS7_SB_SA_S4_S4_S6_SB_SB_SA_SB_SB_.numbered_sgpr, 56
	.set _ZN9rocsparseL14kernel_freerunILi1024ELi4EdiiEEvT3_S1_T2_PKS2_S4_PKS1_PKT1_21rocsparse_index_base_S4_S4_S6_PS7_SB_SA_S4_S4_S6_SB_SB_SA_SB_SB_.num_named_barrier, 0
	.set _ZN9rocsparseL14kernel_freerunILi1024ELi4EdiiEEvT3_S1_T2_PKS2_S4_PKS1_PKT1_21rocsparse_index_base_S4_S4_S6_PS7_SB_SA_S4_S4_S6_SB_SB_SA_SB_SB_.private_seg_size, 0
	.set _ZN9rocsparseL14kernel_freerunILi1024ELi4EdiiEEvT3_S1_T2_PKS2_S4_PKS1_PKT1_21rocsparse_index_base_S4_S4_S6_PS7_SB_SA_S4_S4_S6_SB_SB_SA_SB_SB_.uses_vcc, 1
	.set _ZN9rocsparseL14kernel_freerunILi1024ELi4EdiiEEvT3_S1_T2_PKS2_S4_PKS1_PKT1_21rocsparse_index_base_S4_S4_S6_PS7_SB_SA_S4_S4_S6_SB_SB_SA_SB_SB_.uses_flat_scratch, 0
	.set _ZN9rocsparseL14kernel_freerunILi1024ELi4EdiiEEvT3_S1_T2_PKS2_S4_PKS1_PKT1_21rocsparse_index_base_S4_S4_S6_PS7_SB_SA_S4_S4_S6_SB_SB_SA_SB_SB_.has_dyn_sized_stack, 0
	.set _ZN9rocsparseL14kernel_freerunILi1024ELi4EdiiEEvT3_S1_T2_PKS2_S4_PKS1_PKT1_21rocsparse_index_base_S4_S4_S6_PS7_SB_SA_S4_S4_S6_SB_SB_SA_SB_SB_.has_recursion, 0
	.set _ZN9rocsparseL14kernel_freerunILi1024ELi4EdiiEEvT3_S1_T2_PKS2_S4_PKS1_PKT1_21rocsparse_index_base_S4_S4_S6_PS7_SB_SA_S4_S4_S6_SB_SB_SA_SB_SB_.has_indirect_call, 0
	.section	.AMDGPU.csdata,"",@progbits
; Kernel info:
; codeLenInByte = 2456
; TotalNumSgprs: 58
; NumVgprs: 34
; ScratchSize: 0
; MemoryBound: 1
; FloatMode: 240
; IeeeMode: 1
; LDSByteSize: 0 bytes/workgroup (compile time only)
; SGPRBlocks: 0
; VGPRBlocks: 4
; NumSGPRsForWavesPerEU: 58
; NumVGPRsForWavesPerEU: 34
; Occupancy: 16
; WaveLimiterHint : 1
; COMPUTE_PGM_RSRC2:SCRATCH_EN: 0
; COMPUTE_PGM_RSRC2:USER_SGPR: 6
; COMPUTE_PGM_RSRC2:TRAP_HANDLER: 0
; COMPUTE_PGM_RSRC2:TGID_X_EN: 1
; COMPUTE_PGM_RSRC2:TGID_Y_EN: 0
; COMPUTE_PGM_RSRC2:TGID_Z_EN: 0
; COMPUTE_PGM_RSRC2:TIDIG_COMP_CNT: 0
	.section	.text._ZN9rocsparseL14kernel_freerunILi1024ELi8EdiiEEvT3_S1_T2_PKS2_S4_PKS1_PKT1_21rocsparse_index_base_S4_S4_S6_PS7_SB_SA_S4_S4_S6_SB_SB_SA_SB_SB_,"axG",@progbits,_ZN9rocsparseL14kernel_freerunILi1024ELi8EdiiEEvT3_S1_T2_PKS2_S4_PKS1_PKT1_21rocsparse_index_base_S4_S4_S6_PS7_SB_SA_S4_S4_S6_SB_SB_SA_SB_SB_,comdat
	.globl	_ZN9rocsparseL14kernel_freerunILi1024ELi8EdiiEEvT3_S1_T2_PKS2_S4_PKS1_PKT1_21rocsparse_index_base_S4_S4_S6_PS7_SB_SA_S4_S4_S6_SB_SB_SA_SB_SB_ ; -- Begin function _ZN9rocsparseL14kernel_freerunILi1024ELi8EdiiEEvT3_S1_T2_PKS2_S4_PKS1_PKT1_21rocsparse_index_base_S4_S4_S6_PS7_SB_SA_S4_S4_S6_SB_SB_SA_SB_SB_
	.p2align	8
	.type	_ZN9rocsparseL14kernel_freerunILi1024ELi8EdiiEEvT3_S1_T2_PKS2_S4_PKS1_PKT1_21rocsparse_index_base_S4_S4_S6_PS7_SB_SA_S4_S4_S6_SB_SB_SA_SB_SB_,@function
_ZN9rocsparseL14kernel_freerunILi1024ELi8EdiiEEvT3_S1_T2_PKS2_S4_PKS1_PKT1_21rocsparse_index_base_S4_S4_S6_PS7_SB_SA_S4_S4_S6_SB_SB_SA_SB_SB_: ; @_ZN9rocsparseL14kernel_freerunILi1024ELi8EdiiEEvT3_S1_T2_PKS2_S4_PKS1_PKT1_21rocsparse_index_base_S4_S4_S6_PS7_SB_SA_S4_S4_S6_SB_SB_SA_SB_SB_
; %bb.0:
	s_load_dwordx2 s[34:35], s[4:5], 0x0
	v_lshrrev_b32_e32 v1, 3, v0
	s_lshl_b32 s0, s6, 10
	s_mov_b32 s33, 0
	v_or_b32_e32 v16, s0, v1
	s_waitcnt lgkmcnt(0)
	v_cmp_gt_i32_e32 vcc_lo, s35, v16
	s_cmp_gt_i32 s34, 0
	s_cselect_b32 s1, -1, 0
	s_and_b32 s1, vcc_lo, s1
	s_and_saveexec_b32 s2, s1
	s_cbranch_execz .LBB17_55
; %bb.1:
	s_clause 0x8
	s_load_dword s42, s[4:5], 0x30
	s_load_dword s43, s[4:5], 0x60
	;; [unrolled: 1-line block ×3, first 2 shown]
	s_load_dwordx2 s[6:7], s[4:5], 0x88
	s_load_dwordx2 s[40:41], s[4:5], 0x58
	s_load_dwordx4 s[36:39], s[4:5], 0x98
	s_load_dwordx8 s[8:15], s[4:5], 0x68
	s_load_dwordx8 s[16:23], s[4:5], 0x38
	;; [unrolled: 1-line block ×3, first 2 shown]
	v_and_b32_e32 v0, 7, v0
	s_add_i32 s4, s0, 0x400
	v_mov_b32_e32 v1, 0
	v_cmp_gt_u32_e64 s0, s4, v16
	v_cmp_eq_u32_e64 s1, 0, v0
	s_waitcnt lgkmcnt(0)
	v_subrev_nc_u32_e32 v17, s42, v0
	v_subrev_nc_u32_e32 v18, s43, v0
	;; [unrolled: 1-line block ×3, first 2 shown]
	s_branch .LBB17_3
.LBB17_2:                               ;   in Loop: Header=BB17_3 Depth=1
	s_or_b32 exec_lo, exec_lo, s3
	s_add_i32 s33, s33, 1
	s_cmp_eq_u32 s33, s34
	s_cbranch_scc1 .LBB17_55
.LBB17_3:                               ; =>This Loop Header: Depth=1
                                        ;     Child Loop BB17_5 Depth 2
                                        ;       Child Loop BB17_9 Depth 3
                                        ;         Child Loop BB17_13 Depth 4
                                        ;         Child Loop BB17_29 Depth 4
	;; [unrolled: 1-line block ×3, first 2 shown]
                                        ;     Child Loop BB17_46 Depth 2
                                        ;       Child Loop BB17_49 Depth 3
                                        ;       Child Loop BB17_52 Depth 3
	s_mov_b32 s5, 0
	s_branch .LBB17_5
.LBB17_4:                               ;   in Loop: Header=BB17_5 Depth=2
	s_or_b32 exec_lo, exec_lo, s45
	s_add_i32 s5, s5, 1
	s_cmp_eq_u32 s5, 8
	s_cbranch_scc1 .LBB17_43
.LBB17_5:                               ;   Parent Loop BB17_3 Depth=1
                                        ; =>  This Loop Header: Depth=2
                                        ;       Child Loop BB17_9 Depth 3
                                        ;         Child Loop BB17_13 Depth 4
                                        ;         Child Loop BB17_29 Depth 4
                                        ;         Child Loop BB17_39 Depth 4
	v_lshl_add_u32 v2, s5, 7, v16
	s_mov_b32 s45, exec_lo
	v_cmpx_gt_i32_e64 s35, v2
	s_cbranch_execz .LBB17_4
; %bb.6:                                ;   in Loop: Header=BB17_5 Depth=2
	v_ashrrev_i32_e32 v3, 31, v2
	v_lshlrev_b64 v[4:5], 2, v[2:3]
	v_add_co_u32 v6, vcc_lo, s24, v4
	v_add_co_ci_u32_e64 v7, null, s25, v5, vcc_lo
	v_add_co_u32 v8, vcc_lo, s26, v4
	v_add_co_ci_u32_e64 v9, null, s27, v5, vcc_lo
	global_load_dword v0, v[6:7], off
	global_load_dword v6, v[8:9], off
	s_waitcnt vmcnt(1)
	v_add_nc_u32_e32 v3, v17, v0
	s_waitcnt vmcnt(0)
	v_subrev_nc_u32_e32 v20, s42, v6
	v_cmp_lt_i32_e32 vcc_lo, v3, v20
	s_and_b32 exec_lo, exec_lo, vcc_lo
	s_cbranch_execz .LBB17_4
; %bb.7:                                ;   in Loop: Header=BB17_5 Depth=2
	v_add_co_u32 v6, vcc_lo, s16, v4
	v_add_co_ci_u32_e64 v7, null, s17, v5, vcc_lo
	v_add_co_u32 v4, vcc_lo, s18, v4
	v_add_co_ci_u32_e64 v5, null, s19, v5, vcc_lo
	global_load_dword v0, v[6:7], off
	s_mov_b32 s46, 0
	global_load_dword v4, v[4:5], off
	s_waitcnt vmcnt(1)
	v_subrev_nc_u32_e32 v5, s43, v0
	s_waitcnt vmcnt(0)
	v_sub_nc_u32_e32 v21, v4, v0
	v_ashrrev_i32_e32 v6, 31, v5
	v_cmp_lt_i32_e64 s2, 0, v21
	v_lshlrev_b64 v[7:8], 2, v[5:6]
	v_lshlrev_b64 v[9:10], 3, v[5:6]
	v_add_co_u32 v22, vcc_lo, s20, v7
	v_add_co_ci_u32_e64 v23, null, s21, v8, vcc_lo
	v_add_co_u32 v24, vcc_lo, s22, v9
	v_add_co_ci_u32_e64 v25, null, s23, v10, vcc_lo
	s_branch .LBB17_9
.LBB17_8:                               ;   in Loop: Header=BB17_9 Depth=3
	s_or_b32 exec_lo, exec_lo, s47
	v_add_nc_u32_e32 v3, 8, v3
	v_cmp_ge_i32_e32 vcc_lo, v3, v20
	s_or_b32 s46, vcc_lo, s46
	s_andn2_b32 exec_lo, exec_lo, s46
	s_cbranch_execz .LBB17_4
.LBB17_9:                               ;   Parent Loop BB17_3 Depth=1
                                        ;     Parent Loop BB17_5 Depth=2
                                        ; =>    This Loop Header: Depth=3
                                        ;         Child Loop BB17_13 Depth 4
                                        ;         Child Loop BB17_29 Depth 4
	;; [unrolled: 1-line block ×3, first 2 shown]
	v_ashrrev_i32_e32 v4, 31, v3
	v_lshlrev_b64 v[6:7], 2, v[3:4]
	v_add_co_u32 v6, vcc_lo, s28, v6
	v_add_co_ci_u32_e64 v7, null, s29, v7, vcc_lo
	global_load_dword v0, v[6:7], off
	s_waitcnt vmcnt(0)
	v_subrev_nc_u32_e32 v6, s42, v0
	v_ashrrev_i32_e32 v7, 31, v6
	v_lshlrev_b64 v[8:9], 2, v[6:7]
	v_add_co_u32 v10, vcc_lo, s8, v8
	v_add_co_ci_u32_e64 v11, null, s9, v9, vcc_lo
	v_add_co_u32 v8, vcc_lo, s10, v8
	v_add_co_ci_u32_e64 v9, null, s11, v9, vcc_lo
	global_load_dword v0, v[10:11], off
	global_load_dword v10, v[8:9], off
	v_mov_b32_e32 v9, 0
	v_mov_b32_e32 v11, 0
	;; [unrolled: 1-line block ×3, first 2 shown]
	s_waitcnt vmcnt(1)
	v_subrev_nc_u32_e32 v8, s44, v0
	s_waitcnt vmcnt(0)
	v_sub_nc_u32_e32 v26, v10, v0
	v_mov_b32_e32 v0, v9
	s_and_saveexec_b32 s47, s2
	s_cbranch_execz .LBB17_17
; %bb.10:                               ;   in Loop: Header=BB17_9 Depth=3
	v_ashrrev_i32_e32 v9, 31, v8
	v_mov_b32_e32 v11, 0
	v_mov_b32_e32 v12, 0
	;; [unrolled: 1-line block ×3, first 2 shown]
	s_mov_b32 s48, 0
	v_lshlrev_b64 v[13:14], 2, v[8:9]
	v_lshlrev_b64 v[9:10], 3, v[8:9]
                                        ; implicit-def: $sgpr49
	v_add_co_u32 v13, vcc_lo, s12, v13
	v_add_co_ci_u32_e64 v14, null, s13, v14, vcc_lo
	v_add_co_u32 v15, vcc_lo, s14, v9
	v_add_co_ci_u32_e64 v27, null, s15, v10, vcc_lo
	v_mov_b32_e32 v9, 0
	s_branch .LBB17_13
.LBB17_11:                              ;   in Loop: Header=BB17_13 Depth=4
	s_or_b32 exec_lo, exec_lo, s3
	v_cmp_le_i32_e32 vcc_lo, v28, v29
	v_cmp_ge_i32_e64 s3, v28, v29
	v_add_co_ci_u32_e64 v0, null, 0, v0, vcc_lo
	v_add_co_ci_u32_e64 v9, null, 0, v9, s3
	s_andn2_b32 s3, s49, exec_lo
	v_cmp_ge_i32_e32 vcc_lo, v0, v21
	s_and_b32 s49, vcc_lo, exec_lo
	s_or_b32 s49, s3, s49
.LBB17_12:                              ;   in Loop: Header=BB17_13 Depth=4
	s_or_b32 exec_lo, exec_lo, s50
	s_and_b32 s3, exec_lo, s49
	s_or_b32 s48, s3, s48
	s_andn2_b32 exec_lo, exec_lo, s48
	s_cbranch_execz .LBB17_16
.LBB17_13:                              ;   Parent Loop BB17_3 Depth=1
                                        ;     Parent Loop BB17_5 Depth=2
                                        ;       Parent Loop BB17_9 Depth=3
                                        ; =>      This Inner Loop Header: Depth=4
	s_or_b32 s49, s49, exec_lo
	s_mov_b32 s50, exec_lo
	v_cmpx_lt_i32_e64 v9, v26
	s_cbranch_execz .LBB17_12
; %bb.14:                               ;   in Loop: Header=BB17_13 Depth=4
	v_mov_b32_e32 v10, v1
	v_lshlrev_b64 v[28:29], 2, v[0:1]
	s_mov_b32 s3, exec_lo
	v_lshlrev_b64 v[30:31], 2, v[9:10]
	v_add_co_u32 v28, vcc_lo, v22, v28
	v_add_co_ci_u32_e64 v29, null, v23, v29, vcc_lo
	v_add_co_u32 v30, vcc_lo, v13, v30
	v_add_co_ci_u32_e64 v31, null, v14, v31, vcc_lo
	global_load_dword v28, v[28:29], off
	global_load_dword v29, v[30:31], off
	s_waitcnt vmcnt(1)
	v_subrev_nc_u32_e32 v28, s43, v28
	s_waitcnt vmcnt(0)
	v_subrev_nc_u32_e32 v29, s44, v29
	v_cmpx_eq_u32_e64 v28, v29
	s_cbranch_execz .LBB17_11
; %bb.15:                               ;   in Loop: Header=BB17_13 Depth=4
	v_lshlrev_b64 v[30:31], 3, v[0:1]
	v_lshlrev_b64 v[32:33], 3, v[9:10]
	v_add_co_u32 v30, vcc_lo, v24, v30
	v_add_co_ci_u32_e64 v31, null, v25, v31, vcc_lo
	v_add_co_u32 v32, vcc_lo, v15, v32
	v_add_co_ci_u32_e64 v33, null, v27, v33, vcc_lo
	global_load_dwordx2 v[30:31], v[30:31], off
	global_load_dwordx2 v[32:33], v[32:33], off
	s_waitcnt vmcnt(0)
	v_fma_f64 v[11:12], v[30:31], v[32:33], v[11:12]
	s_branch .LBB17_11
.LBB17_16:                              ;   in Loop: Header=BB17_9 Depth=3
	s_or_b32 exec_lo, exec_lo, s48
.LBB17_17:                              ;   in Loop: Header=BB17_9 Depth=3
	s_or_b32 exec_lo, exec_lo, s47
	v_lshlrev_b64 v[13:14], 3, v[3:4]
	v_cmp_le_i32_e64 s3, v2, v6
	s_mov_b32 s47, exec_lo
	v_add_co_u32 v13, vcc_lo, s30, v13
	v_add_co_ci_u32_e64 v14, null, s31, v14, vcc_lo
	global_load_dwordx2 v[13:14], v[13:14], off
	s_waitcnt vmcnt(0)
	v_add_f64 v[10:11], v[13:14], -v[11:12]
	v_cmpx_gt_i32_e64 v2, v6
	s_cbranch_execz .LBB17_21
; %bb.18:                               ;   in Loop: Header=BB17_9 Depth=3
	v_lshlrev_b64 v[12:13], 3, v[6:7]
	v_mov_b32_e32 v14, 0
	v_mov_b32_e32 v15, 0
	s_mov_b32 s48, exec_lo
	v_add_co_u32 v12, vcc_lo, s36, v12
	v_add_co_ci_u32_e64 v13, null, s37, v13, vcc_lo
	global_load_dwordx2 v[12:13], v[12:13], off
	s_waitcnt vmcnt(0)
	v_cmpx_lg_f64_e32 0, v[12:13]
	s_cbranch_execz .LBB17_20
; %bb.19:                               ;   in Loop: Header=BB17_9 Depth=3
	v_div_scale_f64 v[14:15], null, v[12:13], v[12:13], v[10:11]
	v_rcp_f64_e32 v[27:28], v[14:15]
	v_fma_f64 v[29:30], -v[14:15], v[27:28], 1.0
	v_fma_f64 v[27:28], v[27:28], v[29:30], v[27:28]
	v_fma_f64 v[29:30], -v[14:15], v[27:28], 1.0
	v_fma_f64 v[27:28], v[27:28], v[29:30], v[27:28]
	v_div_scale_f64 v[29:30], vcc_lo, v[10:11], v[12:13], v[10:11]
	v_mul_f64 v[31:32], v[29:30], v[27:28]
	v_fma_f64 v[14:15], -v[14:15], v[31:32], v[29:30]
	v_div_fmas_f64 v[14:15], v[14:15], v[27:28], v[31:32]
	v_div_fixup_f64 v[14:15], v[14:15], v[12:13], v[10:11]
.LBB17_20:                              ;   in Loop: Header=BB17_9 Depth=3
	s_or_b32 exec_lo, exec_lo, s48
	v_mov_b32_e32 v10, v14
	v_mov_b32_e32 v11, v15
.LBB17_21:                              ;   in Loop: Header=BB17_9 Depth=3
	s_or_b32 exec_lo, exec_lo, s47
	v_cmp_class_f64_e64 s48, v[10:11], 0x1f8
	s_and_saveexec_b32 s47, s48
	s_cbranch_execz .LBB17_8
; %bb.22:                               ;   in Loop: Header=BB17_9 Depth=3
	s_and_saveexec_b32 s48, s3
	s_xor_b32 s3, exec_lo, s48
	s_cbranch_execz .LBB17_35
; %bb.23:                               ;   in Loop: Header=BB17_9 Depth=3
	s_mov_b32 s48, exec_lo
	v_cmpx_ge_i32_e64 v2, v6
	s_xor_b32 s48, exec_lo, s48
	s_cbranch_execz .LBB17_25
; %bb.24:                               ;   in Loop: Header=BB17_9 Depth=3
	v_lshlrev_b64 v[6:7], 3, v[6:7]
                                        ; implicit-def: $vgpr9
                                        ; implicit-def: $vgpr26
                                        ; implicit-def: $vgpr8
	v_add_co_u32 v6, vcc_lo, s38, v6
	v_add_co_ci_u32_e64 v7, null, s39, v7, vcc_lo
	global_store_dwordx2 v[6:7], v[10:11], off
                                        ; implicit-def: $vgpr10_vgpr11
.LBB17_25:                              ;   in Loop: Header=BB17_9 Depth=3
	s_andn2_saveexec_b32 s48, s48
	s_cbranch_execz .LBB17_34
; %bb.26:                               ;   in Loop: Header=BB17_9 Depth=3
	s_mov_b32 s49, exec_lo
	v_cmpx_lt_i32_e64 v9, v26
	s_cbranch_execz .LBB17_33
; %bb.27:                               ;   in Loop: Header=BB17_9 Depth=3
	s_mov_b32 s50, 0
                                        ; implicit-def: $sgpr51
                                        ; implicit-def: $sgpr53
                                        ; implicit-def: $sgpr52
	s_inst_prefetch 0x1
	s_branch .LBB17_29
	.p2align	6
.LBB17_28:                              ;   in Loop: Header=BB17_29 Depth=4
	s_or_b32 exec_lo, exec_lo, s54
	s_and_b32 s54, exec_lo, s53
	s_or_b32 s50, s54, s50
	s_andn2_b32 s51, s51, exec_lo
	s_and_b32 s54, s52, exec_lo
	s_or_b32 s51, s51, s54
	s_andn2_b32 exec_lo, exec_lo, s50
	s_cbranch_execz .LBB17_31
.LBB17_29:                              ;   Parent Loop BB17_3 Depth=1
                                        ;     Parent Loop BB17_5 Depth=2
                                        ;       Parent Loop BB17_9 Depth=3
                                        ; =>      This Inner Loop Header: Depth=4
	v_add_nc_u32_e32 v6, v8, v9
	s_or_b32 s52, s52, exec_lo
	s_or_b32 s53, s53, exec_lo
	s_mov_b32 s54, exec_lo
	v_ashrrev_i32_e32 v7, 31, v6
	v_lshlrev_b64 v[12:13], 2, v[6:7]
	v_add_co_u32 v12, vcc_lo, s12, v12
	v_add_co_ci_u32_e64 v13, null, s13, v13, vcc_lo
	global_load_dword v0, v[12:13], off
	s_waitcnt vmcnt(0)
	v_subrev_nc_u32_e32 v0, s44, v0
	v_cmpx_ne_u32_e64 v0, v2
	s_cbranch_execz .LBB17_28
; %bb.30:                               ;   in Loop: Header=BB17_29 Depth=4
	v_add_nc_u32_e32 v9, 1, v9
	s_andn2_b32 s53, s53, exec_lo
	s_andn2_b32 s52, s52, exec_lo
	v_cmp_ge_i32_e32 vcc_lo, v9, v26
	s_and_b32 s55, vcc_lo, exec_lo
	s_or_b32 s53, s53, s55
	s_branch .LBB17_28
.LBB17_31:                              ;   in Loop: Header=BB17_9 Depth=3
	s_inst_prefetch 0x2
	s_or_b32 exec_lo, exec_lo, s50
	s_and_saveexec_b32 s50, s51
	s_xor_b32 s50, exec_lo, s50
	s_cbranch_execz .LBB17_33
; %bb.32:                               ;   in Loop: Header=BB17_9 Depth=3
	v_lshlrev_b64 v[6:7], 3, v[6:7]
	v_add_co_u32 v6, vcc_lo, s6, v6
	v_add_co_ci_u32_e64 v7, null, s7, v7, vcc_lo
	global_store_dwordx2 v[6:7], v[10:11], off
.LBB17_33:                              ;   in Loop: Header=BB17_9 Depth=3
	s_or_b32 exec_lo, exec_lo, s49
.LBB17_34:                              ;   in Loop: Header=BB17_9 Depth=3
	s_or_b32 exec_lo, exec_lo, s48
                                        ; implicit-def: $vgpr10_vgpr11
                                        ; implicit-def: $vgpr6_vgpr7
.LBB17_35:                              ;   in Loop: Header=BB17_9 Depth=3
	s_andn2_saveexec_b32 s3, s3
	s_cbranch_execz .LBB17_8
; %bb.36:                               ;   in Loop: Header=BB17_9 Depth=3
	v_cmp_lt_i32_e32 vcc_lo, v0, v21
	s_and_b32 exec_lo, exec_lo, vcc_lo
	s_cbranch_execz .LBB17_8
; %bb.37:                               ;   in Loop: Header=BB17_9 Depth=3
	s_mov_b32 s3, 0
                                        ; implicit-def: $sgpr48
                                        ; implicit-def: $sgpr50
                                        ; implicit-def: $sgpr49
	s_inst_prefetch 0x1
	s_branch .LBB17_39
	.p2align	6
.LBB17_38:                              ;   in Loop: Header=BB17_39 Depth=4
	s_or_b32 exec_lo, exec_lo, s51
	s_and_b32 s51, exec_lo, s50
	s_or_b32 s3, s51, s3
	s_andn2_b32 s48, s48, exec_lo
	s_and_b32 s51, s49, exec_lo
	s_or_b32 s48, s48, s51
	s_andn2_b32 exec_lo, exec_lo, s3
	s_cbranch_execz .LBB17_41
.LBB17_39:                              ;   Parent Loop BB17_3 Depth=1
                                        ;     Parent Loop BB17_5 Depth=2
                                        ;       Parent Loop BB17_9 Depth=3
                                        ; =>      This Inner Loop Header: Depth=4
	v_add_nc_u32_e32 v7, v5, v0
	s_or_b32 s49, s49, exec_lo
	s_or_b32 s50, s50, exec_lo
	s_mov_b32 s51, exec_lo
	v_ashrrev_i32_e32 v8, 31, v7
	v_lshlrev_b64 v[12:13], 2, v[7:8]
	v_add_co_u32 v12, vcc_lo, s20, v12
	v_add_co_ci_u32_e64 v13, null, s21, v13, vcc_lo
	global_load_dword v4, v[12:13], off
	s_waitcnt vmcnt(0)
	v_subrev_nc_u32_e32 v4, s43, v4
	v_cmpx_ne_u32_e64 v4, v6
	s_cbranch_execz .LBB17_38
; %bb.40:                               ;   in Loop: Header=BB17_39 Depth=4
	v_add_nc_u32_e32 v0, 1, v0
	s_andn2_b32 s50, s50, exec_lo
	s_andn2_b32 s49, s49, exec_lo
	v_cmp_ge_i32_e32 vcc_lo, v0, v21
	s_and_b32 s52, vcc_lo, exec_lo
	s_or_b32 s50, s50, s52
	s_branch .LBB17_38
.LBB17_41:                              ;   in Loop: Header=BB17_9 Depth=3
	s_inst_prefetch 0x2
	s_or_b32 exec_lo, exec_lo, s3
	s_and_saveexec_b32 s3, s48
	s_xor_b32 s3, exec_lo, s3
	s_cbranch_execz .LBB17_8
; %bb.42:                               ;   in Loop: Header=BB17_9 Depth=3
	v_lshlrev_b64 v[6:7], 3, v[7:8]
	v_add_co_u32 v6, vcc_lo, s40, v6
	v_add_co_ci_u32_e64 v7, null, s41, v7, vcc_lo
	global_store_dwordx2 v[6:7], v[10:11], off
	s_branch .LBB17_8
.LBB17_43:                              ;   in Loop: Header=BB17_3 Depth=1
	s_and_saveexec_b32 s3, s0
	s_cbranch_execz .LBB17_2
; %bb.44:                               ;   in Loop: Header=BB17_3 Depth=1
	v_mov_b32_e32 v2, v16
	s_mov_b32 s5, 0
	s_branch .LBB17_46
.LBB17_45:                              ;   in Loop: Header=BB17_46 Depth=2
	s_or_b32 exec_lo, exec_lo, s45
	v_add_nc_u32_e32 v2, 0x80, v2
	v_cmp_le_u32_e32 vcc_lo, s4, v2
	s_or_b32 s5, vcc_lo, s5
	s_andn2_b32 exec_lo, exec_lo, s5
	s_cbranch_execz .LBB17_2
.LBB17_46:                              ;   Parent Loop BB17_3 Depth=1
                                        ; =>  This Loop Header: Depth=2
                                        ;       Child Loop BB17_49 Depth 3
                                        ;       Child Loop BB17_52 Depth 3
	s_mov_b32 s45, exec_lo
	v_cmpx_gt_i32_e64 s35, v2
	s_cbranch_execz .LBB17_45
; %bb.47:                               ;   in Loop: Header=BB17_46 Depth=2
	v_ashrrev_i32_e32 v3, 31, v2
	s_mov_b32 s46, exec_lo
	v_lshlrev_b64 v[4:5], 2, v[2:3]
	v_add_co_u32 v6, vcc_lo, s16, v4
	v_add_co_ci_u32_e64 v7, null, s17, v5, vcc_lo
	v_add_co_u32 v8, vcc_lo, s18, v4
	v_add_co_ci_u32_e64 v9, null, s19, v5, vcc_lo
	global_load_dword v0, v[6:7], off
	global_load_dword v7, v[8:9], off
	s_waitcnt vmcnt(1)
	v_add_nc_u32_e32 v6, v18, v0
	s_waitcnt vmcnt(0)
	v_subrev_nc_u32_e32 v0, s43, v7
	v_cmpx_lt_i32_e64 v6, v0
	s_cbranch_execz .LBB17_50
; %bb.48:                               ;   in Loop: Header=BB17_46 Depth=2
	v_ashrrev_i32_e32 v7, 31, v6
	s_mov_b32 s47, 0
	v_lshlrev_b64 v[9:10], 3, v[6:7]
	v_add_co_u32 v7, vcc_lo, s40, v9
	v_add_co_ci_u32_e64 v8, null, s41, v10, vcc_lo
	v_add_co_u32 v9, vcc_lo, s22, v9
	v_add_co_ci_u32_e64 v10, null, s23, v10, vcc_lo
	.p2align	6
.LBB17_49:                              ;   Parent Loop BB17_3 Depth=1
                                        ;     Parent Loop BB17_46 Depth=2
                                        ; =>    This Inner Loop Header: Depth=3
	global_load_dwordx2 v[11:12], v[7:8], off
	v_add_nc_u32_e32 v6, 8, v6
	v_add_co_u32 v7, vcc_lo, v7, 64
	v_add_co_ci_u32_e64 v8, null, 0, v8, vcc_lo
	v_cmp_ge_i32_e32 vcc_lo, v6, v0
	s_or_b32 s47, vcc_lo, s47
	s_waitcnt vmcnt(0)
	global_store_dwordx2 v[9:10], v[11:12], off
	v_add_co_u32 v9, s2, v9, 64
	v_add_co_ci_u32_e64 v10, null, 0, v10, s2
	s_andn2_b32 exec_lo, exec_lo, s47
	s_cbranch_execnz .LBB17_49
.LBB17_50:                              ;   in Loop: Header=BB17_46 Depth=2
	s_or_b32 exec_lo, exec_lo, s46
	v_add_co_u32 v6, vcc_lo, s8, v4
	v_add_co_ci_u32_e64 v7, null, s9, v5, vcc_lo
	v_add_co_u32 v4, vcc_lo, s10, v4
	v_add_co_ci_u32_e64 v5, null, s11, v5, vcc_lo
	global_load_dword v0, v[6:7], off
	global_load_dword v5, v[4:5], off
	s_mov_b32 s46, exec_lo
	s_waitcnt vmcnt(1)
	v_add_nc_u32_e32 v4, v19, v0
	s_waitcnt vmcnt(0)
	v_subrev_nc_u32_e32 v0, s44, v5
	v_cmpx_lt_i32_e64 v4, v0
	s_cbranch_execz .LBB17_53
; %bb.51:                               ;   in Loop: Header=BB17_46 Depth=2
	v_ashrrev_i32_e32 v5, 31, v4
	s_mov_b32 s47, 0
	v_lshlrev_b64 v[7:8], 3, v[4:5]
	v_add_co_u32 v5, vcc_lo, s6, v7
	v_add_co_ci_u32_e64 v6, null, s7, v8, vcc_lo
	v_add_co_u32 v7, vcc_lo, s14, v7
	v_add_co_ci_u32_e64 v8, null, s15, v8, vcc_lo
	.p2align	6
.LBB17_52:                              ;   Parent Loop BB17_3 Depth=1
                                        ;     Parent Loop BB17_46 Depth=2
                                        ; =>    This Inner Loop Header: Depth=3
	global_load_dwordx2 v[9:10], v[5:6], off
	v_add_nc_u32_e32 v4, 8, v4
	v_add_co_u32 v5, vcc_lo, v5, 64
	v_add_co_ci_u32_e64 v6, null, 0, v6, vcc_lo
	v_cmp_ge_i32_e32 vcc_lo, v4, v0
	s_or_b32 s47, vcc_lo, s47
	s_waitcnt vmcnt(0)
	global_store_dwordx2 v[7:8], v[9:10], off
	v_add_co_u32 v7, s2, v7, 64
	v_add_co_ci_u32_e64 v8, null, 0, v8, s2
	s_andn2_b32 exec_lo, exec_lo, s47
	s_cbranch_execnz .LBB17_52
.LBB17_53:                              ;   in Loop: Header=BB17_46 Depth=2
	s_or_b32 exec_lo, exec_lo, s46
	s_and_b32 exec_lo, exec_lo, s1
	s_cbranch_execz .LBB17_45
; %bb.54:                               ;   in Loop: Header=BB17_46 Depth=2
	v_lshlrev_b64 v[3:4], 3, v[2:3]
	v_add_co_u32 v5, vcc_lo, s38, v3
	v_add_co_ci_u32_e64 v6, null, s39, v4, vcc_lo
	v_add_co_u32 v3, vcc_lo, s36, v3
	v_add_co_ci_u32_e64 v4, null, s37, v4, vcc_lo
	global_load_dwordx2 v[5:6], v[5:6], off
	s_waitcnt vmcnt(0)
	global_store_dwordx2 v[3:4], v[5:6], off
	s_branch .LBB17_45
.LBB17_55:
	s_endpgm
	.section	.rodata,"a",@progbits
	.p2align	6, 0x0
	.amdhsa_kernel _ZN9rocsparseL14kernel_freerunILi1024ELi8EdiiEEvT3_S1_T2_PKS2_S4_PKS1_PKT1_21rocsparse_index_base_S4_S4_S6_PS7_SB_SA_S4_S4_S6_SB_SB_SA_SB_SB_
		.amdhsa_group_segment_fixed_size 0
		.amdhsa_private_segment_fixed_size 0
		.amdhsa_kernarg_size 168
		.amdhsa_user_sgpr_count 6
		.amdhsa_user_sgpr_private_segment_buffer 1
		.amdhsa_user_sgpr_dispatch_ptr 0
		.amdhsa_user_sgpr_queue_ptr 0
		.amdhsa_user_sgpr_kernarg_segment_ptr 1
		.amdhsa_user_sgpr_dispatch_id 0
		.amdhsa_user_sgpr_flat_scratch_init 0
		.amdhsa_user_sgpr_private_segment_size 0
		.amdhsa_wavefront_size32 1
		.amdhsa_uses_dynamic_stack 0
		.amdhsa_system_sgpr_private_segment_wavefront_offset 0
		.amdhsa_system_sgpr_workgroup_id_x 1
		.amdhsa_system_sgpr_workgroup_id_y 0
		.amdhsa_system_sgpr_workgroup_id_z 0
		.amdhsa_system_sgpr_workgroup_info 0
		.amdhsa_system_vgpr_workitem_id 0
		.amdhsa_next_free_vgpr 34
		.amdhsa_next_free_sgpr 56
		.amdhsa_reserve_vcc 1
		.amdhsa_reserve_flat_scratch 0
		.amdhsa_float_round_mode_32 0
		.amdhsa_float_round_mode_16_64 0
		.amdhsa_float_denorm_mode_32 3
		.amdhsa_float_denorm_mode_16_64 3
		.amdhsa_dx10_clamp 1
		.amdhsa_ieee_mode 1
		.amdhsa_fp16_overflow 0
		.amdhsa_workgroup_processor_mode 1
		.amdhsa_memory_ordered 1
		.amdhsa_forward_progress 1
		.amdhsa_shared_vgpr_count 0
		.amdhsa_exception_fp_ieee_invalid_op 0
		.amdhsa_exception_fp_denorm_src 0
		.amdhsa_exception_fp_ieee_div_zero 0
		.amdhsa_exception_fp_ieee_overflow 0
		.amdhsa_exception_fp_ieee_underflow 0
		.amdhsa_exception_fp_ieee_inexact 0
		.amdhsa_exception_int_div_zero 0
	.end_amdhsa_kernel
	.section	.text._ZN9rocsparseL14kernel_freerunILi1024ELi8EdiiEEvT3_S1_T2_PKS2_S4_PKS1_PKT1_21rocsparse_index_base_S4_S4_S6_PS7_SB_SA_S4_S4_S6_SB_SB_SA_SB_SB_,"axG",@progbits,_ZN9rocsparseL14kernel_freerunILi1024ELi8EdiiEEvT3_S1_T2_PKS2_S4_PKS1_PKT1_21rocsparse_index_base_S4_S4_S6_PS7_SB_SA_S4_S4_S6_SB_SB_SA_SB_SB_,comdat
.Lfunc_end17:
	.size	_ZN9rocsparseL14kernel_freerunILi1024ELi8EdiiEEvT3_S1_T2_PKS2_S4_PKS1_PKT1_21rocsparse_index_base_S4_S4_S6_PS7_SB_SA_S4_S4_S6_SB_SB_SA_SB_SB_, .Lfunc_end17-_ZN9rocsparseL14kernel_freerunILi1024ELi8EdiiEEvT3_S1_T2_PKS2_S4_PKS1_PKT1_21rocsparse_index_base_S4_S4_S6_PS7_SB_SA_S4_S4_S6_SB_SB_SA_SB_SB_
                                        ; -- End function
	.set _ZN9rocsparseL14kernel_freerunILi1024ELi8EdiiEEvT3_S1_T2_PKS2_S4_PKS1_PKT1_21rocsparse_index_base_S4_S4_S6_PS7_SB_SA_S4_S4_S6_SB_SB_SA_SB_SB_.num_vgpr, 34
	.set _ZN9rocsparseL14kernel_freerunILi1024ELi8EdiiEEvT3_S1_T2_PKS2_S4_PKS1_PKT1_21rocsparse_index_base_S4_S4_S6_PS7_SB_SA_S4_S4_S6_SB_SB_SA_SB_SB_.num_agpr, 0
	.set _ZN9rocsparseL14kernel_freerunILi1024ELi8EdiiEEvT3_S1_T2_PKS2_S4_PKS1_PKT1_21rocsparse_index_base_S4_S4_S6_PS7_SB_SA_S4_S4_S6_SB_SB_SA_SB_SB_.numbered_sgpr, 56
	.set _ZN9rocsparseL14kernel_freerunILi1024ELi8EdiiEEvT3_S1_T2_PKS2_S4_PKS1_PKT1_21rocsparse_index_base_S4_S4_S6_PS7_SB_SA_S4_S4_S6_SB_SB_SA_SB_SB_.num_named_barrier, 0
	.set _ZN9rocsparseL14kernel_freerunILi1024ELi8EdiiEEvT3_S1_T2_PKS2_S4_PKS1_PKT1_21rocsparse_index_base_S4_S4_S6_PS7_SB_SA_S4_S4_S6_SB_SB_SA_SB_SB_.private_seg_size, 0
	.set _ZN9rocsparseL14kernel_freerunILi1024ELi8EdiiEEvT3_S1_T2_PKS2_S4_PKS1_PKT1_21rocsparse_index_base_S4_S4_S6_PS7_SB_SA_S4_S4_S6_SB_SB_SA_SB_SB_.uses_vcc, 1
	.set _ZN9rocsparseL14kernel_freerunILi1024ELi8EdiiEEvT3_S1_T2_PKS2_S4_PKS1_PKT1_21rocsparse_index_base_S4_S4_S6_PS7_SB_SA_S4_S4_S6_SB_SB_SA_SB_SB_.uses_flat_scratch, 0
	.set _ZN9rocsparseL14kernel_freerunILi1024ELi8EdiiEEvT3_S1_T2_PKS2_S4_PKS1_PKT1_21rocsparse_index_base_S4_S4_S6_PS7_SB_SA_S4_S4_S6_SB_SB_SA_SB_SB_.has_dyn_sized_stack, 0
	.set _ZN9rocsparseL14kernel_freerunILi1024ELi8EdiiEEvT3_S1_T2_PKS2_S4_PKS1_PKT1_21rocsparse_index_base_S4_S4_S6_PS7_SB_SA_S4_S4_S6_SB_SB_SA_SB_SB_.has_recursion, 0
	.set _ZN9rocsparseL14kernel_freerunILi1024ELi8EdiiEEvT3_S1_T2_PKS2_S4_PKS1_PKT1_21rocsparse_index_base_S4_S4_S6_PS7_SB_SA_S4_S4_S6_SB_SB_SA_SB_SB_.has_indirect_call, 0
	.section	.AMDGPU.csdata,"",@progbits
; Kernel info:
; codeLenInByte = 2456
; TotalNumSgprs: 58
; NumVgprs: 34
; ScratchSize: 0
; MemoryBound: 1
; FloatMode: 240
; IeeeMode: 1
; LDSByteSize: 0 bytes/workgroup (compile time only)
; SGPRBlocks: 0
; VGPRBlocks: 4
; NumSGPRsForWavesPerEU: 58
; NumVGPRsForWavesPerEU: 34
; Occupancy: 16
; WaveLimiterHint : 1
; COMPUTE_PGM_RSRC2:SCRATCH_EN: 0
; COMPUTE_PGM_RSRC2:USER_SGPR: 6
; COMPUTE_PGM_RSRC2:TRAP_HANDLER: 0
; COMPUTE_PGM_RSRC2:TGID_X_EN: 1
; COMPUTE_PGM_RSRC2:TGID_Y_EN: 0
; COMPUTE_PGM_RSRC2:TGID_Z_EN: 0
; COMPUTE_PGM_RSRC2:TIDIG_COMP_CNT: 0
	.section	.text._ZN9rocsparseL14kernel_freerunILi1024ELi16EdiiEEvT3_S1_T2_PKS2_S4_PKS1_PKT1_21rocsparse_index_base_S4_S4_S6_PS7_SB_SA_S4_S4_S6_SB_SB_SA_SB_SB_,"axG",@progbits,_ZN9rocsparseL14kernel_freerunILi1024ELi16EdiiEEvT3_S1_T2_PKS2_S4_PKS1_PKT1_21rocsparse_index_base_S4_S4_S6_PS7_SB_SA_S4_S4_S6_SB_SB_SA_SB_SB_,comdat
	.globl	_ZN9rocsparseL14kernel_freerunILi1024ELi16EdiiEEvT3_S1_T2_PKS2_S4_PKS1_PKT1_21rocsparse_index_base_S4_S4_S6_PS7_SB_SA_S4_S4_S6_SB_SB_SA_SB_SB_ ; -- Begin function _ZN9rocsparseL14kernel_freerunILi1024ELi16EdiiEEvT3_S1_T2_PKS2_S4_PKS1_PKT1_21rocsparse_index_base_S4_S4_S6_PS7_SB_SA_S4_S4_S6_SB_SB_SA_SB_SB_
	.p2align	8
	.type	_ZN9rocsparseL14kernel_freerunILi1024ELi16EdiiEEvT3_S1_T2_PKS2_S4_PKS1_PKT1_21rocsparse_index_base_S4_S4_S6_PS7_SB_SA_S4_S4_S6_SB_SB_SA_SB_SB_,@function
_ZN9rocsparseL14kernel_freerunILi1024ELi16EdiiEEvT3_S1_T2_PKS2_S4_PKS1_PKT1_21rocsparse_index_base_S4_S4_S6_PS7_SB_SA_S4_S4_S6_SB_SB_SA_SB_SB_: ; @_ZN9rocsparseL14kernel_freerunILi1024ELi16EdiiEEvT3_S1_T2_PKS2_S4_PKS1_PKT1_21rocsparse_index_base_S4_S4_S6_PS7_SB_SA_S4_S4_S6_SB_SB_SA_SB_SB_
; %bb.0:
	s_load_dwordx2 s[34:35], s[4:5], 0x0
	v_lshrrev_b32_e32 v1, 4, v0
	s_lshl_b32 s0, s6, 10
	s_mov_b32 s33, 0
	v_or_b32_e32 v16, s0, v1
	s_waitcnt lgkmcnt(0)
	v_cmp_gt_i32_e32 vcc_lo, s35, v16
	s_cmp_gt_i32 s34, 0
	s_cselect_b32 s1, -1, 0
	s_and_b32 s1, vcc_lo, s1
	s_and_saveexec_b32 s2, s1
	s_cbranch_execz .LBB18_55
; %bb.1:
	s_clause 0x8
	s_load_dword s42, s[4:5], 0x30
	s_load_dword s43, s[4:5], 0x60
	;; [unrolled: 1-line block ×3, first 2 shown]
	s_load_dwordx2 s[6:7], s[4:5], 0x88
	s_load_dwordx2 s[40:41], s[4:5], 0x58
	s_load_dwordx4 s[36:39], s[4:5], 0x98
	s_load_dwordx8 s[8:15], s[4:5], 0x68
	s_load_dwordx8 s[16:23], s[4:5], 0x38
	;; [unrolled: 1-line block ×3, first 2 shown]
	v_and_b32_e32 v0, 15, v0
	s_add_i32 s4, s0, 0x400
	v_mov_b32_e32 v1, 0
	v_cmp_gt_u32_e64 s0, s4, v16
	v_cmp_eq_u32_e64 s1, 0, v0
	s_waitcnt lgkmcnt(0)
	v_subrev_nc_u32_e32 v17, s42, v0
	v_subrev_nc_u32_e32 v18, s43, v0
	;; [unrolled: 1-line block ×3, first 2 shown]
	s_branch .LBB18_3
.LBB18_2:                               ;   in Loop: Header=BB18_3 Depth=1
	s_or_b32 exec_lo, exec_lo, s3
	s_add_i32 s33, s33, 1
	s_cmp_eq_u32 s33, s34
	s_cbranch_scc1 .LBB18_55
.LBB18_3:                               ; =>This Loop Header: Depth=1
                                        ;     Child Loop BB18_5 Depth 2
                                        ;       Child Loop BB18_9 Depth 3
                                        ;         Child Loop BB18_13 Depth 4
                                        ;         Child Loop BB18_29 Depth 4
	;; [unrolled: 1-line block ×3, first 2 shown]
                                        ;     Child Loop BB18_46 Depth 2
                                        ;       Child Loop BB18_49 Depth 3
                                        ;       Child Loop BB18_52 Depth 3
	s_mov_b32 s5, 0
	s_branch .LBB18_5
.LBB18_4:                               ;   in Loop: Header=BB18_5 Depth=2
	s_or_b32 exec_lo, exec_lo, s45
	s_add_i32 s5, s5, 1
	s_cmp_eq_u32 s5, 16
	s_cbranch_scc1 .LBB18_43
.LBB18_5:                               ;   Parent Loop BB18_3 Depth=1
                                        ; =>  This Loop Header: Depth=2
                                        ;       Child Loop BB18_9 Depth 3
                                        ;         Child Loop BB18_13 Depth 4
                                        ;         Child Loop BB18_29 Depth 4
	;; [unrolled: 1-line block ×3, first 2 shown]
	v_lshl_add_u32 v2, s5, 6, v16
	s_mov_b32 s45, exec_lo
	v_cmpx_gt_i32_e64 s35, v2
	s_cbranch_execz .LBB18_4
; %bb.6:                                ;   in Loop: Header=BB18_5 Depth=2
	v_ashrrev_i32_e32 v3, 31, v2
	v_lshlrev_b64 v[4:5], 2, v[2:3]
	v_add_co_u32 v6, vcc_lo, s24, v4
	v_add_co_ci_u32_e64 v7, null, s25, v5, vcc_lo
	v_add_co_u32 v8, vcc_lo, s26, v4
	v_add_co_ci_u32_e64 v9, null, s27, v5, vcc_lo
	global_load_dword v0, v[6:7], off
	global_load_dword v6, v[8:9], off
	s_waitcnt vmcnt(1)
	v_add_nc_u32_e32 v3, v17, v0
	s_waitcnt vmcnt(0)
	v_subrev_nc_u32_e32 v20, s42, v6
	v_cmp_lt_i32_e32 vcc_lo, v3, v20
	s_and_b32 exec_lo, exec_lo, vcc_lo
	s_cbranch_execz .LBB18_4
; %bb.7:                                ;   in Loop: Header=BB18_5 Depth=2
	v_add_co_u32 v6, vcc_lo, s16, v4
	v_add_co_ci_u32_e64 v7, null, s17, v5, vcc_lo
	v_add_co_u32 v4, vcc_lo, s18, v4
	v_add_co_ci_u32_e64 v5, null, s19, v5, vcc_lo
	global_load_dword v0, v[6:7], off
	s_mov_b32 s46, 0
	global_load_dword v4, v[4:5], off
	s_waitcnt vmcnt(1)
	v_subrev_nc_u32_e32 v5, s43, v0
	s_waitcnt vmcnt(0)
	v_sub_nc_u32_e32 v21, v4, v0
	v_ashrrev_i32_e32 v6, 31, v5
	v_cmp_lt_i32_e64 s2, 0, v21
	v_lshlrev_b64 v[7:8], 2, v[5:6]
	v_lshlrev_b64 v[9:10], 3, v[5:6]
	v_add_co_u32 v22, vcc_lo, s20, v7
	v_add_co_ci_u32_e64 v23, null, s21, v8, vcc_lo
	v_add_co_u32 v24, vcc_lo, s22, v9
	v_add_co_ci_u32_e64 v25, null, s23, v10, vcc_lo
	s_branch .LBB18_9
.LBB18_8:                               ;   in Loop: Header=BB18_9 Depth=3
	s_or_b32 exec_lo, exec_lo, s47
	v_add_nc_u32_e32 v3, 16, v3
	v_cmp_ge_i32_e32 vcc_lo, v3, v20
	s_or_b32 s46, vcc_lo, s46
	s_andn2_b32 exec_lo, exec_lo, s46
	s_cbranch_execz .LBB18_4
.LBB18_9:                               ;   Parent Loop BB18_3 Depth=1
                                        ;     Parent Loop BB18_5 Depth=2
                                        ; =>    This Loop Header: Depth=3
                                        ;         Child Loop BB18_13 Depth 4
                                        ;         Child Loop BB18_29 Depth 4
	;; [unrolled: 1-line block ×3, first 2 shown]
	v_ashrrev_i32_e32 v4, 31, v3
	v_lshlrev_b64 v[6:7], 2, v[3:4]
	v_add_co_u32 v6, vcc_lo, s28, v6
	v_add_co_ci_u32_e64 v7, null, s29, v7, vcc_lo
	global_load_dword v0, v[6:7], off
	s_waitcnt vmcnt(0)
	v_subrev_nc_u32_e32 v6, s42, v0
	v_ashrrev_i32_e32 v7, 31, v6
	v_lshlrev_b64 v[8:9], 2, v[6:7]
	v_add_co_u32 v10, vcc_lo, s8, v8
	v_add_co_ci_u32_e64 v11, null, s9, v9, vcc_lo
	v_add_co_u32 v8, vcc_lo, s10, v8
	v_add_co_ci_u32_e64 v9, null, s11, v9, vcc_lo
	global_load_dword v0, v[10:11], off
	global_load_dword v10, v[8:9], off
	v_mov_b32_e32 v9, 0
	v_mov_b32_e32 v11, 0
	;; [unrolled: 1-line block ×3, first 2 shown]
	s_waitcnt vmcnt(1)
	v_subrev_nc_u32_e32 v8, s44, v0
	s_waitcnt vmcnt(0)
	v_sub_nc_u32_e32 v26, v10, v0
	v_mov_b32_e32 v0, v9
	s_and_saveexec_b32 s47, s2
	s_cbranch_execz .LBB18_17
; %bb.10:                               ;   in Loop: Header=BB18_9 Depth=3
	v_ashrrev_i32_e32 v9, 31, v8
	v_mov_b32_e32 v11, 0
	v_mov_b32_e32 v12, 0
	v_mov_b32_e32 v0, 0
	s_mov_b32 s48, 0
	v_lshlrev_b64 v[13:14], 2, v[8:9]
	v_lshlrev_b64 v[9:10], 3, v[8:9]
                                        ; implicit-def: $sgpr49
	v_add_co_u32 v13, vcc_lo, s12, v13
	v_add_co_ci_u32_e64 v14, null, s13, v14, vcc_lo
	v_add_co_u32 v15, vcc_lo, s14, v9
	v_add_co_ci_u32_e64 v27, null, s15, v10, vcc_lo
	v_mov_b32_e32 v9, 0
	s_branch .LBB18_13
.LBB18_11:                              ;   in Loop: Header=BB18_13 Depth=4
	s_or_b32 exec_lo, exec_lo, s3
	v_cmp_le_i32_e32 vcc_lo, v28, v29
	v_cmp_ge_i32_e64 s3, v28, v29
	v_add_co_ci_u32_e64 v0, null, 0, v0, vcc_lo
	v_add_co_ci_u32_e64 v9, null, 0, v9, s3
	s_andn2_b32 s3, s49, exec_lo
	v_cmp_ge_i32_e32 vcc_lo, v0, v21
	s_and_b32 s49, vcc_lo, exec_lo
	s_or_b32 s49, s3, s49
.LBB18_12:                              ;   in Loop: Header=BB18_13 Depth=4
	s_or_b32 exec_lo, exec_lo, s50
	s_and_b32 s3, exec_lo, s49
	s_or_b32 s48, s3, s48
	s_andn2_b32 exec_lo, exec_lo, s48
	s_cbranch_execz .LBB18_16
.LBB18_13:                              ;   Parent Loop BB18_3 Depth=1
                                        ;     Parent Loop BB18_5 Depth=2
                                        ;       Parent Loop BB18_9 Depth=3
                                        ; =>      This Inner Loop Header: Depth=4
	s_or_b32 s49, s49, exec_lo
	s_mov_b32 s50, exec_lo
	v_cmpx_lt_i32_e64 v9, v26
	s_cbranch_execz .LBB18_12
; %bb.14:                               ;   in Loop: Header=BB18_13 Depth=4
	v_mov_b32_e32 v10, v1
	v_lshlrev_b64 v[28:29], 2, v[0:1]
	s_mov_b32 s3, exec_lo
	v_lshlrev_b64 v[30:31], 2, v[9:10]
	v_add_co_u32 v28, vcc_lo, v22, v28
	v_add_co_ci_u32_e64 v29, null, v23, v29, vcc_lo
	v_add_co_u32 v30, vcc_lo, v13, v30
	v_add_co_ci_u32_e64 v31, null, v14, v31, vcc_lo
	global_load_dword v28, v[28:29], off
	global_load_dword v29, v[30:31], off
	s_waitcnt vmcnt(1)
	v_subrev_nc_u32_e32 v28, s43, v28
	s_waitcnt vmcnt(0)
	v_subrev_nc_u32_e32 v29, s44, v29
	v_cmpx_eq_u32_e64 v28, v29
	s_cbranch_execz .LBB18_11
; %bb.15:                               ;   in Loop: Header=BB18_13 Depth=4
	v_lshlrev_b64 v[30:31], 3, v[0:1]
	v_lshlrev_b64 v[32:33], 3, v[9:10]
	v_add_co_u32 v30, vcc_lo, v24, v30
	v_add_co_ci_u32_e64 v31, null, v25, v31, vcc_lo
	v_add_co_u32 v32, vcc_lo, v15, v32
	v_add_co_ci_u32_e64 v33, null, v27, v33, vcc_lo
	global_load_dwordx2 v[30:31], v[30:31], off
	global_load_dwordx2 v[32:33], v[32:33], off
	s_waitcnt vmcnt(0)
	v_fma_f64 v[11:12], v[30:31], v[32:33], v[11:12]
	s_branch .LBB18_11
.LBB18_16:                              ;   in Loop: Header=BB18_9 Depth=3
	s_or_b32 exec_lo, exec_lo, s48
.LBB18_17:                              ;   in Loop: Header=BB18_9 Depth=3
	s_or_b32 exec_lo, exec_lo, s47
	v_lshlrev_b64 v[13:14], 3, v[3:4]
	v_cmp_le_i32_e64 s3, v2, v6
	s_mov_b32 s47, exec_lo
	v_add_co_u32 v13, vcc_lo, s30, v13
	v_add_co_ci_u32_e64 v14, null, s31, v14, vcc_lo
	global_load_dwordx2 v[13:14], v[13:14], off
	s_waitcnt vmcnt(0)
	v_add_f64 v[10:11], v[13:14], -v[11:12]
	v_cmpx_gt_i32_e64 v2, v6
	s_cbranch_execz .LBB18_21
; %bb.18:                               ;   in Loop: Header=BB18_9 Depth=3
	v_lshlrev_b64 v[12:13], 3, v[6:7]
	v_mov_b32_e32 v14, 0
	v_mov_b32_e32 v15, 0
	s_mov_b32 s48, exec_lo
	v_add_co_u32 v12, vcc_lo, s36, v12
	v_add_co_ci_u32_e64 v13, null, s37, v13, vcc_lo
	global_load_dwordx2 v[12:13], v[12:13], off
	s_waitcnt vmcnt(0)
	v_cmpx_lg_f64_e32 0, v[12:13]
	s_cbranch_execz .LBB18_20
; %bb.19:                               ;   in Loop: Header=BB18_9 Depth=3
	v_div_scale_f64 v[14:15], null, v[12:13], v[12:13], v[10:11]
	v_rcp_f64_e32 v[27:28], v[14:15]
	v_fma_f64 v[29:30], -v[14:15], v[27:28], 1.0
	v_fma_f64 v[27:28], v[27:28], v[29:30], v[27:28]
	v_fma_f64 v[29:30], -v[14:15], v[27:28], 1.0
	v_fma_f64 v[27:28], v[27:28], v[29:30], v[27:28]
	v_div_scale_f64 v[29:30], vcc_lo, v[10:11], v[12:13], v[10:11]
	v_mul_f64 v[31:32], v[29:30], v[27:28]
	v_fma_f64 v[14:15], -v[14:15], v[31:32], v[29:30]
	v_div_fmas_f64 v[14:15], v[14:15], v[27:28], v[31:32]
	v_div_fixup_f64 v[14:15], v[14:15], v[12:13], v[10:11]
.LBB18_20:                              ;   in Loop: Header=BB18_9 Depth=3
	s_or_b32 exec_lo, exec_lo, s48
	v_mov_b32_e32 v10, v14
	v_mov_b32_e32 v11, v15
.LBB18_21:                              ;   in Loop: Header=BB18_9 Depth=3
	s_or_b32 exec_lo, exec_lo, s47
	v_cmp_class_f64_e64 s48, v[10:11], 0x1f8
	s_and_saveexec_b32 s47, s48
	s_cbranch_execz .LBB18_8
; %bb.22:                               ;   in Loop: Header=BB18_9 Depth=3
	s_and_saveexec_b32 s48, s3
	s_xor_b32 s3, exec_lo, s48
	s_cbranch_execz .LBB18_35
; %bb.23:                               ;   in Loop: Header=BB18_9 Depth=3
	s_mov_b32 s48, exec_lo
	v_cmpx_ge_i32_e64 v2, v6
	s_xor_b32 s48, exec_lo, s48
	s_cbranch_execz .LBB18_25
; %bb.24:                               ;   in Loop: Header=BB18_9 Depth=3
	v_lshlrev_b64 v[6:7], 3, v[6:7]
                                        ; implicit-def: $vgpr9
                                        ; implicit-def: $vgpr26
                                        ; implicit-def: $vgpr8
	v_add_co_u32 v6, vcc_lo, s38, v6
	v_add_co_ci_u32_e64 v7, null, s39, v7, vcc_lo
	global_store_dwordx2 v[6:7], v[10:11], off
                                        ; implicit-def: $vgpr10_vgpr11
.LBB18_25:                              ;   in Loop: Header=BB18_9 Depth=3
	s_andn2_saveexec_b32 s48, s48
	s_cbranch_execz .LBB18_34
; %bb.26:                               ;   in Loop: Header=BB18_9 Depth=3
	s_mov_b32 s49, exec_lo
	v_cmpx_lt_i32_e64 v9, v26
	s_cbranch_execz .LBB18_33
; %bb.27:                               ;   in Loop: Header=BB18_9 Depth=3
	s_mov_b32 s50, 0
                                        ; implicit-def: $sgpr51
                                        ; implicit-def: $sgpr53
                                        ; implicit-def: $sgpr52
	s_inst_prefetch 0x1
	s_branch .LBB18_29
	.p2align	6
.LBB18_28:                              ;   in Loop: Header=BB18_29 Depth=4
	s_or_b32 exec_lo, exec_lo, s54
	s_and_b32 s54, exec_lo, s53
	s_or_b32 s50, s54, s50
	s_andn2_b32 s51, s51, exec_lo
	s_and_b32 s54, s52, exec_lo
	s_or_b32 s51, s51, s54
	s_andn2_b32 exec_lo, exec_lo, s50
	s_cbranch_execz .LBB18_31
.LBB18_29:                              ;   Parent Loop BB18_3 Depth=1
                                        ;     Parent Loop BB18_5 Depth=2
                                        ;       Parent Loop BB18_9 Depth=3
                                        ; =>      This Inner Loop Header: Depth=4
	v_add_nc_u32_e32 v6, v8, v9
	s_or_b32 s52, s52, exec_lo
	s_or_b32 s53, s53, exec_lo
	s_mov_b32 s54, exec_lo
	v_ashrrev_i32_e32 v7, 31, v6
	v_lshlrev_b64 v[12:13], 2, v[6:7]
	v_add_co_u32 v12, vcc_lo, s12, v12
	v_add_co_ci_u32_e64 v13, null, s13, v13, vcc_lo
	global_load_dword v0, v[12:13], off
	s_waitcnt vmcnt(0)
	v_subrev_nc_u32_e32 v0, s44, v0
	v_cmpx_ne_u32_e64 v0, v2
	s_cbranch_execz .LBB18_28
; %bb.30:                               ;   in Loop: Header=BB18_29 Depth=4
	v_add_nc_u32_e32 v9, 1, v9
	s_andn2_b32 s53, s53, exec_lo
	s_andn2_b32 s52, s52, exec_lo
	v_cmp_ge_i32_e32 vcc_lo, v9, v26
	s_and_b32 s55, vcc_lo, exec_lo
	s_or_b32 s53, s53, s55
	s_branch .LBB18_28
.LBB18_31:                              ;   in Loop: Header=BB18_9 Depth=3
	s_inst_prefetch 0x2
	s_or_b32 exec_lo, exec_lo, s50
	s_and_saveexec_b32 s50, s51
	s_xor_b32 s50, exec_lo, s50
	s_cbranch_execz .LBB18_33
; %bb.32:                               ;   in Loop: Header=BB18_9 Depth=3
	v_lshlrev_b64 v[6:7], 3, v[6:7]
	v_add_co_u32 v6, vcc_lo, s6, v6
	v_add_co_ci_u32_e64 v7, null, s7, v7, vcc_lo
	global_store_dwordx2 v[6:7], v[10:11], off
.LBB18_33:                              ;   in Loop: Header=BB18_9 Depth=3
	s_or_b32 exec_lo, exec_lo, s49
.LBB18_34:                              ;   in Loop: Header=BB18_9 Depth=3
	s_or_b32 exec_lo, exec_lo, s48
                                        ; implicit-def: $vgpr10_vgpr11
                                        ; implicit-def: $vgpr6_vgpr7
.LBB18_35:                              ;   in Loop: Header=BB18_9 Depth=3
	s_andn2_saveexec_b32 s3, s3
	s_cbranch_execz .LBB18_8
; %bb.36:                               ;   in Loop: Header=BB18_9 Depth=3
	v_cmp_lt_i32_e32 vcc_lo, v0, v21
	s_and_b32 exec_lo, exec_lo, vcc_lo
	s_cbranch_execz .LBB18_8
; %bb.37:                               ;   in Loop: Header=BB18_9 Depth=3
	s_mov_b32 s3, 0
                                        ; implicit-def: $sgpr48
                                        ; implicit-def: $sgpr50
                                        ; implicit-def: $sgpr49
	s_inst_prefetch 0x1
	s_branch .LBB18_39
	.p2align	6
.LBB18_38:                              ;   in Loop: Header=BB18_39 Depth=4
	s_or_b32 exec_lo, exec_lo, s51
	s_and_b32 s51, exec_lo, s50
	s_or_b32 s3, s51, s3
	s_andn2_b32 s48, s48, exec_lo
	s_and_b32 s51, s49, exec_lo
	s_or_b32 s48, s48, s51
	s_andn2_b32 exec_lo, exec_lo, s3
	s_cbranch_execz .LBB18_41
.LBB18_39:                              ;   Parent Loop BB18_3 Depth=1
                                        ;     Parent Loop BB18_5 Depth=2
                                        ;       Parent Loop BB18_9 Depth=3
                                        ; =>      This Inner Loop Header: Depth=4
	v_add_nc_u32_e32 v7, v5, v0
	s_or_b32 s49, s49, exec_lo
	s_or_b32 s50, s50, exec_lo
	s_mov_b32 s51, exec_lo
	v_ashrrev_i32_e32 v8, 31, v7
	v_lshlrev_b64 v[12:13], 2, v[7:8]
	v_add_co_u32 v12, vcc_lo, s20, v12
	v_add_co_ci_u32_e64 v13, null, s21, v13, vcc_lo
	global_load_dword v4, v[12:13], off
	s_waitcnt vmcnt(0)
	v_subrev_nc_u32_e32 v4, s43, v4
	v_cmpx_ne_u32_e64 v4, v6
	s_cbranch_execz .LBB18_38
; %bb.40:                               ;   in Loop: Header=BB18_39 Depth=4
	v_add_nc_u32_e32 v0, 1, v0
	s_andn2_b32 s50, s50, exec_lo
	s_andn2_b32 s49, s49, exec_lo
	v_cmp_ge_i32_e32 vcc_lo, v0, v21
	s_and_b32 s52, vcc_lo, exec_lo
	s_or_b32 s50, s50, s52
	s_branch .LBB18_38
.LBB18_41:                              ;   in Loop: Header=BB18_9 Depth=3
	s_inst_prefetch 0x2
	s_or_b32 exec_lo, exec_lo, s3
	s_and_saveexec_b32 s3, s48
	s_xor_b32 s3, exec_lo, s3
	s_cbranch_execz .LBB18_8
; %bb.42:                               ;   in Loop: Header=BB18_9 Depth=3
	v_lshlrev_b64 v[6:7], 3, v[7:8]
	v_add_co_u32 v6, vcc_lo, s40, v6
	v_add_co_ci_u32_e64 v7, null, s41, v7, vcc_lo
	global_store_dwordx2 v[6:7], v[10:11], off
	s_branch .LBB18_8
.LBB18_43:                              ;   in Loop: Header=BB18_3 Depth=1
	s_and_saveexec_b32 s3, s0
	s_cbranch_execz .LBB18_2
; %bb.44:                               ;   in Loop: Header=BB18_3 Depth=1
	v_mov_b32_e32 v2, v16
	s_mov_b32 s5, 0
	s_branch .LBB18_46
.LBB18_45:                              ;   in Loop: Header=BB18_46 Depth=2
	s_or_b32 exec_lo, exec_lo, s45
	v_add_nc_u32_e32 v2, 64, v2
	v_cmp_le_u32_e32 vcc_lo, s4, v2
	s_or_b32 s5, vcc_lo, s5
	s_andn2_b32 exec_lo, exec_lo, s5
	s_cbranch_execz .LBB18_2
.LBB18_46:                              ;   Parent Loop BB18_3 Depth=1
                                        ; =>  This Loop Header: Depth=2
                                        ;       Child Loop BB18_49 Depth 3
                                        ;       Child Loop BB18_52 Depth 3
	s_mov_b32 s45, exec_lo
	v_cmpx_gt_i32_e64 s35, v2
	s_cbranch_execz .LBB18_45
; %bb.47:                               ;   in Loop: Header=BB18_46 Depth=2
	v_ashrrev_i32_e32 v3, 31, v2
	s_mov_b32 s46, exec_lo
	v_lshlrev_b64 v[4:5], 2, v[2:3]
	v_add_co_u32 v6, vcc_lo, s16, v4
	v_add_co_ci_u32_e64 v7, null, s17, v5, vcc_lo
	v_add_co_u32 v8, vcc_lo, s18, v4
	v_add_co_ci_u32_e64 v9, null, s19, v5, vcc_lo
	global_load_dword v0, v[6:7], off
	global_load_dword v7, v[8:9], off
	s_waitcnt vmcnt(1)
	v_add_nc_u32_e32 v6, v18, v0
	s_waitcnt vmcnt(0)
	v_subrev_nc_u32_e32 v0, s43, v7
	v_cmpx_lt_i32_e64 v6, v0
	s_cbranch_execz .LBB18_50
; %bb.48:                               ;   in Loop: Header=BB18_46 Depth=2
	v_ashrrev_i32_e32 v7, 31, v6
	s_mov_b32 s47, 0
	v_lshlrev_b64 v[9:10], 3, v[6:7]
	v_add_co_u32 v7, vcc_lo, s40, v9
	v_add_co_ci_u32_e64 v8, null, s41, v10, vcc_lo
	v_add_co_u32 v9, vcc_lo, s22, v9
	v_add_co_ci_u32_e64 v10, null, s23, v10, vcc_lo
	.p2align	6
.LBB18_49:                              ;   Parent Loop BB18_3 Depth=1
                                        ;     Parent Loop BB18_46 Depth=2
                                        ; =>    This Inner Loop Header: Depth=3
	global_load_dwordx2 v[11:12], v[7:8], off
	v_add_nc_u32_e32 v6, 16, v6
	v_add_co_u32 v7, vcc_lo, 0x80, v7
	v_add_co_ci_u32_e64 v8, null, 0, v8, vcc_lo
	v_cmp_ge_i32_e32 vcc_lo, v6, v0
	s_or_b32 s47, vcc_lo, s47
	s_waitcnt vmcnt(0)
	global_store_dwordx2 v[9:10], v[11:12], off
	v_add_co_u32 v9, s2, 0x80, v9
	v_add_co_ci_u32_e64 v10, null, 0, v10, s2
	s_andn2_b32 exec_lo, exec_lo, s47
	s_cbranch_execnz .LBB18_49
.LBB18_50:                              ;   in Loop: Header=BB18_46 Depth=2
	s_or_b32 exec_lo, exec_lo, s46
	v_add_co_u32 v6, vcc_lo, s8, v4
	v_add_co_ci_u32_e64 v7, null, s9, v5, vcc_lo
	v_add_co_u32 v4, vcc_lo, s10, v4
	v_add_co_ci_u32_e64 v5, null, s11, v5, vcc_lo
	global_load_dword v0, v[6:7], off
	global_load_dword v5, v[4:5], off
	s_mov_b32 s46, exec_lo
	s_waitcnt vmcnt(1)
	v_add_nc_u32_e32 v4, v19, v0
	s_waitcnt vmcnt(0)
	v_subrev_nc_u32_e32 v0, s44, v5
	v_cmpx_lt_i32_e64 v4, v0
	s_cbranch_execz .LBB18_53
; %bb.51:                               ;   in Loop: Header=BB18_46 Depth=2
	v_ashrrev_i32_e32 v5, 31, v4
	s_mov_b32 s47, 0
	v_lshlrev_b64 v[7:8], 3, v[4:5]
	v_add_co_u32 v5, vcc_lo, s6, v7
	v_add_co_ci_u32_e64 v6, null, s7, v8, vcc_lo
	v_add_co_u32 v7, vcc_lo, s14, v7
	v_add_co_ci_u32_e64 v8, null, s15, v8, vcc_lo
	.p2align	6
.LBB18_52:                              ;   Parent Loop BB18_3 Depth=1
                                        ;     Parent Loop BB18_46 Depth=2
                                        ; =>    This Inner Loop Header: Depth=3
	global_load_dwordx2 v[9:10], v[5:6], off
	v_add_nc_u32_e32 v4, 16, v4
	v_add_co_u32 v5, vcc_lo, 0x80, v5
	v_add_co_ci_u32_e64 v6, null, 0, v6, vcc_lo
	v_cmp_ge_i32_e32 vcc_lo, v4, v0
	s_or_b32 s47, vcc_lo, s47
	s_waitcnt vmcnt(0)
	global_store_dwordx2 v[7:8], v[9:10], off
	v_add_co_u32 v7, s2, 0x80, v7
	v_add_co_ci_u32_e64 v8, null, 0, v8, s2
	s_andn2_b32 exec_lo, exec_lo, s47
	s_cbranch_execnz .LBB18_52
.LBB18_53:                              ;   in Loop: Header=BB18_46 Depth=2
	s_or_b32 exec_lo, exec_lo, s46
	s_and_b32 exec_lo, exec_lo, s1
	s_cbranch_execz .LBB18_45
; %bb.54:                               ;   in Loop: Header=BB18_46 Depth=2
	v_lshlrev_b64 v[3:4], 3, v[2:3]
	v_add_co_u32 v5, vcc_lo, s38, v3
	v_add_co_ci_u32_e64 v6, null, s39, v4, vcc_lo
	v_add_co_u32 v3, vcc_lo, s36, v3
	v_add_co_ci_u32_e64 v4, null, s37, v4, vcc_lo
	global_load_dwordx2 v[5:6], v[5:6], off
	s_waitcnt vmcnt(0)
	global_store_dwordx2 v[3:4], v[5:6], off
	s_branch .LBB18_45
.LBB18_55:
	s_endpgm
	.section	.rodata,"a",@progbits
	.p2align	6, 0x0
	.amdhsa_kernel _ZN9rocsparseL14kernel_freerunILi1024ELi16EdiiEEvT3_S1_T2_PKS2_S4_PKS1_PKT1_21rocsparse_index_base_S4_S4_S6_PS7_SB_SA_S4_S4_S6_SB_SB_SA_SB_SB_
		.amdhsa_group_segment_fixed_size 0
		.amdhsa_private_segment_fixed_size 0
		.amdhsa_kernarg_size 168
		.amdhsa_user_sgpr_count 6
		.amdhsa_user_sgpr_private_segment_buffer 1
		.amdhsa_user_sgpr_dispatch_ptr 0
		.amdhsa_user_sgpr_queue_ptr 0
		.amdhsa_user_sgpr_kernarg_segment_ptr 1
		.amdhsa_user_sgpr_dispatch_id 0
		.amdhsa_user_sgpr_flat_scratch_init 0
		.amdhsa_user_sgpr_private_segment_size 0
		.amdhsa_wavefront_size32 1
		.amdhsa_uses_dynamic_stack 0
		.amdhsa_system_sgpr_private_segment_wavefront_offset 0
		.amdhsa_system_sgpr_workgroup_id_x 1
		.amdhsa_system_sgpr_workgroup_id_y 0
		.amdhsa_system_sgpr_workgroup_id_z 0
		.amdhsa_system_sgpr_workgroup_info 0
		.amdhsa_system_vgpr_workitem_id 0
		.amdhsa_next_free_vgpr 34
		.amdhsa_next_free_sgpr 56
		.amdhsa_reserve_vcc 1
		.amdhsa_reserve_flat_scratch 0
		.amdhsa_float_round_mode_32 0
		.amdhsa_float_round_mode_16_64 0
		.amdhsa_float_denorm_mode_32 3
		.amdhsa_float_denorm_mode_16_64 3
		.amdhsa_dx10_clamp 1
		.amdhsa_ieee_mode 1
		.amdhsa_fp16_overflow 0
		.amdhsa_workgroup_processor_mode 1
		.amdhsa_memory_ordered 1
		.amdhsa_forward_progress 1
		.amdhsa_shared_vgpr_count 0
		.amdhsa_exception_fp_ieee_invalid_op 0
		.amdhsa_exception_fp_denorm_src 0
		.amdhsa_exception_fp_ieee_div_zero 0
		.amdhsa_exception_fp_ieee_overflow 0
		.amdhsa_exception_fp_ieee_underflow 0
		.amdhsa_exception_fp_ieee_inexact 0
		.amdhsa_exception_int_div_zero 0
	.end_amdhsa_kernel
	.section	.text._ZN9rocsparseL14kernel_freerunILi1024ELi16EdiiEEvT3_S1_T2_PKS2_S4_PKS1_PKT1_21rocsparse_index_base_S4_S4_S6_PS7_SB_SA_S4_S4_S6_SB_SB_SA_SB_SB_,"axG",@progbits,_ZN9rocsparseL14kernel_freerunILi1024ELi16EdiiEEvT3_S1_T2_PKS2_S4_PKS1_PKT1_21rocsparse_index_base_S4_S4_S6_PS7_SB_SA_S4_S4_S6_SB_SB_SA_SB_SB_,comdat
.Lfunc_end18:
	.size	_ZN9rocsparseL14kernel_freerunILi1024ELi16EdiiEEvT3_S1_T2_PKS2_S4_PKS1_PKT1_21rocsparse_index_base_S4_S4_S6_PS7_SB_SA_S4_S4_S6_SB_SB_SA_SB_SB_, .Lfunc_end18-_ZN9rocsparseL14kernel_freerunILi1024ELi16EdiiEEvT3_S1_T2_PKS2_S4_PKS1_PKT1_21rocsparse_index_base_S4_S4_S6_PS7_SB_SA_S4_S4_S6_SB_SB_SA_SB_SB_
                                        ; -- End function
	.set _ZN9rocsparseL14kernel_freerunILi1024ELi16EdiiEEvT3_S1_T2_PKS2_S4_PKS1_PKT1_21rocsparse_index_base_S4_S4_S6_PS7_SB_SA_S4_S4_S6_SB_SB_SA_SB_SB_.num_vgpr, 34
	.set _ZN9rocsparseL14kernel_freerunILi1024ELi16EdiiEEvT3_S1_T2_PKS2_S4_PKS1_PKT1_21rocsparse_index_base_S4_S4_S6_PS7_SB_SA_S4_S4_S6_SB_SB_SA_SB_SB_.num_agpr, 0
	.set _ZN9rocsparseL14kernel_freerunILi1024ELi16EdiiEEvT3_S1_T2_PKS2_S4_PKS1_PKT1_21rocsparse_index_base_S4_S4_S6_PS7_SB_SA_S4_S4_S6_SB_SB_SA_SB_SB_.numbered_sgpr, 56
	.set _ZN9rocsparseL14kernel_freerunILi1024ELi16EdiiEEvT3_S1_T2_PKS2_S4_PKS1_PKT1_21rocsparse_index_base_S4_S4_S6_PS7_SB_SA_S4_S4_S6_SB_SB_SA_SB_SB_.num_named_barrier, 0
	.set _ZN9rocsparseL14kernel_freerunILi1024ELi16EdiiEEvT3_S1_T2_PKS2_S4_PKS1_PKT1_21rocsparse_index_base_S4_S4_S6_PS7_SB_SA_S4_S4_S6_SB_SB_SA_SB_SB_.private_seg_size, 0
	.set _ZN9rocsparseL14kernel_freerunILi1024ELi16EdiiEEvT3_S1_T2_PKS2_S4_PKS1_PKT1_21rocsparse_index_base_S4_S4_S6_PS7_SB_SA_S4_S4_S6_SB_SB_SA_SB_SB_.uses_vcc, 1
	.set _ZN9rocsparseL14kernel_freerunILi1024ELi16EdiiEEvT3_S1_T2_PKS2_S4_PKS1_PKT1_21rocsparse_index_base_S4_S4_S6_PS7_SB_SA_S4_S4_S6_SB_SB_SA_SB_SB_.uses_flat_scratch, 0
	.set _ZN9rocsparseL14kernel_freerunILi1024ELi16EdiiEEvT3_S1_T2_PKS2_S4_PKS1_PKT1_21rocsparse_index_base_S4_S4_S6_PS7_SB_SA_S4_S4_S6_SB_SB_SA_SB_SB_.has_dyn_sized_stack, 0
	.set _ZN9rocsparseL14kernel_freerunILi1024ELi16EdiiEEvT3_S1_T2_PKS2_S4_PKS1_PKT1_21rocsparse_index_base_S4_S4_S6_PS7_SB_SA_S4_S4_S6_SB_SB_SA_SB_SB_.has_recursion, 0
	.set _ZN9rocsparseL14kernel_freerunILi1024ELi16EdiiEEvT3_S1_T2_PKS2_S4_PKS1_PKT1_21rocsparse_index_base_S4_S4_S6_PS7_SB_SA_S4_S4_S6_SB_SB_SA_SB_SB_.has_indirect_call, 0
	.section	.AMDGPU.csdata,"",@progbits
; Kernel info:
; codeLenInByte = 2464
; TotalNumSgprs: 58
; NumVgprs: 34
; ScratchSize: 0
; MemoryBound: 1
; FloatMode: 240
; IeeeMode: 1
; LDSByteSize: 0 bytes/workgroup (compile time only)
; SGPRBlocks: 0
; VGPRBlocks: 4
; NumSGPRsForWavesPerEU: 58
; NumVGPRsForWavesPerEU: 34
; Occupancy: 16
; WaveLimiterHint : 1
; COMPUTE_PGM_RSRC2:SCRATCH_EN: 0
; COMPUTE_PGM_RSRC2:USER_SGPR: 6
; COMPUTE_PGM_RSRC2:TRAP_HANDLER: 0
; COMPUTE_PGM_RSRC2:TGID_X_EN: 1
; COMPUTE_PGM_RSRC2:TGID_Y_EN: 0
; COMPUTE_PGM_RSRC2:TGID_Z_EN: 0
; COMPUTE_PGM_RSRC2:TIDIG_COMP_CNT: 0
	.section	.text._ZN9rocsparseL14kernel_freerunILi1024ELi32EdiiEEvT3_S1_T2_PKS2_S4_PKS1_PKT1_21rocsparse_index_base_S4_S4_S6_PS7_SB_SA_S4_S4_S6_SB_SB_SA_SB_SB_,"axG",@progbits,_ZN9rocsparseL14kernel_freerunILi1024ELi32EdiiEEvT3_S1_T2_PKS2_S4_PKS1_PKT1_21rocsparse_index_base_S4_S4_S6_PS7_SB_SA_S4_S4_S6_SB_SB_SA_SB_SB_,comdat
	.globl	_ZN9rocsparseL14kernel_freerunILi1024ELi32EdiiEEvT3_S1_T2_PKS2_S4_PKS1_PKT1_21rocsparse_index_base_S4_S4_S6_PS7_SB_SA_S4_S4_S6_SB_SB_SA_SB_SB_ ; -- Begin function _ZN9rocsparseL14kernel_freerunILi1024ELi32EdiiEEvT3_S1_T2_PKS2_S4_PKS1_PKT1_21rocsparse_index_base_S4_S4_S6_PS7_SB_SA_S4_S4_S6_SB_SB_SA_SB_SB_
	.p2align	8
	.type	_ZN9rocsparseL14kernel_freerunILi1024ELi32EdiiEEvT3_S1_T2_PKS2_S4_PKS1_PKT1_21rocsparse_index_base_S4_S4_S6_PS7_SB_SA_S4_S4_S6_SB_SB_SA_SB_SB_,@function
_ZN9rocsparseL14kernel_freerunILi1024ELi32EdiiEEvT3_S1_T2_PKS2_S4_PKS1_PKT1_21rocsparse_index_base_S4_S4_S6_PS7_SB_SA_S4_S4_S6_SB_SB_SA_SB_SB_: ; @_ZN9rocsparseL14kernel_freerunILi1024ELi32EdiiEEvT3_S1_T2_PKS2_S4_PKS1_PKT1_21rocsparse_index_base_S4_S4_S6_PS7_SB_SA_S4_S4_S6_SB_SB_SA_SB_SB_
; %bb.0:
	s_load_dwordx2 s[34:35], s[4:5], 0x0
	v_lshrrev_b32_e32 v1, 5, v0
	s_lshl_b32 s0, s6, 10
	s_mov_b32 s33, 0
	v_or_b32_e32 v16, s0, v1
	s_waitcnt lgkmcnt(0)
	v_cmp_gt_i32_e32 vcc_lo, s35, v16
	s_cmp_gt_i32 s34, 0
	s_cselect_b32 s1, -1, 0
	s_and_b32 s1, vcc_lo, s1
	s_and_saveexec_b32 s2, s1
	s_cbranch_execz .LBB19_55
; %bb.1:
	s_clause 0x8
	s_load_dword s42, s[4:5], 0x30
	s_load_dword s43, s[4:5], 0x60
	;; [unrolled: 1-line block ×3, first 2 shown]
	s_load_dwordx2 s[6:7], s[4:5], 0x88
	s_load_dwordx2 s[40:41], s[4:5], 0x58
	s_load_dwordx4 s[36:39], s[4:5], 0x98
	s_load_dwordx8 s[8:15], s[4:5], 0x68
	s_load_dwordx8 s[16:23], s[4:5], 0x38
	;; [unrolled: 1-line block ×3, first 2 shown]
	v_and_b32_e32 v0, 31, v0
	s_add_i32 s4, s0, 0x400
	v_mov_b32_e32 v1, 0
	v_cmp_gt_u32_e64 s0, s4, v16
	v_cmp_eq_u32_e64 s1, 0, v0
	s_waitcnt lgkmcnt(0)
	v_subrev_nc_u32_e32 v17, s42, v0
	v_subrev_nc_u32_e32 v18, s43, v0
	;; [unrolled: 1-line block ×3, first 2 shown]
	s_branch .LBB19_3
.LBB19_2:                               ;   in Loop: Header=BB19_3 Depth=1
	s_or_b32 exec_lo, exec_lo, s3
	s_add_i32 s33, s33, 1
	s_cmp_eq_u32 s33, s34
	s_cbranch_scc1 .LBB19_55
.LBB19_3:                               ; =>This Loop Header: Depth=1
                                        ;     Child Loop BB19_5 Depth 2
                                        ;       Child Loop BB19_9 Depth 3
                                        ;         Child Loop BB19_13 Depth 4
                                        ;         Child Loop BB19_29 Depth 4
	;; [unrolled: 1-line block ×3, first 2 shown]
                                        ;     Child Loop BB19_46 Depth 2
                                        ;       Child Loop BB19_49 Depth 3
                                        ;       Child Loop BB19_52 Depth 3
	s_mov_b32 s5, 0
	s_branch .LBB19_5
.LBB19_4:                               ;   in Loop: Header=BB19_5 Depth=2
	s_or_b32 exec_lo, exec_lo, s45
	s_add_i32 s5, s5, 1
	s_cmp_eq_u32 s5, 32
	s_cbranch_scc1 .LBB19_43
.LBB19_5:                               ;   Parent Loop BB19_3 Depth=1
                                        ; =>  This Loop Header: Depth=2
                                        ;       Child Loop BB19_9 Depth 3
                                        ;         Child Loop BB19_13 Depth 4
                                        ;         Child Loop BB19_29 Depth 4
	;; [unrolled: 1-line block ×3, first 2 shown]
	v_lshl_add_u32 v2, s5, 5, v16
	s_mov_b32 s45, exec_lo
	v_cmpx_gt_i32_e64 s35, v2
	s_cbranch_execz .LBB19_4
; %bb.6:                                ;   in Loop: Header=BB19_5 Depth=2
	v_ashrrev_i32_e32 v3, 31, v2
	v_lshlrev_b64 v[4:5], 2, v[2:3]
	v_add_co_u32 v6, vcc_lo, s24, v4
	v_add_co_ci_u32_e64 v7, null, s25, v5, vcc_lo
	v_add_co_u32 v8, vcc_lo, s26, v4
	v_add_co_ci_u32_e64 v9, null, s27, v5, vcc_lo
	global_load_dword v0, v[6:7], off
	global_load_dword v6, v[8:9], off
	s_waitcnt vmcnt(1)
	v_add_nc_u32_e32 v3, v17, v0
	s_waitcnt vmcnt(0)
	v_subrev_nc_u32_e32 v20, s42, v6
	v_cmp_lt_i32_e32 vcc_lo, v3, v20
	s_and_b32 exec_lo, exec_lo, vcc_lo
	s_cbranch_execz .LBB19_4
; %bb.7:                                ;   in Loop: Header=BB19_5 Depth=2
	v_add_co_u32 v6, vcc_lo, s16, v4
	v_add_co_ci_u32_e64 v7, null, s17, v5, vcc_lo
	v_add_co_u32 v4, vcc_lo, s18, v4
	v_add_co_ci_u32_e64 v5, null, s19, v5, vcc_lo
	global_load_dword v0, v[6:7], off
	s_mov_b32 s46, 0
	global_load_dword v4, v[4:5], off
	s_waitcnt vmcnt(1)
	v_subrev_nc_u32_e32 v5, s43, v0
	s_waitcnt vmcnt(0)
	v_sub_nc_u32_e32 v21, v4, v0
	v_ashrrev_i32_e32 v6, 31, v5
	v_cmp_lt_i32_e64 s2, 0, v21
	v_lshlrev_b64 v[7:8], 2, v[5:6]
	v_lshlrev_b64 v[9:10], 3, v[5:6]
	v_add_co_u32 v22, vcc_lo, s20, v7
	v_add_co_ci_u32_e64 v23, null, s21, v8, vcc_lo
	v_add_co_u32 v24, vcc_lo, s22, v9
	v_add_co_ci_u32_e64 v25, null, s23, v10, vcc_lo
	s_branch .LBB19_9
.LBB19_8:                               ;   in Loop: Header=BB19_9 Depth=3
	s_or_b32 exec_lo, exec_lo, s47
	v_add_nc_u32_e32 v3, 32, v3
	v_cmp_ge_i32_e32 vcc_lo, v3, v20
	s_or_b32 s46, vcc_lo, s46
	s_andn2_b32 exec_lo, exec_lo, s46
	s_cbranch_execz .LBB19_4
.LBB19_9:                               ;   Parent Loop BB19_3 Depth=1
                                        ;     Parent Loop BB19_5 Depth=2
                                        ; =>    This Loop Header: Depth=3
                                        ;         Child Loop BB19_13 Depth 4
                                        ;         Child Loop BB19_29 Depth 4
	;; [unrolled: 1-line block ×3, first 2 shown]
	v_ashrrev_i32_e32 v4, 31, v3
	v_lshlrev_b64 v[6:7], 2, v[3:4]
	v_add_co_u32 v6, vcc_lo, s28, v6
	v_add_co_ci_u32_e64 v7, null, s29, v7, vcc_lo
	global_load_dword v0, v[6:7], off
	s_waitcnt vmcnt(0)
	v_subrev_nc_u32_e32 v6, s42, v0
	v_ashrrev_i32_e32 v7, 31, v6
	v_lshlrev_b64 v[8:9], 2, v[6:7]
	v_add_co_u32 v10, vcc_lo, s8, v8
	v_add_co_ci_u32_e64 v11, null, s9, v9, vcc_lo
	v_add_co_u32 v8, vcc_lo, s10, v8
	v_add_co_ci_u32_e64 v9, null, s11, v9, vcc_lo
	global_load_dword v0, v[10:11], off
	global_load_dword v10, v[8:9], off
	v_mov_b32_e32 v9, 0
	v_mov_b32_e32 v11, 0
	;; [unrolled: 1-line block ×3, first 2 shown]
	s_waitcnt vmcnt(1)
	v_subrev_nc_u32_e32 v8, s44, v0
	s_waitcnt vmcnt(0)
	v_sub_nc_u32_e32 v26, v10, v0
	v_mov_b32_e32 v0, v9
	s_and_saveexec_b32 s47, s2
	s_cbranch_execz .LBB19_17
; %bb.10:                               ;   in Loop: Header=BB19_9 Depth=3
	v_ashrrev_i32_e32 v9, 31, v8
	v_mov_b32_e32 v11, 0
	v_mov_b32_e32 v12, 0
	;; [unrolled: 1-line block ×3, first 2 shown]
	s_mov_b32 s48, 0
	v_lshlrev_b64 v[13:14], 2, v[8:9]
	v_lshlrev_b64 v[9:10], 3, v[8:9]
                                        ; implicit-def: $sgpr49
	v_add_co_u32 v13, vcc_lo, s12, v13
	v_add_co_ci_u32_e64 v14, null, s13, v14, vcc_lo
	v_add_co_u32 v15, vcc_lo, s14, v9
	v_add_co_ci_u32_e64 v27, null, s15, v10, vcc_lo
	v_mov_b32_e32 v9, 0
	s_branch .LBB19_13
.LBB19_11:                              ;   in Loop: Header=BB19_13 Depth=4
	s_or_b32 exec_lo, exec_lo, s3
	v_cmp_le_i32_e32 vcc_lo, v28, v29
	v_cmp_ge_i32_e64 s3, v28, v29
	v_add_co_ci_u32_e64 v0, null, 0, v0, vcc_lo
	v_add_co_ci_u32_e64 v9, null, 0, v9, s3
	s_andn2_b32 s3, s49, exec_lo
	v_cmp_ge_i32_e32 vcc_lo, v0, v21
	s_and_b32 s49, vcc_lo, exec_lo
	s_or_b32 s49, s3, s49
.LBB19_12:                              ;   in Loop: Header=BB19_13 Depth=4
	s_or_b32 exec_lo, exec_lo, s50
	s_and_b32 s3, exec_lo, s49
	s_or_b32 s48, s3, s48
	s_andn2_b32 exec_lo, exec_lo, s48
	s_cbranch_execz .LBB19_16
.LBB19_13:                              ;   Parent Loop BB19_3 Depth=1
                                        ;     Parent Loop BB19_5 Depth=2
                                        ;       Parent Loop BB19_9 Depth=3
                                        ; =>      This Inner Loop Header: Depth=4
	s_or_b32 s49, s49, exec_lo
	s_mov_b32 s50, exec_lo
	v_cmpx_lt_i32_e64 v9, v26
	s_cbranch_execz .LBB19_12
; %bb.14:                               ;   in Loop: Header=BB19_13 Depth=4
	v_mov_b32_e32 v10, v1
	v_lshlrev_b64 v[28:29], 2, v[0:1]
	s_mov_b32 s3, exec_lo
	v_lshlrev_b64 v[30:31], 2, v[9:10]
	v_add_co_u32 v28, vcc_lo, v22, v28
	v_add_co_ci_u32_e64 v29, null, v23, v29, vcc_lo
	v_add_co_u32 v30, vcc_lo, v13, v30
	v_add_co_ci_u32_e64 v31, null, v14, v31, vcc_lo
	global_load_dword v28, v[28:29], off
	global_load_dword v29, v[30:31], off
	s_waitcnt vmcnt(1)
	v_subrev_nc_u32_e32 v28, s43, v28
	s_waitcnt vmcnt(0)
	v_subrev_nc_u32_e32 v29, s44, v29
	v_cmpx_eq_u32_e64 v28, v29
	s_cbranch_execz .LBB19_11
; %bb.15:                               ;   in Loop: Header=BB19_13 Depth=4
	v_lshlrev_b64 v[30:31], 3, v[0:1]
	v_lshlrev_b64 v[32:33], 3, v[9:10]
	v_add_co_u32 v30, vcc_lo, v24, v30
	v_add_co_ci_u32_e64 v31, null, v25, v31, vcc_lo
	v_add_co_u32 v32, vcc_lo, v15, v32
	v_add_co_ci_u32_e64 v33, null, v27, v33, vcc_lo
	global_load_dwordx2 v[30:31], v[30:31], off
	global_load_dwordx2 v[32:33], v[32:33], off
	s_waitcnt vmcnt(0)
	v_fma_f64 v[11:12], v[30:31], v[32:33], v[11:12]
	s_branch .LBB19_11
.LBB19_16:                              ;   in Loop: Header=BB19_9 Depth=3
	s_or_b32 exec_lo, exec_lo, s48
.LBB19_17:                              ;   in Loop: Header=BB19_9 Depth=3
	s_or_b32 exec_lo, exec_lo, s47
	v_lshlrev_b64 v[13:14], 3, v[3:4]
	v_cmp_le_i32_e64 s3, v2, v6
	s_mov_b32 s47, exec_lo
	v_add_co_u32 v13, vcc_lo, s30, v13
	v_add_co_ci_u32_e64 v14, null, s31, v14, vcc_lo
	global_load_dwordx2 v[13:14], v[13:14], off
	s_waitcnt vmcnt(0)
	v_add_f64 v[10:11], v[13:14], -v[11:12]
	v_cmpx_gt_i32_e64 v2, v6
	s_cbranch_execz .LBB19_21
; %bb.18:                               ;   in Loop: Header=BB19_9 Depth=3
	v_lshlrev_b64 v[12:13], 3, v[6:7]
	v_mov_b32_e32 v14, 0
	v_mov_b32_e32 v15, 0
	s_mov_b32 s48, exec_lo
	v_add_co_u32 v12, vcc_lo, s36, v12
	v_add_co_ci_u32_e64 v13, null, s37, v13, vcc_lo
	global_load_dwordx2 v[12:13], v[12:13], off
	s_waitcnt vmcnt(0)
	v_cmpx_lg_f64_e32 0, v[12:13]
	s_cbranch_execz .LBB19_20
; %bb.19:                               ;   in Loop: Header=BB19_9 Depth=3
	v_div_scale_f64 v[14:15], null, v[12:13], v[12:13], v[10:11]
	v_rcp_f64_e32 v[27:28], v[14:15]
	v_fma_f64 v[29:30], -v[14:15], v[27:28], 1.0
	v_fma_f64 v[27:28], v[27:28], v[29:30], v[27:28]
	v_fma_f64 v[29:30], -v[14:15], v[27:28], 1.0
	v_fma_f64 v[27:28], v[27:28], v[29:30], v[27:28]
	v_div_scale_f64 v[29:30], vcc_lo, v[10:11], v[12:13], v[10:11]
	v_mul_f64 v[31:32], v[29:30], v[27:28]
	v_fma_f64 v[14:15], -v[14:15], v[31:32], v[29:30]
	v_div_fmas_f64 v[14:15], v[14:15], v[27:28], v[31:32]
	v_div_fixup_f64 v[14:15], v[14:15], v[12:13], v[10:11]
.LBB19_20:                              ;   in Loop: Header=BB19_9 Depth=3
	s_or_b32 exec_lo, exec_lo, s48
	v_mov_b32_e32 v10, v14
	v_mov_b32_e32 v11, v15
.LBB19_21:                              ;   in Loop: Header=BB19_9 Depth=3
	s_or_b32 exec_lo, exec_lo, s47
	v_cmp_class_f64_e64 s48, v[10:11], 0x1f8
	s_and_saveexec_b32 s47, s48
	s_cbranch_execz .LBB19_8
; %bb.22:                               ;   in Loop: Header=BB19_9 Depth=3
	s_and_saveexec_b32 s48, s3
	s_xor_b32 s3, exec_lo, s48
	s_cbranch_execz .LBB19_35
; %bb.23:                               ;   in Loop: Header=BB19_9 Depth=3
	s_mov_b32 s48, exec_lo
	v_cmpx_ge_i32_e64 v2, v6
	s_xor_b32 s48, exec_lo, s48
	s_cbranch_execz .LBB19_25
; %bb.24:                               ;   in Loop: Header=BB19_9 Depth=3
	v_lshlrev_b64 v[6:7], 3, v[6:7]
                                        ; implicit-def: $vgpr9
                                        ; implicit-def: $vgpr26
                                        ; implicit-def: $vgpr8
	v_add_co_u32 v6, vcc_lo, s38, v6
	v_add_co_ci_u32_e64 v7, null, s39, v7, vcc_lo
	global_store_dwordx2 v[6:7], v[10:11], off
                                        ; implicit-def: $vgpr10_vgpr11
.LBB19_25:                              ;   in Loop: Header=BB19_9 Depth=3
	s_andn2_saveexec_b32 s48, s48
	s_cbranch_execz .LBB19_34
; %bb.26:                               ;   in Loop: Header=BB19_9 Depth=3
	s_mov_b32 s49, exec_lo
	v_cmpx_lt_i32_e64 v9, v26
	s_cbranch_execz .LBB19_33
; %bb.27:                               ;   in Loop: Header=BB19_9 Depth=3
	s_mov_b32 s50, 0
                                        ; implicit-def: $sgpr51
                                        ; implicit-def: $sgpr53
                                        ; implicit-def: $sgpr52
	s_inst_prefetch 0x1
	s_branch .LBB19_29
	.p2align	6
.LBB19_28:                              ;   in Loop: Header=BB19_29 Depth=4
	s_or_b32 exec_lo, exec_lo, s54
	s_and_b32 s54, exec_lo, s53
	s_or_b32 s50, s54, s50
	s_andn2_b32 s51, s51, exec_lo
	s_and_b32 s54, s52, exec_lo
	s_or_b32 s51, s51, s54
	s_andn2_b32 exec_lo, exec_lo, s50
	s_cbranch_execz .LBB19_31
.LBB19_29:                              ;   Parent Loop BB19_3 Depth=1
                                        ;     Parent Loop BB19_5 Depth=2
                                        ;       Parent Loop BB19_9 Depth=3
                                        ; =>      This Inner Loop Header: Depth=4
	v_add_nc_u32_e32 v6, v8, v9
	s_or_b32 s52, s52, exec_lo
	s_or_b32 s53, s53, exec_lo
	s_mov_b32 s54, exec_lo
	v_ashrrev_i32_e32 v7, 31, v6
	v_lshlrev_b64 v[12:13], 2, v[6:7]
	v_add_co_u32 v12, vcc_lo, s12, v12
	v_add_co_ci_u32_e64 v13, null, s13, v13, vcc_lo
	global_load_dword v0, v[12:13], off
	s_waitcnt vmcnt(0)
	v_subrev_nc_u32_e32 v0, s44, v0
	v_cmpx_ne_u32_e64 v0, v2
	s_cbranch_execz .LBB19_28
; %bb.30:                               ;   in Loop: Header=BB19_29 Depth=4
	v_add_nc_u32_e32 v9, 1, v9
	s_andn2_b32 s53, s53, exec_lo
	s_andn2_b32 s52, s52, exec_lo
	v_cmp_ge_i32_e32 vcc_lo, v9, v26
	s_and_b32 s55, vcc_lo, exec_lo
	s_or_b32 s53, s53, s55
	s_branch .LBB19_28
.LBB19_31:                              ;   in Loop: Header=BB19_9 Depth=3
	s_inst_prefetch 0x2
	s_or_b32 exec_lo, exec_lo, s50
	s_and_saveexec_b32 s50, s51
	s_xor_b32 s50, exec_lo, s50
	s_cbranch_execz .LBB19_33
; %bb.32:                               ;   in Loop: Header=BB19_9 Depth=3
	v_lshlrev_b64 v[6:7], 3, v[6:7]
	v_add_co_u32 v6, vcc_lo, s6, v6
	v_add_co_ci_u32_e64 v7, null, s7, v7, vcc_lo
	global_store_dwordx2 v[6:7], v[10:11], off
.LBB19_33:                              ;   in Loop: Header=BB19_9 Depth=3
	s_or_b32 exec_lo, exec_lo, s49
.LBB19_34:                              ;   in Loop: Header=BB19_9 Depth=3
	s_or_b32 exec_lo, exec_lo, s48
                                        ; implicit-def: $vgpr10_vgpr11
                                        ; implicit-def: $vgpr6_vgpr7
.LBB19_35:                              ;   in Loop: Header=BB19_9 Depth=3
	s_andn2_saveexec_b32 s3, s3
	s_cbranch_execz .LBB19_8
; %bb.36:                               ;   in Loop: Header=BB19_9 Depth=3
	v_cmp_lt_i32_e32 vcc_lo, v0, v21
	s_and_b32 exec_lo, exec_lo, vcc_lo
	s_cbranch_execz .LBB19_8
; %bb.37:                               ;   in Loop: Header=BB19_9 Depth=3
	s_mov_b32 s3, 0
                                        ; implicit-def: $sgpr48
                                        ; implicit-def: $sgpr50
                                        ; implicit-def: $sgpr49
	s_inst_prefetch 0x1
	s_branch .LBB19_39
	.p2align	6
.LBB19_38:                              ;   in Loop: Header=BB19_39 Depth=4
	s_or_b32 exec_lo, exec_lo, s51
	s_and_b32 s51, exec_lo, s50
	s_or_b32 s3, s51, s3
	s_andn2_b32 s48, s48, exec_lo
	s_and_b32 s51, s49, exec_lo
	s_or_b32 s48, s48, s51
	s_andn2_b32 exec_lo, exec_lo, s3
	s_cbranch_execz .LBB19_41
.LBB19_39:                              ;   Parent Loop BB19_3 Depth=1
                                        ;     Parent Loop BB19_5 Depth=2
                                        ;       Parent Loop BB19_9 Depth=3
                                        ; =>      This Inner Loop Header: Depth=4
	v_add_nc_u32_e32 v7, v5, v0
	s_or_b32 s49, s49, exec_lo
	s_or_b32 s50, s50, exec_lo
	s_mov_b32 s51, exec_lo
	v_ashrrev_i32_e32 v8, 31, v7
	v_lshlrev_b64 v[12:13], 2, v[7:8]
	v_add_co_u32 v12, vcc_lo, s20, v12
	v_add_co_ci_u32_e64 v13, null, s21, v13, vcc_lo
	global_load_dword v4, v[12:13], off
	s_waitcnt vmcnt(0)
	v_subrev_nc_u32_e32 v4, s43, v4
	v_cmpx_ne_u32_e64 v4, v6
	s_cbranch_execz .LBB19_38
; %bb.40:                               ;   in Loop: Header=BB19_39 Depth=4
	v_add_nc_u32_e32 v0, 1, v0
	s_andn2_b32 s50, s50, exec_lo
	s_andn2_b32 s49, s49, exec_lo
	v_cmp_ge_i32_e32 vcc_lo, v0, v21
	s_and_b32 s52, vcc_lo, exec_lo
	s_or_b32 s50, s50, s52
	s_branch .LBB19_38
.LBB19_41:                              ;   in Loop: Header=BB19_9 Depth=3
	s_inst_prefetch 0x2
	s_or_b32 exec_lo, exec_lo, s3
	s_and_saveexec_b32 s3, s48
	s_xor_b32 s3, exec_lo, s3
	s_cbranch_execz .LBB19_8
; %bb.42:                               ;   in Loop: Header=BB19_9 Depth=3
	v_lshlrev_b64 v[6:7], 3, v[7:8]
	v_add_co_u32 v6, vcc_lo, s40, v6
	v_add_co_ci_u32_e64 v7, null, s41, v7, vcc_lo
	global_store_dwordx2 v[6:7], v[10:11], off
	s_branch .LBB19_8
.LBB19_43:                              ;   in Loop: Header=BB19_3 Depth=1
	s_and_saveexec_b32 s3, s0
	s_cbranch_execz .LBB19_2
; %bb.44:                               ;   in Loop: Header=BB19_3 Depth=1
	v_mov_b32_e32 v2, v16
	s_mov_b32 s5, 0
	s_branch .LBB19_46
.LBB19_45:                              ;   in Loop: Header=BB19_46 Depth=2
	s_or_b32 exec_lo, exec_lo, s45
	v_add_nc_u32_e32 v2, 32, v2
	v_cmp_le_u32_e32 vcc_lo, s4, v2
	s_or_b32 s5, vcc_lo, s5
	s_andn2_b32 exec_lo, exec_lo, s5
	s_cbranch_execz .LBB19_2
.LBB19_46:                              ;   Parent Loop BB19_3 Depth=1
                                        ; =>  This Loop Header: Depth=2
                                        ;       Child Loop BB19_49 Depth 3
                                        ;       Child Loop BB19_52 Depth 3
	s_mov_b32 s45, exec_lo
	v_cmpx_gt_i32_e64 s35, v2
	s_cbranch_execz .LBB19_45
; %bb.47:                               ;   in Loop: Header=BB19_46 Depth=2
	v_ashrrev_i32_e32 v3, 31, v2
	s_mov_b32 s46, exec_lo
	v_lshlrev_b64 v[4:5], 2, v[2:3]
	v_add_co_u32 v6, vcc_lo, s16, v4
	v_add_co_ci_u32_e64 v7, null, s17, v5, vcc_lo
	v_add_co_u32 v8, vcc_lo, s18, v4
	v_add_co_ci_u32_e64 v9, null, s19, v5, vcc_lo
	global_load_dword v0, v[6:7], off
	global_load_dword v7, v[8:9], off
	s_waitcnt vmcnt(1)
	v_add_nc_u32_e32 v6, v18, v0
	s_waitcnt vmcnt(0)
	v_subrev_nc_u32_e32 v0, s43, v7
	v_cmpx_lt_i32_e64 v6, v0
	s_cbranch_execz .LBB19_50
; %bb.48:                               ;   in Loop: Header=BB19_46 Depth=2
	v_ashrrev_i32_e32 v7, 31, v6
	s_mov_b32 s47, 0
	v_lshlrev_b64 v[9:10], 3, v[6:7]
	v_add_co_u32 v7, vcc_lo, s40, v9
	v_add_co_ci_u32_e64 v8, null, s41, v10, vcc_lo
	v_add_co_u32 v9, vcc_lo, s22, v9
	v_add_co_ci_u32_e64 v10, null, s23, v10, vcc_lo
	.p2align	6
.LBB19_49:                              ;   Parent Loop BB19_3 Depth=1
                                        ;     Parent Loop BB19_46 Depth=2
                                        ; =>    This Inner Loop Header: Depth=3
	global_load_dwordx2 v[11:12], v[7:8], off
	v_add_nc_u32_e32 v6, 32, v6
	v_add_co_u32 v7, vcc_lo, 0x100, v7
	v_add_co_ci_u32_e64 v8, null, 0, v8, vcc_lo
	v_cmp_ge_i32_e32 vcc_lo, v6, v0
	s_or_b32 s47, vcc_lo, s47
	s_waitcnt vmcnt(0)
	global_store_dwordx2 v[9:10], v[11:12], off
	v_add_co_u32 v9, s2, 0x100, v9
	v_add_co_ci_u32_e64 v10, null, 0, v10, s2
	s_andn2_b32 exec_lo, exec_lo, s47
	s_cbranch_execnz .LBB19_49
.LBB19_50:                              ;   in Loop: Header=BB19_46 Depth=2
	s_or_b32 exec_lo, exec_lo, s46
	v_add_co_u32 v6, vcc_lo, s8, v4
	v_add_co_ci_u32_e64 v7, null, s9, v5, vcc_lo
	v_add_co_u32 v4, vcc_lo, s10, v4
	v_add_co_ci_u32_e64 v5, null, s11, v5, vcc_lo
	global_load_dword v0, v[6:7], off
	global_load_dword v5, v[4:5], off
	s_mov_b32 s46, exec_lo
	s_waitcnt vmcnt(1)
	v_add_nc_u32_e32 v4, v19, v0
	s_waitcnt vmcnt(0)
	v_subrev_nc_u32_e32 v0, s44, v5
	v_cmpx_lt_i32_e64 v4, v0
	s_cbranch_execz .LBB19_53
; %bb.51:                               ;   in Loop: Header=BB19_46 Depth=2
	v_ashrrev_i32_e32 v5, 31, v4
	s_mov_b32 s47, 0
	v_lshlrev_b64 v[7:8], 3, v[4:5]
	v_add_co_u32 v5, vcc_lo, s6, v7
	v_add_co_ci_u32_e64 v6, null, s7, v8, vcc_lo
	v_add_co_u32 v7, vcc_lo, s14, v7
	v_add_co_ci_u32_e64 v8, null, s15, v8, vcc_lo
	.p2align	6
.LBB19_52:                              ;   Parent Loop BB19_3 Depth=1
                                        ;     Parent Loop BB19_46 Depth=2
                                        ; =>    This Inner Loop Header: Depth=3
	global_load_dwordx2 v[9:10], v[5:6], off
	v_add_nc_u32_e32 v4, 32, v4
	v_add_co_u32 v5, vcc_lo, 0x100, v5
	v_add_co_ci_u32_e64 v6, null, 0, v6, vcc_lo
	v_cmp_ge_i32_e32 vcc_lo, v4, v0
	s_or_b32 s47, vcc_lo, s47
	s_waitcnt vmcnt(0)
	global_store_dwordx2 v[7:8], v[9:10], off
	v_add_co_u32 v7, s2, 0x100, v7
	v_add_co_ci_u32_e64 v8, null, 0, v8, s2
	s_andn2_b32 exec_lo, exec_lo, s47
	s_cbranch_execnz .LBB19_52
.LBB19_53:                              ;   in Loop: Header=BB19_46 Depth=2
	s_or_b32 exec_lo, exec_lo, s46
	s_and_b32 exec_lo, exec_lo, s1
	s_cbranch_execz .LBB19_45
; %bb.54:                               ;   in Loop: Header=BB19_46 Depth=2
	v_lshlrev_b64 v[3:4], 3, v[2:3]
	v_add_co_u32 v5, vcc_lo, s38, v3
	v_add_co_ci_u32_e64 v6, null, s39, v4, vcc_lo
	v_add_co_u32 v3, vcc_lo, s36, v3
	v_add_co_ci_u32_e64 v4, null, s37, v4, vcc_lo
	global_load_dwordx2 v[5:6], v[5:6], off
	s_waitcnt vmcnt(0)
	global_store_dwordx2 v[3:4], v[5:6], off
	s_branch .LBB19_45
.LBB19_55:
	s_endpgm
	.section	.rodata,"a",@progbits
	.p2align	6, 0x0
	.amdhsa_kernel _ZN9rocsparseL14kernel_freerunILi1024ELi32EdiiEEvT3_S1_T2_PKS2_S4_PKS1_PKT1_21rocsparse_index_base_S4_S4_S6_PS7_SB_SA_S4_S4_S6_SB_SB_SA_SB_SB_
		.amdhsa_group_segment_fixed_size 0
		.amdhsa_private_segment_fixed_size 0
		.amdhsa_kernarg_size 168
		.amdhsa_user_sgpr_count 6
		.amdhsa_user_sgpr_private_segment_buffer 1
		.amdhsa_user_sgpr_dispatch_ptr 0
		.amdhsa_user_sgpr_queue_ptr 0
		.amdhsa_user_sgpr_kernarg_segment_ptr 1
		.amdhsa_user_sgpr_dispatch_id 0
		.amdhsa_user_sgpr_flat_scratch_init 0
		.amdhsa_user_sgpr_private_segment_size 0
		.amdhsa_wavefront_size32 1
		.amdhsa_uses_dynamic_stack 0
		.amdhsa_system_sgpr_private_segment_wavefront_offset 0
		.amdhsa_system_sgpr_workgroup_id_x 1
		.amdhsa_system_sgpr_workgroup_id_y 0
		.amdhsa_system_sgpr_workgroup_id_z 0
		.amdhsa_system_sgpr_workgroup_info 0
		.amdhsa_system_vgpr_workitem_id 0
		.amdhsa_next_free_vgpr 34
		.amdhsa_next_free_sgpr 56
		.amdhsa_reserve_vcc 1
		.amdhsa_reserve_flat_scratch 0
		.amdhsa_float_round_mode_32 0
		.amdhsa_float_round_mode_16_64 0
		.amdhsa_float_denorm_mode_32 3
		.amdhsa_float_denorm_mode_16_64 3
		.amdhsa_dx10_clamp 1
		.amdhsa_ieee_mode 1
		.amdhsa_fp16_overflow 0
		.amdhsa_workgroup_processor_mode 1
		.amdhsa_memory_ordered 1
		.amdhsa_forward_progress 1
		.amdhsa_shared_vgpr_count 0
		.amdhsa_exception_fp_ieee_invalid_op 0
		.amdhsa_exception_fp_denorm_src 0
		.amdhsa_exception_fp_ieee_div_zero 0
		.amdhsa_exception_fp_ieee_overflow 0
		.amdhsa_exception_fp_ieee_underflow 0
		.amdhsa_exception_fp_ieee_inexact 0
		.amdhsa_exception_int_div_zero 0
	.end_amdhsa_kernel
	.section	.text._ZN9rocsparseL14kernel_freerunILi1024ELi32EdiiEEvT3_S1_T2_PKS2_S4_PKS1_PKT1_21rocsparse_index_base_S4_S4_S6_PS7_SB_SA_S4_S4_S6_SB_SB_SA_SB_SB_,"axG",@progbits,_ZN9rocsparseL14kernel_freerunILi1024ELi32EdiiEEvT3_S1_T2_PKS2_S4_PKS1_PKT1_21rocsparse_index_base_S4_S4_S6_PS7_SB_SA_S4_S4_S6_SB_SB_SA_SB_SB_,comdat
.Lfunc_end19:
	.size	_ZN9rocsparseL14kernel_freerunILi1024ELi32EdiiEEvT3_S1_T2_PKS2_S4_PKS1_PKT1_21rocsparse_index_base_S4_S4_S6_PS7_SB_SA_S4_S4_S6_SB_SB_SA_SB_SB_, .Lfunc_end19-_ZN9rocsparseL14kernel_freerunILi1024ELi32EdiiEEvT3_S1_T2_PKS2_S4_PKS1_PKT1_21rocsparse_index_base_S4_S4_S6_PS7_SB_SA_S4_S4_S6_SB_SB_SA_SB_SB_
                                        ; -- End function
	.set _ZN9rocsparseL14kernel_freerunILi1024ELi32EdiiEEvT3_S1_T2_PKS2_S4_PKS1_PKT1_21rocsparse_index_base_S4_S4_S6_PS7_SB_SA_S4_S4_S6_SB_SB_SA_SB_SB_.num_vgpr, 34
	.set _ZN9rocsparseL14kernel_freerunILi1024ELi32EdiiEEvT3_S1_T2_PKS2_S4_PKS1_PKT1_21rocsparse_index_base_S4_S4_S6_PS7_SB_SA_S4_S4_S6_SB_SB_SA_SB_SB_.num_agpr, 0
	.set _ZN9rocsparseL14kernel_freerunILi1024ELi32EdiiEEvT3_S1_T2_PKS2_S4_PKS1_PKT1_21rocsparse_index_base_S4_S4_S6_PS7_SB_SA_S4_S4_S6_SB_SB_SA_SB_SB_.numbered_sgpr, 56
	.set _ZN9rocsparseL14kernel_freerunILi1024ELi32EdiiEEvT3_S1_T2_PKS2_S4_PKS1_PKT1_21rocsparse_index_base_S4_S4_S6_PS7_SB_SA_S4_S4_S6_SB_SB_SA_SB_SB_.num_named_barrier, 0
	.set _ZN9rocsparseL14kernel_freerunILi1024ELi32EdiiEEvT3_S1_T2_PKS2_S4_PKS1_PKT1_21rocsparse_index_base_S4_S4_S6_PS7_SB_SA_S4_S4_S6_SB_SB_SA_SB_SB_.private_seg_size, 0
	.set _ZN9rocsparseL14kernel_freerunILi1024ELi32EdiiEEvT3_S1_T2_PKS2_S4_PKS1_PKT1_21rocsparse_index_base_S4_S4_S6_PS7_SB_SA_S4_S4_S6_SB_SB_SA_SB_SB_.uses_vcc, 1
	.set _ZN9rocsparseL14kernel_freerunILi1024ELi32EdiiEEvT3_S1_T2_PKS2_S4_PKS1_PKT1_21rocsparse_index_base_S4_S4_S6_PS7_SB_SA_S4_S4_S6_SB_SB_SA_SB_SB_.uses_flat_scratch, 0
	.set _ZN9rocsparseL14kernel_freerunILi1024ELi32EdiiEEvT3_S1_T2_PKS2_S4_PKS1_PKT1_21rocsparse_index_base_S4_S4_S6_PS7_SB_SA_S4_S4_S6_SB_SB_SA_SB_SB_.has_dyn_sized_stack, 0
	.set _ZN9rocsparseL14kernel_freerunILi1024ELi32EdiiEEvT3_S1_T2_PKS2_S4_PKS1_PKT1_21rocsparse_index_base_S4_S4_S6_PS7_SB_SA_S4_S4_S6_SB_SB_SA_SB_SB_.has_recursion, 0
	.set _ZN9rocsparseL14kernel_freerunILi1024ELi32EdiiEEvT3_S1_T2_PKS2_S4_PKS1_PKT1_21rocsparse_index_base_S4_S4_S6_PS7_SB_SA_S4_S4_S6_SB_SB_SA_SB_SB_.has_indirect_call, 0
	.section	.AMDGPU.csdata,"",@progbits
; Kernel info:
; codeLenInByte = 2464
; TotalNumSgprs: 58
; NumVgprs: 34
; ScratchSize: 0
; MemoryBound: 1
; FloatMode: 240
; IeeeMode: 1
; LDSByteSize: 0 bytes/workgroup (compile time only)
; SGPRBlocks: 0
; VGPRBlocks: 4
; NumSGPRsForWavesPerEU: 58
; NumVGPRsForWavesPerEU: 34
; Occupancy: 16
; WaveLimiterHint : 1
; COMPUTE_PGM_RSRC2:SCRATCH_EN: 0
; COMPUTE_PGM_RSRC2:USER_SGPR: 6
; COMPUTE_PGM_RSRC2:TRAP_HANDLER: 0
; COMPUTE_PGM_RSRC2:TGID_X_EN: 1
; COMPUTE_PGM_RSRC2:TGID_Y_EN: 0
; COMPUTE_PGM_RSRC2:TGID_Z_EN: 0
; COMPUTE_PGM_RSRC2:TIDIG_COMP_CNT: 0
	.section	.text._ZN9rocsparseL14kernel_freerunILi1024ELi64EdiiEEvT3_S1_T2_PKS2_S4_PKS1_PKT1_21rocsparse_index_base_S4_S4_S6_PS7_SB_SA_S4_S4_S6_SB_SB_SA_SB_SB_,"axG",@progbits,_ZN9rocsparseL14kernel_freerunILi1024ELi64EdiiEEvT3_S1_T2_PKS2_S4_PKS1_PKT1_21rocsparse_index_base_S4_S4_S6_PS7_SB_SA_S4_S4_S6_SB_SB_SA_SB_SB_,comdat
	.globl	_ZN9rocsparseL14kernel_freerunILi1024ELi64EdiiEEvT3_S1_T2_PKS2_S4_PKS1_PKT1_21rocsparse_index_base_S4_S4_S6_PS7_SB_SA_S4_S4_S6_SB_SB_SA_SB_SB_ ; -- Begin function _ZN9rocsparseL14kernel_freerunILi1024ELi64EdiiEEvT3_S1_T2_PKS2_S4_PKS1_PKT1_21rocsparse_index_base_S4_S4_S6_PS7_SB_SA_S4_S4_S6_SB_SB_SA_SB_SB_
	.p2align	8
	.type	_ZN9rocsparseL14kernel_freerunILi1024ELi64EdiiEEvT3_S1_T2_PKS2_S4_PKS1_PKT1_21rocsparse_index_base_S4_S4_S6_PS7_SB_SA_S4_S4_S6_SB_SB_SA_SB_SB_,@function
_ZN9rocsparseL14kernel_freerunILi1024ELi64EdiiEEvT3_S1_T2_PKS2_S4_PKS1_PKT1_21rocsparse_index_base_S4_S4_S6_PS7_SB_SA_S4_S4_S6_SB_SB_SA_SB_SB_: ; @_ZN9rocsparseL14kernel_freerunILi1024ELi64EdiiEEvT3_S1_T2_PKS2_S4_PKS1_PKT1_21rocsparse_index_base_S4_S4_S6_PS7_SB_SA_S4_S4_S6_SB_SB_SA_SB_SB_
; %bb.0:
	s_load_dwordx2 s[34:35], s[4:5], 0x0
	v_lshrrev_b32_e32 v1, 6, v0
	s_lshl_b32 s0, s6, 10
	s_mov_b32 s33, 0
	v_or_b32_e32 v16, s0, v1
	s_waitcnt lgkmcnt(0)
	v_cmp_gt_i32_e32 vcc_lo, s35, v16
	s_cmp_gt_i32 s34, 0
	s_cselect_b32 s1, -1, 0
	s_and_b32 s1, vcc_lo, s1
	s_and_saveexec_b32 s2, s1
	s_cbranch_execz .LBB20_55
; %bb.1:
	s_clause 0x8
	s_load_dword s42, s[4:5], 0x30
	s_load_dword s43, s[4:5], 0x60
	;; [unrolled: 1-line block ×3, first 2 shown]
	s_load_dwordx2 s[6:7], s[4:5], 0x88
	s_load_dwordx2 s[40:41], s[4:5], 0x58
	s_load_dwordx4 s[36:39], s[4:5], 0x98
	s_load_dwordx8 s[8:15], s[4:5], 0x68
	s_load_dwordx8 s[16:23], s[4:5], 0x38
	;; [unrolled: 1-line block ×3, first 2 shown]
	v_and_b32_e32 v0, 63, v0
	s_add_i32 s4, s0, 0x400
	v_mov_b32_e32 v1, 0
	v_cmp_gt_u32_e64 s0, s4, v16
	v_cmp_eq_u32_e64 s1, 0, v0
	s_waitcnt lgkmcnt(0)
	v_subrev_nc_u32_e32 v17, s42, v0
	v_subrev_nc_u32_e32 v18, s43, v0
	;; [unrolled: 1-line block ×3, first 2 shown]
	s_branch .LBB20_3
.LBB20_2:                               ;   in Loop: Header=BB20_3 Depth=1
	s_or_b32 exec_lo, exec_lo, s3
	s_add_i32 s33, s33, 1
	s_cmp_eq_u32 s33, s34
	s_cbranch_scc1 .LBB20_55
.LBB20_3:                               ; =>This Loop Header: Depth=1
                                        ;     Child Loop BB20_5 Depth 2
                                        ;       Child Loop BB20_9 Depth 3
                                        ;         Child Loop BB20_13 Depth 4
                                        ;         Child Loop BB20_29 Depth 4
	;; [unrolled: 1-line block ×3, first 2 shown]
                                        ;     Child Loop BB20_46 Depth 2
                                        ;       Child Loop BB20_49 Depth 3
                                        ;       Child Loop BB20_52 Depth 3
	s_mov_b32 s5, 0
	s_branch .LBB20_5
.LBB20_4:                               ;   in Loop: Header=BB20_5 Depth=2
	s_or_b32 exec_lo, exec_lo, s45
	s_add_i32 s5, s5, 1
	s_cmp_eq_u32 s5, 64
	s_cbranch_scc1 .LBB20_43
.LBB20_5:                               ;   Parent Loop BB20_3 Depth=1
                                        ; =>  This Loop Header: Depth=2
                                        ;       Child Loop BB20_9 Depth 3
                                        ;         Child Loop BB20_13 Depth 4
                                        ;         Child Loop BB20_29 Depth 4
	;; [unrolled: 1-line block ×3, first 2 shown]
	v_lshl_add_u32 v2, s5, 4, v16
	s_mov_b32 s45, exec_lo
	v_cmpx_gt_i32_e64 s35, v2
	s_cbranch_execz .LBB20_4
; %bb.6:                                ;   in Loop: Header=BB20_5 Depth=2
	v_ashrrev_i32_e32 v3, 31, v2
	v_lshlrev_b64 v[4:5], 2, v[2:3]
	v_add_co_u32 v6, vcc_lo, s24, v4
	v_add_co_ci_u32_e64 v7, null, s25, v5, vcc_lo
	v_add_co_u32 v8, vcc_lo, s26, v4
	v_add_co_ci_u32_e64 v9, null, s27, v5, vcc_lo
	global_load_dword v0, v[6:7], off
	global_load_dword v6, v[8:9], off
	s_waitcnt vmcnt(1)
	v_add_nc_u32_e32 v3, v17, v0
	s_waitcnt vmcnt(0)
	v_subrev_nc_u32_e32 v20, s42, v6
	v_cmp_lt_i32_e32 vcc_lo, v3, v20
	s_and_b32 exec_lo, exec_lo, vcc_lo
	s_cbranch_execz .LBB20_4
; %bb.7:                                ;   in Loop: Header=BB20_5 Depth=2
	v_add_co_u32 v6, vcc_lo, s16, v4
	v_add_co_ci_u32_e64 v7, null, s17, v5, vcc_lo
	v_add_co_u32 v4, vcc_lo, s18, v4
	v_add_co_ci_u32_e64 v5, null, s19, v5, vcc_lo
	global_load_dword v0, v[6:7], off
	s_mov_b32 s46, 0
	global_load_dword v4, v[4:5], off
	s_waitcnt vmcnt(1)
	v_subrev_nc_u32_e32 v5, s43, v0
	s_waitcnt vmcnt(0)
	v_sub_nc_u32_e32 v21, v4, v0
	v_ashrrev_i32_e32 v6, 31, v5
	v_cmp_lt_i32_e64 s2, 0, v21
	v_lshlrev_b64 v[7:8], 2, v[5:6]
	v_lshlrev_b64 v[9:10], 3, v[5:6]
	v_add_co_u32 v22, vcc_lo, s20, v7
	v_add_co_ci_u32_e64 v23, null, s21, v8, vcc_lo
	v_add_co_u32 v24, vcc_lo, s22, v9
	v_add_co_ci_u32_e64 v25, null, s23, v10, vcc_lo
	s_branch .LBB20_9
.LBB20_8:                               ;   in Loop: Header=BB20_9 Depth=3
	s_or_b32 exec_lo, exec_lo, s47
	v_add_nc_u32_e32 v3, 64, v3
	v_cmp_ge_i32_e32 vcc_lo, v3, v20
	s_or_b32 s46, vcc_lo, s46
	s_andn2_b32 exec_lo, exec_lo, s46
	s_cbranch_execz .LBB20_4
.LBB20_9:                               ;   Parent Loop BB20_3 Depth=1
                                        ;     Parent Loop BB20_5 Depth=2
                                        ; =>    This Loop Header: Depth=3
                                        ;         Child Loop BB20_13 Depth 4
                                        ;         Child Loop BB20_29 Depth 4
	;; [unrolled: 1-line block ×3, first 2 shown]
	v_ashrrev_i32_e32 v4, 31, v3
	v_lshlrev_b64 v[6:7], 2, v[3:4]
	v_add_co_u32 v6, vcc_lo, s28, v6
	v_add_co_ci_u32_e64 v7, null, s29, v7, vcc_lo
	global_load_dword v0, v[6:7], off
	s_waitcnt vmcnt(0)
	v_subrev_nc_u32_e32 v6, s42, v0
	v_ashrrev_i32_e32 v7, 31, v6
	v_lshlrev_b64 v[8:9], 2, v[6:7]
	v_add_co_u32 v10, vcc_lo, s8, v8
	v_add_co_ci_u32_e64 v11, null, s9, v9, vcc_lo
	v_add_co_u32 v8, vcc_lo, s10, v8
	v_add_co_ci_u32_e64 v9, null, s11, v9, vcc_lo
	global_load_dword v0, v[10:11], off
	global_load_dword v10, v[8:9], off
	v_mov_b32_e32 v9, 0
	v_mov_b32_e32 v11, 0
	;; [unrolled: 1-line block ×3, first 2 shown]
	s_waitcnt vmcnt(1)
	v_subrev_nc_u32_e32 v8, s44, v0
	s_waitcnt vmcnt(0)
	v_sub_nc_u32_e32 v26, v10, v0
	v_mov_b32_e32 v0, v9
	s_and_saveexec_b32 s47, s2
	s_cbranch_execz .LBB20_17
; %bb.10:                               ;   in Loop: Header=BB20_9 Depth=3
	v_ashrrev_i32_e32 v9, 31, v8
	v_mov_b32_e32 v11, 0
	v_mov_b32_e32 v12, 0
	;; [unrolled: 1-line block ×3, first 2 shown]
	s_mov_b32 s48, 0
	v_lshlrev_b64 v[13:14], 2, v[8:9]
	v_lshlrev_b64 v[9:10], 3, v[8:9]
                                        ; implicit-def: $sgpr49
	v_add_co_u32 v13, vcc_lo, s12, v13
	v_add_co_ci_u32_e64 v14, null, s13, v14, vcc_lo
	v_add_co_u32 v15, vcc_lo, s14, v9
	v_add_co_ci_u32_e64 v27, null, s15, v10, vcc_lo
	v_mov_b32_e32 v9, 0
	s_branch .LBB20_13
.LBB20_11:                              ;   in Loop: Header=BB20_13 Depth=4
	s_or_b32 exec_lo, exec_lo, s3
	v_cmp_le_i32_e32 vcc_lo, v28, v29
	v_cmp_ge_i32_e64 s3, v28, v29
	v_add_co_ci_u32_e64 v0, null, 0, v0, vcc_lo
	v_add_co_ci_u32_e64 v9, null, 0, v9, s3
	s_andn2_b32 s3, s49, exec_lo
	v_cmp_ge_i32_e32 vcc_lo, v0, v21
	s_and_b32 s49, vcc_lo, exec_lo
	s_or_b32 s49, s3, s49
.LBB20_12:                              ;   in Loop: Header=BB20_13 Depth=4
	s_or_b32 exec_lo, exec_lo, s50
	s_and_b32 s3, exec_lo, s49
	s_or_b32 s48, s3, s48
	s_andn2_b32 exec_lo, exec_lo, s48
	s_cbranch_execz .LBB20_16
.LBB20_13:                              ;   Parent Loop BB20_3 Depth=1
                                        ;     Parent Loop BB20_5 Depth=2
                                        ;       Parent Loop BB20_9 Depth=3
                                        ; =>      This Inner Loop Header: Depth=4
	s_or_b32 s49, s49, exec_lo
	s_mov_b32 s50, exec_lo
	v_cmpx_lt_i32_e64 v9, v26
	s_cbranch_execz .LBB20_12
; %bb.14:                               ;   in Loop: Header=BB20_13 Depth=4
	v_mov_b32_e32 v10, v1
	v_lshlrev_b64 v[28:29], 2, v[0:1]
	s_mov_b32 s3, exec_lo
	v_lshlrev_b64 v[30:31], 2, v[9:10]
	v_add_co_u32 v28, vcc_lo, v22, v28
	v_add_co_ci_u32_e64 v29, null, v23, v29, vcc_lo
	v_add_co_u32 v30, vcc_lo, v13, v30
	v_add_co_ci_u32_e64 v31, null, v14, v31, vcc_lo
	global_load_dword v28, v[28:29], off
	global_load_dword v29, v[30:31], off
	s_waitcnt vmcnt(1)
	v_subrev_nc_u32_e32 v28, s43, v28
	s_waitcnt vmcnt(0)
	v_subrev_nc_u32_e32 v29, s44, v29
	v_cmpx_eq_u32_e64 v28, v29
	s_cbranch_execz .LBB20_11
; %bb.15:                               ;   in Loop: Header=BB20_13 Depth=4
	v_lshlrev_b64 v[30:31], 3, v[0:1]
	v_lshlrev_b64 v[32:33], 3, v[9:10]
	v_add_co_u32 v30, vcc_lo, v24, v30
	v_add_co_ci_u32_e64 v31, null, v25, v31, vcc_lo
	v_add_co_u32 v32, vcc_lo, v15, v32
	v_add_co_ci_u32_e64 v33, null, v27, v33, vcc_lo
	global_load_dwordx2 v[30:31], v[30:31], off
	global_load_dwordx2 v[32:33], v[32:33], off
	s_waitcnt vmcnt(0)
	v_fma_f64 v[11:12], v[30:31], v[32:33], v[11:12]
	s_branch .LBB20_11
.LBB20_16:                              ;   in Loop: Header=BB20_9 Depth=3
	s_or_b32 exec_lo, exec_lo, s48
.LBB20_17:                              ;   in Loop: Header=BB20_9 Depth=3
	s_or_b32 exec_lo, exec_lo, s47
	v_lshlrev_b64 v[13:14], 3, v[3:4]
	v_cmp_le_i32_e64 s3, v2, v6
	s_mov_b32 s47, exec_lo
	v_add_co_u32 v13, vcc_lo, s30, v13
	v_add_co_ci_u32_e64 v14, null, s31, v14, vcc_lo
	global_load_dwordx2 v[13:14], v[13:14], off
	s_waitcnt vmcnt(0)
	v_add_f64 v[10:11], v[13:14], -v[11:12]
	v_cmpx_gt_i32_e64 v2, v6
	s_cbranch_execz .LBB20_21
; %bb.18:                               ;   in Loop: Header=BB20_9 Depth=3
	v_lshlrev_b64 v[12:13], 3, v[6:7]
	v_mov_b32_e32 v14, 0
	v_mov_b32_e32 v15, 0
	s_mov_b32 s48, exec_lo
	v_add_co_u32 v12, vcc_lo, s36, v12
	v_add_co_ci_u32_e64 v13, null, s37, v13, vcc_lo
	global_load_dwordx2 v[12:13], v[12:13], off
	s_waitcnt vmcnt(0)
	v_cmpx_lg_f64_e32 0, v[12:13]
	s_cbranch_execz .LBB20_20
; %bb.19:                               ;   in Loop: Header=BB20_9 Depth=3
	v_div_scale_f64 v[14:15], null, v[12:13], v[12:13], v[10:11]
	v_rcp_f64_e32 v[27:28], v[14:15]
	v_fma_f64 v[29:30], -v[14:15], v[27:28], 1.0
	v_fma_f64 v[27:28], v[27:28], v[29:30], v[27:28]
	v_fma_f64 v[29:30], -v[14:15], v[27:28], 1.0
	v_fma_f64 v[27:28], v[27:28], v[29:30], v[27:28]
	v_div_scale_f64 v[29:30], vcc_lo, v[10:11], v[12:13], v[10:11]
	v_mul_f64 v[31:32], v[29:30], v[27:28]
	v_fma_f64 v[14:15], -v[14:15], v[31:32], v[29:30]
	v_div_fmas_f64 v[14:15], v[14:15], v[27:28], v[31:32]
	v_div_fixup_f64 v[14:15], v[14:15], v[12:13], v[10:11]
.LBB20_20:                              ;   in Loop: Header=BB20_9 Depth=3
	s_or_b32 exec_lo, exec_lo, s48
	v_mov_b32_e32 v10, v14
	v_mov_b32_e32 v11, v15
.LBB20_21:                              ;   in Loop: Header=BB20_9 Depth=3
	s_or_b32 exec_lo, exec_lo, s47
	v_cmp_class_f64_e64 s48, v[10:11], 0x1f8
	s_and_saveexec_b32 s47, s48
	s_cbranch_execz .LBB20_8
; %bb.22:                               ;   in Loop: Header=BB20_9 Depth=3
	s_and_saveexec_b32 s48, s3
	s_xor_b32 s3, exec_lo, s48
	s_cbranch_execz .LBB20_35
; %bb.23:                               ;   in Loop: Header=BB20_9 Depth=3
	s_mov_b32 s48, exec_lo
	v_cmpx_ge_i32_e64 v2, v6
	s_xor_b32 s48, exec_lo, s48
	s_cbranch_execz .LBB20_25
; %bb.24:                               ;   in Loop: Header=BB20_9 Depth=3
	v_lshlrev_b64 v[6:7], 3, v[6:7]
                                        ; implicit-def: $vgpr9
                                        ; implicit-def: $vgpr26
                                        ; implicit-def: $vgpr8
	v_add_co_u32 v6, vcc_lo, s38, v6
	v_add_co_ci_u32_e64 v7, null, s39, v7, vcc_lo
	global_store_dwordx2 v[6:7], v[10:11], off
                                        ; implicit-def: $vgpr10_vgpr11
.LBB20_25:                              ;   in Loop: Header=BB20_9 Depth=3
	s_andn2_saveexec_b32 s48, s48
	s_cbranch_execz .LBB20_34
; %bb.26:                               ;   in Loop: Header=BB20_9 Depth=3
	s_mov_b32 s49, exec_lo
	v_cmpx_lt_i32_e64 v9, v26
	s_cbranch_execz .LBB20_33
; %bb.27:                               ;   in Loop: Header=BB20_9 Depth=3
	s_mov_b32 s50, 0
                                        ; implicit-def: $sgpr51
                                        ; implicit-def: $sgpr53
                                        ; implicit-def: $sgpr52
	s_inst_prefetch 0x1
	s_branch .LBB20_29
	.p2align	6
.LBB20_28:                              ;   in Loop: Header=BB20_29 Depth=4
	s_or_b32 exec_lo, exec_lo, s54
	s_and_b32 s54, exec_lo, s53
	s_or_b32 s50, s54, s50
	s_andn2_b32 s51, s51, exec_lo
	s_and_b32 s54, s52, exec_lo
	s_or_b32 s51, s51, s54
	s_andn2_b32 exec_lo, exec_lo, s50
	s_cbranch_execz .LBB20_31
.LBB20_29:                              ;   Parent Loop BB20_3 Depth=1
                                        ;     Parent Loop BB20_5 Depth=2
                                        ;       Parent Loop BB20_9 Depth=3
                                        ; =>      This Inner Loop Header: Depth=4
	v_add_nc_u32_e32 v6, v8, v9
	s_or_b32 s52, s52, exec_lo
	s_or_b32 s53, s53, exec_lo
	s_mov_b32 s54, exec_lo
	v_ashrrev_i32_e32 v7, 31, v6
	v_lshlrev_b64 v[12:13], 2, v[6:7]
	v_add_co_u32 v12, vcc_lo, s12, v12
	v_add_co_ci_u32_e64 v13, null, s13, v13, vcc_lo
	global_load_dword v0, v[12:13], off
	s_waitcnt vmcnt(0)
	v_subrev_nc_u32_e32 v0, s44, v0
	v_cmpx_ne_u32_e64 v0, v2
	s_cbranch_execz .LBB20_28
; %bb.30:                               ;   in Loop: Header=BB20_29 Depth=4
	v_add_nc_u32_e32 v9, 1, v9
	s_andn2_b32 s53, s53, exec_lo
	s_andn2_b32 s52, s52, exec_lo
	v_cmp_ge_i32_e32 vcc_lo, v9, v26
	s_and_b32 s55, vcc_lo, exec_lo
	s_or_b32 s53, s53, s55
	s_branch .LBB20_28
.LBB20_31:                              ;   in Loop: Header=BB20_9 Depth=3
	s_inst_prefetch 0x2
	s_or_b32 exec_lo, exec_lo, s50
	s_and_saveexec_b32 s50, s51
	s_xor_b32 s50, exec_lo, s50
	s_cbranch_execz .LBB20_33
; %bb.32:                               ;   in Loop: Header=BB20_9 Depth=3
	v_lshlrev_b64 v[6:7], 3, v[6:7]
	v_add_co_u32 v6, vcc_lo, s6, v6
	v_add_co_ci_u32_e64 v7, null, s7, v7, vcc_lo
	global_store_dwordx2 v[6:7], v[10:11], off
.LBB20_33:                              ;   in Loop: Header=BB20_9 Depth=3
	s_or_b32 exec_lo, exec_lo, s49
.LBB20_34:                              ;   in Loop: Header=BB20_9 Depth=3
	s_or_b32 exec_lo, exec_lo, s48
                                        ; implicit-def: $vgpr10_vgpr11
                                        ; implicit-def: $vgpr6_vgpr7
.LBB20_35:                              ;   in Loop: Header=BB20_9 Depth=3
	s_andn2_saveexec_b32 s3, s3
	s_cbranch_execz .LBB20_8
; %bb.36:                               ;   in Loop: Header=BB20_9 Depth=3
	v_cmp_lt_i32_e32 vcc_lo, v0, v21
	s_and_b32 exec_lo, exec_lo, vcc_lo
	s_cbranch_execz .LBB20_8
; %bb.37:                               ;   in Loop: Header=BB20_9 Depth=3
	s_mov_b32 s3, 0
                                        ; implicit-def: $sgpr48
                                        ; implicit-def: $sgpr50
                                        ; implicit-def: $sgpr49
	s_inst_prefetch 0x1
	s_branch .LBB20_39
	.p2align	6
.LBB20_38:                              ;   in Loop: Header=BB20_39 Depth=4
	s_or_b32 exec_lo, exec_lo, s51
	s_and_b32 s51, exec_lo, s50
	s_or_b32 s3, s51, s3
	s_andn2_b32 s48, s48, exec_lo
	s_and_b32 s51, s49, exec_lo
	s_or_b32 s48, s48, s51
	s_andn2_b32 exec_lo, exec_lo, s3
	s_cbranch_execz .LBB20_41
.LBB20_39:                              ;   Parent Loop BB20_3 Depth=1
                                        ;     Parent Loop BB20_5 Depth=2
                                        ;       Parent Loop BB20_9 Depth=3
                                        ; =>      This Inner Loop Header: Depth=4
	v_add_nc_u32_e32 v7, v5, v0
	s_or_b32 s49, s49, exec_lo
	s_or_b32 s50, s50, exec_lo
	s_mov_b32 s51, exec_lo
	v_ashrrev_i32_e32 v8, 31, v7
	v_lshlrev_b64 v[12:13], 2, v[7:8]
	v_add_co_u32 v12, vcc_lo, s20, v12
	v_add_co_ci_u32_e64 v13, null, s21, v13, vcc_lo
	global_load_dword v4, v[12:13], off
	s_waitcnt vmcnt(0)
	v_subrev_nc_u32_e32 v4, s43, v4
	v_cmpx_ne_u32_e64 v4, v6
	s_cbranch_execz .LBB20_38
; %bb.40:                               ;   in Loop: Header=BB20_39 Depth=4
	v_add_nc_u32_e32 v0, 1, v0
	s_andn2_b32 s50, s50, exec_lo
	s_andn2_b32 s49, s49, exec_lo
	v_cmp_ge_i32_e32 vcc_lo, v0, v21
	s_and_b32 s52, vcc_lo, exec_lo
	s_or_b32 s50, s50, s52
	s_branch .LBB20_38
.LBB20_41:                              ;   in Loop: Header=BB20_9 Depth=3
	s_inst_prefetch 0x2
	s_or_b32 exec_lo, exec_lo, s3
	s_and_saveexec_b32 s3, s48
	s_xor_b32 s3, exec_lo, s3
	s_cbranch_execz .LBB20_8
; %bb.42:                               ;   in Loop: Header=BB20_9 Depth=3
	v_lshlrev_b64 v[6:7], 3, v[7:8]
	v_add_co_u32 v6, vcc_lo, s40, v6
	v_add_co_ci_u32_e64 v7, null, s41, v7, vcc_lo
	global_store_dwordx2 v[6:7], v[10:11], off
	s_branch .LBB20_8
.LBB20_43:                              ;   in Loop: Header=BB20_3 Depth=1
	s_and_saveexec_b32 s3, s0
	s_cbranch_execz .LBB20_2
; %bb.44:                               ;   in Loop: Header=BB20_3 Depth=1
	v_mov_b32_e32 v2, v16
	s_mov_b32 s5, 0
	s_branch .LBB20_46
.LBB20_45:                              ;   in Loop: Header=BB20_46 Depth=2
	s_or_b32 exec_lo, exec_lo, s45
	v_add_nc_u32_e32 v2, 16, v2
	v_cmp_le_u32_e32 vcc_lo, s4, v2
	s_or_b32 s5, vcc_lo, s5
	s_andn2_b32 exec_lo, exec_lo, s5
	s_cbranch_execz .LBB20_2
.LBB20_46:                              ;   Parent Loop BB20_3 Depth=1
                                        ; =>  This Loop Header: Depth=2
                                        ;       Child Loop BB20_49 Depth 3
                                        ;       Child Loop BB20_52 Depth 3
	s_mov_b32 s45, exec_lo
	v_cmpx_gt_i32_e64 s35, v2
	s_cbranch_execz .LBB20_45
; %bb.47:                               ;   in Loop: Header=BB20_46 Depth=2
	v_ashrrev_i32_e32 v3, 31, v2
	s_mov_b32 s46, exec_lo
	v_lshlrev_b64 v[4:5], 2, v[2:3]
	v_add_co_u32 v6, vcc_lo, s16, v4
	v_add_co_ci_u32_e64 v7, null, s17, v5, vcc_lo
	v_add_co_u32 v8, vcc_lo, s18, v4
	v_add_co_ci_u32_e64 v9, null, s19, v5, vcc_lo
	global_load_dword v0, v[6:7], off
	global_load_dword v7, v[8:9], off
	s_waitcnt vmcnt(1)
	v_add_nc_u32_e32 v6, v18, v0
	s_waitcnt vmcnt(0)
	v_subrev_nc_u32_e32 v0, s43, v7
	v_cmpx_lt_i32_e64 v6, v0
	s_cbranch_execz .LBB20_50
; %bb.48:                               ;   in Loop: Header=BB20_46 Depth=2
	v_ashrrev_i32_e32 v7, 31, v6
	s_mov_b32 s47, 0
	v_lshlrev_b64 v[9:10], 3, v[6:7]
	v_add_co_u32 v7, vcc_lo, s40, v9
	v_add_co_ci_u32_e64 v8, null, s41, v10, vcc_lo
	v_add_co_u32 v9, vcc_lo, s22, v9
	v_add_co_ci_u32_e64 v10, null, s23, v10, vcc_lo
	.p2align	6
.LBB20_49:                              ;   Parent Loop BB20_3 Depth=1
                                        ;     Parent Loop BB20_46 Depth=2
                                        ; =>    This Inner Loop Header: Depth=3
	global_load_dwordx2 v[11:12], v[7:8], off
	v_add_nc_u32_e32 v6, 64, v6
	v_add_co_u32 v7, vcc_lo, 0x200, v7
	v_add_co_ci_u32_e64 v8, null, 0, v8, vcc_lo
	v_cmp_ge_i32_e32 vcc_lo, v6, v0
	s_or_b32 s47, vcc_lo, s47
	s_waitcnt vmcnt(0)
	global_store_dwordx2 v[9:10], v[11:12], off
	v_add_co_u32 v9, s2, 0x200, v9
	v_add_co_ci_u32_e64 v10, null, 0, v10, s2
	s_andn2_b32 exec_lo, exec_lo, s47
	s_cbranch_execnz .LBB20_49
.LBB20_50:                              ;   in Loop: Header=BB20_46 Depth=2
	s_or_b32 exec_lo, exec_lo, s46
	v_add_co_u32 v6, vcc_lo, s8, v4
	v_add_co_ci_u32_e64 v7, null, s9, v5, vcc_lo
	v_add_co_u32 v4, vcc_lo, s10, v4
	v_add_co_ci_u32_e64 v5, null, s11, v5, vcc_lo
	global_load_dword v0, v[6:7], off
	global_load_dword v5, v[4:5], off
	s_mov_b32 s46, exec_lo
	s_waitcnt vmcnt(1)
	v_add_nc_u32_e32 v4, v19, v0
	s_waitcnt vmcnt(0)
	v_subrev_nc_u32_e32 v0, s44, v5
	v_cmpx_lt_i32_e64 v4, v0
	s_cbranch_execz .LBB20_53
; %bb.51:                               ;   in Loop: Header=BB20_46 Depth=2
	v_ashrrev_i32_e32 v5, 31, v4
	s_mov_b32 s47, 0
	v_lshlrev_b64 v[7:8], 3, v[4:5]
	v_add_co_u32 v5, vcc_lo, s6, v7
	v_add_co_ci_u32_e64 v6, null, s7, v8, vcc_lo
	v_add_co_u32 v7, vcc_lo, s14, v7
	v_add_co_ci_u32_e64 v8, null, s15, v8, vcc_lo
	.p2align	6
.LBB20_52:                              ;   Parent Loop BB20_3 Depth=1
                                        ;     Parent Loop BB20_46 Depth=2
                                        ; =>    This Inner Loop Header: Depth=3
	global_load_dwordx2 v[9:10], v[5:6], off
	v_add_nc_u32_e32 v4, 64, v4
	v_add_co_u32 v5, vcc_lo, 0x200, v5
	v_add_co_ci_u32_e64 v6, null, 0, v6, vcc_lo
	v_cmp_ge_i32_e32 vcc_lo, v4, v0
	s_or_b32 s47, vcc_lo, s47
	s_waitcnt vmcnt(0)
	global_store_dwordx2 v[7:8], v[9:10], off
	v_add_co_u32 v7, s2, 0x200, v7
	v_add_co_ci_u32_e64 v8, null, 0, v8, s2
	s_andn2_b32 exec_lo, exec_lo, s47
	s_cbranch_execnz .LBB20_52
.LBB20_53:                              ;   in Loop: Header=BB20_46 Depth=2
	s_or_b32 exec_lo, exec_lo, s46
	s_and_b32 exec_lo, exec_lo, s1
	s_cbranch_execz .LBB20_45
; %bb.54:                               ;   in Loop: Header=BB20_46 Depth=2
	v_lshlrev_b64 v[3:4], 3, v[2:3]
	v_add_co_u32 v5, vcc_lo, s38, v3
	v_add_co_ci_u32_e64 v6, null, s39, v4, vcc_lo
	v_add_co_u32 v3, vcc_lo, s36, v3
	v_add_co_ci_u32_e64 v4, null, s37, v4, vcc_lo
	global_load_dwordx2 v[5:6], v[5:6], off
	s_waitcnt vmcnt(0)
	global_store_dwordx2 v[3:4], v[5:6], off
	s_branch .LBB20_45
.LBB20_55:
	s_endpgm
	.section	.rodata,"a",@progbits
	.p2align	6, 0x0
	.amdhsa_kernel _ZN9rocsparseL14kernel_freerunILi1024ELi64EdiiEEvT3_S1_T2_PKS2_S4_PKS1_PKT1_21rocsparse_index_base_S4_S4_S6_PS7_SB_SA_S4_S4_S6_SB_SB_SA_SB_SB_
		.amdhsa_group_segment_fixed_size 0
		.amdhsa_private_segment_fixed_size 0
		.amdhsa_kernarg_size 168
		.amdhsa_user_sgpr_count 6
		.amdhsa_user_sgpr_private_segment_buffer 1
		.amdhsa_user_sgpr_dispatch_ptr 0
		.amdhsa_user_sgpr_queue_ptr 0
		.amdhsa_user_sgpr_kernarg_segment_ptr 1
		.amdhsa_user_sgpr_dispatch_id 0
		.amdhsa_user_sgpr_flat_scratch_init 0
		.amdhsa_user_sgpr_private_segment_size 0
		.amdhsa_wavefront_size32 1
		.amdhsa_uses_dynamic_stack 0
		.amdhsa_system_sgpr_private_segment_wavefront_offset 0
		.amdhsa_system_sgpr_workgroup_id_x 1
		.amdhsa_system_sgpr_workgroup_id_y 0
		.amdhsa_system_sgpr_workgroup_id_z 0
		.amdhsa_system_sgpr_workgroup_info 0
		.amdhsa_system_vgpr_workitem_id 0
		.amdhsa_next_free_vgpr 34
		.amdhsa_next_free_sgpr 56
		.amdhsa_reserve_vcc 1
		.amdhsa_reserve_flat_scratch 0
		.amdhsa_float_round_mode_32 0
		.amdhsa_float_round_mode_16_64 0
		.amdhsa_float_denorm_mode_32 3
		.amdhsa_float_denorm_mode_16_64 3
		.amdhsa_dx10_clamp 1
		.amdhsa_ieee_mode 1
		.amdhsa_fp16_overflow 0
		.amdhsa_workgroup_processor_mode 1
		.amdhsa_memory_ordered 1
		.amdhsa_forward_progress 1
		.amdhsa_shared_vgpr_count 0
		.amdhsa_exception_fp_ieee_invalid_op 0
		.amdhsa_exception_fp_denorm_src 0
		.amdhsa_exception_fp_ieee_div_zero 0
		.amdhsa_exception_fp_ieee_overflow 0
		.amdhsa_exception_fp_ieee_underflow 0
		.amdhsa_exception_fp_ieee_inexact 0
		.amdhsa_exception_int_div_zero 0
	.end_amdhsa_kernel
	.section	.text._ZN9rocsparseL14kernel_freerunILi1024ELi64EdiiEEvT3_S1_T2_PKS2_S4_PKS1_PKT1_21rocsparse_index_base_S4_S4_S6_PS7_SB_SA_S4_S4_S6_SB_SB_SA_SB_SB_,"axG",@progbits,_ZN9rocsparseL14kernel_freerunILi1024ELi64EdiiEEvT3_S1_T2_PKS2_S4_PKS1_PKT1_21rocsparse_index_base_S4_S4_S6_PS7_SB_SA_S4_S4_S6_SB_SB_SA_SB_SB_,comdat
.Lfunc_end20:
	.size	_ZN9rocsparseL14kernel_freerunILi1024ELi64EdiiEEvT3_S1_T2_PKS2_S4_PKS1_PKT1_21rocsparse_index_base_S4_S4_S6_PS7_SB_SA_S4_S4_S6_SB_SB_SA_SB_SB_, .Lfunc_end20-_ZN9rocsparseL14kernel_freerunILi1024ELi64EdiiEEvT3_S1_T2_PKS2_S4_PKS1_PKT1_21rocsparse_index_base_S4_S4_S6_PS7_SB_SA_S4_S4_S6_SB_SB_SA_SB_SB_
                                        ; -- End function
	.set _ZN9rocsparseL14kernel_freerunILi1024ELi64EdiiEEvT3_S1_T2_PKS2_S4_PKS1_PKT1_21rocsparse_index_base_S4_S4_S6_PS7_SB_SA_S4_S4_S6_SB_SB_SA_SB_SB_.num_vgpr, 34
	.set _ZN9rocsparseL14kernel_freerunILi1024ELi64EdiiEEvT3_S1_T2_PKS2_S4_PKS1_PKT1_21rocsparse_index_base_S4_S4_S6_PS7_SB_SA_S4_S4_S6_SB_SB_SA_SB_SB_.num_agpr, 0
	.set _ZN9rocsparseL14kernel_freerunILi1024ELi64EdiiEEvT3_S1_T2_PKS2_S4_PKS1_PKT1_21rocsparse_index_base_S4_S4_S6_PS7_SB_SA_S4_S4_S6_SB_SB_SA_SB_SB_.numbered_sgpr, 56
	.set _ZN9rocsparseL14kernel_freerunILi1024ELi64EdiiEEvT3_S1_T2_PKS2_S4_PKS1_PKT1_21rocsparse_index_base_S4_S4_S6_PS7_SB_SA_S4_S4_S6_SB_SB_SA_SB_SB_.num_named_barrier, 0
	.set _ZN9rocsparseL14kernel_freerunILi1024ELi64EdiiEEvT3_S1_T2_PKS2_S4_PKS1_PKT1_21rocsparse_index_base_S4_S4_S6_PS7_SB_SA_S4_S4_S6_SB_SB_SA_SB_SB_.private_seg_size, 0
	.set _ZN9rocsparseL14kernel_freerunILi1024ELi64EdiiEEvT3_S1_T2_PKS2_S4_PKS1_PKT1_21rocsparse_index_base_S4_S4_S6_PS7_SB_SA_S4_S4_S6_SB_SB_SA_SB_SB_.uses_vcc, 1
	.set _ZN9rocsparseL14kernel_freerunILi1024ELi64EdiiEEvT3_S1_T2_PKS2_S4_PKS1_PKT1_21rocsparse_index_base_S4_S4_S6_PS7_SB_SA_S4_S4_S6_SB_SB_SA_SB_SB_.uses_flat_scratch, 0
	.set _ZN9rocsparseL14kernel_freerunILi1024ELi64EdiiEEvT3_S1_T2_PKS2_S4_PKS1_PKT1_21rocsparse_index_base_S4_S4_S6_PS7_SB_SA_S4_S4_S6_SB_SB_SA_SB_SB_.has_dyn_sized_stack, 0
	.set _ZN9rocsparseL14kernel_freerunILi1024ELi64EdiiEEvT3_S1_T2_PKS2_S4_PKS1_PKT1_21rocsparse_index_base_S4_S4_S6_PS7_SB_SA_S4_S4_S6_SB_SB_SA_SB_SB_.has_recursion, 0
	.set _ZN9rocsparseL14kernel_freerunILi1024ELi64EdiiEEvT3_S1_T2_PKS2_S4_PKS1_PKT1_21rocsparse_index_base_S4_S4_S6_PS7_SB_SA_S4_S4_S6_SB_SB_SA_SB_SB_.has_indirect_call, 0
	.section	.AMDGPU.csdata,"",@progbits
; Kernel info:
; codeLenInByte = 2464
; TotalNumSgprs: 58
; NumVgprs: 34
; ScratchSize: 0
; MemoryBound: 1
; FloatMode: 240
; IeeeMode: 1
; LDSByteSize: 0 bytes/workgroup (compile time only)
; SGPRBlocks: 0
; VGPRBlocks: 4
; NumSGPRsForWavesPerEU: 58
; NumVGPRsForWavesPerEU: 34
; Occupancy: 16
; WaveLimiterHint : 1
; COMPUTE_PGM_RSRC2:SCRATCH_EN: 0
; COMPUTE_PGM_RSRC2:USER_SGPR: 6
; COMPUTE_PGM_RSRC2:TRAP_HANDLER: 0
; COMPUTE_PGM_RSRC2:TGID_X_EN: 1
; COMPUTE_PGM_RSRC2:TGID_Y_EN: 0
; COMPUTE_PGM_RSRC2:TGID_Z_EN: 0
; COMPUTE_PGM_RSRC2:TIDIG_COMP_CNT: 0
	.section	.text._ZN9rocsparseL6kernelILi1024ELi1EdiiEEvbbbT3_PS1_NS_15floating_traitsIT1_E6data_tES1_T2_PKS7_S9_PKS1_PKS4_21rocsparse_index_base_S9_S9_SB_PS4_SF_SE_S9_S9_SB_SF_SF_SE_SF_SF_PS6_SG_PKS6_,"axG",@progbits,_ZN9rocsparseL6kernelILi1024ELi1EdiiEEvbbbT3_PS1_NS_15floating_traitsIT1_E6data_tES1_T2_PKS7_S9_PKS1_PKS4_21rocsparse_index_base_S9_S9_SB_PS4_SF_SE_S9_S9_SB_SF_SF_SE_SF_SF_PS6_SG_PKS6_,comdat
	.globl	_ZN9rocsparseL6kernelILi1024ELi1EdiiEEvbbbT3_PS1_NS_15floating_traitsIT1_E6data_tES1_T2_PKS7_S9_PKS1_PKS4_21rocsparse_index_base_S9_S9_SB_PS4_SF_SE_S9_S9_SB_SF_SF_SE_SF_SF_PS6_SG_PKS6_ ; -- Begin function _ZN9rocsparseL6kernelILi1024ELi1EdiiEEvbbbT3_PS1_NS_15floating_traitsIT1_E6data_tES1_T2_PKS7_S9_PKS1_PKS4_21rocsparse_index_base_S9_S9_SB_PS4_SF_SE_S9_S9_SB_SF_SF_SE_SF_SF_PS6_SG_PKS6_
	.p2align	8
	.type	_ZN9rocsparseL6kernelILi1024ELi1EdiiEEvbbbT3_PS1_NS_15floating_traitsIT1_E6data_tES1_T2_PKS7_S9_PKS1_PKS4_21rocsparse_index_base_S9_S9_SB_PS4_SF_SE_S9_S9_SB_SF_SF_SE_SF_SF_PS6_SG_PKS6_,@function
_ZN9rocsparseL6kernelILi1024ELi1EdiiEEvbbbT3_PS1_NS_15floating_traitsIT1_E6data_tES1_T2_PKS7_S9_PKS1_PKS4_21rocsparse_index_base_S9_S9_SB_PS4_SF_SE_S9_S9_SB_SF_SF_SE_SF_SF_PS6_SG_PKS6_: ; @_ZN9rocsparseL6kernelILi1024ELi1EdiiEEvbbbT3_PS1_NS_15floating_traitsIT1_E6data_tES1_T2_PKS7_S9_PKS1_PKS4_21rocsparse_index_base_S9_S9_SB_PS4_SF_SE_S9_S9_SB_SF_SF_SE_SF_SF_PS6_SG_PKS6_
; %bb.0:
	s_clause 0x4
	s_load_dword s0, s[4:5], 0x0
	s_load_dwordx2 s[14:15], s[4:5], 0x0
	s_load_dword s57, s[4:5], 0x18
	s_load_dwordx4 s[48:51], s[4:5], 0x8
	s_load_dwordx4 s[44:47], s[4:5], 0xb8
	v_mov_b32_e32 v7, 0
	v_mov_b32_e32 v4, 0
	;; [unrolled: 1-line block ×3, first 2 shown]
	v_lshlrev_b32_e32 v25, 3, v0
	v_mov_b32_e32 v5, 0
	v_mov_b32_e32 v8, v7
	;; [unrolled: 1-line block ×3, first 2 shown]
	s_mov_b32 s58, 0
	ds_write_b64 v25, v[7:8]
	s_waitcnt lgkmcnt(0)
	s_barrier
	buffer_gl0_inv
	s_bitcmp1_b32 s0, 0
	s_cselect_b32 s56, -1, 0
	s_bitcmp1_b32 s0, 8
	s_cselect_b32 s33, -1, 0
	;; [unrolled: 2-line block ×3, first 2 shown]
	s_lshl_b32 s63, s6, 10
	s_cmp_gt_i32 s15, 0
	v_or_b32_e32 v1, s63, v0
	s_cselect_b32 s0, -1, 0
	v_cmp_gt_i32_e32 vcc_lo, s57, v1
	s_and_b32 s0, s0, vcc_lo
	s_and_saveexec_b32 s59, s0
	s_cbranch_execnz .LBB21_3
; %bb.1:
	s_or_b32 exec_lo, exec_lo, s59
	s_andn2_b32 vcc_lo, exec_lo, s56
	s_cbranch_vccz .LBB21_149
.LBB21_2:
	v_cmp_eq_u32_e32 vcc_lo, 0, v0
	s_and_b32 s0, vcc_lo, s33
	s_and_saveexec_b32 s1, s0
	s_cbranch_execnz .LBB21_173
	s_branch .LBB21_179
.LBB21_3:
	s_clause 0x1
	s_load_dwordx8 s[16:23], s[4:5], 0x48
	s_load_dwordx8 s[24:31], s[4:5], 0x20
	v_ashrrev_i32_e32 v2, 31, v1
	s_addk_i32 s63, 0x400
	v_cmp_gt_u32_e64 s0, 0x200, v0
	v_cmp_gt_u32_e64 s1, 0x100, v0
	;; [unrolled: 1-line block ×3, first 2 shown]
	v_lshlrev_b64 v[2:3], 2, v[1:2]
	v_cmp_gt_u32_e64 s3, 64, v0
	v_cmp_gt_u32_e64 s6, 8, v0
	;; [unrolled: 1-line block ×4, first 2 shown]
	v_cmp_eq_u32_e64 s9, 0, v0
	v_cmp_gt_u32_e64 s10, s63, v1
	s_and_b32 s13, s33, s14
	s_xor_b32 s64, s33, -1
	s_xor_b32 s65, s13, -1
	s_mov_b32 s66, 0
	s_waitcnt lgkmcnt(0)
	v_add_co_u32 v4, vcc_lo, s16, v2
	v_add_co_ci_u32_e64 v5, null, s17, v3, vcc_lo
	v_add_co_u32 v6, vcc_lo, s18, v2
	v_add_co_ci_u32_e64 v7, null, s19, v3, vcc_lo
	global_load_dword v8, v[4:5], off
	v_add_co_u32 v4, vcc_lo, s26, v2
	v_add_co_ci_u32_e64 v5, null, s27, v3, vcc_lo
	v_add_co_u32 v2, vcc_lo, s24, v2
	v_add_co_ci_u32_e64 v3, null, s25, v3, vcc_lo
	global_load_dword v9, v[6:7], off
	global_load_dword v10, v[4:5], off
	;; [unrolled: 1-line block ×3, first 2 shown]
	s_clause 0x7
	s_load_dword s60, s[4:5], 0x70
	s_load_dwordx2 s[34:35], s[4:5], 0x68
	s_load_dwordx2 s[52:53], s[4:5], 0xc8
	s_load_dwordx4 s[24:27], s[4:5], 0xa8
	s_load_dwordx8 s[36:43], s[4:5], 0x78
	s_load_dword s61, s[4:5], 0x40
	s_load_dwordx2 s[54:55], s[4:5], 0x98
	s_load_dword s62, s[4:5], 0xa0
	v_mov_b32_e32 v2, 0
	v_mov_b32_e32 v4, 0
	v_cmp_gt_u32_e64 s4, 32, v0
	v_cmp_gt_u32_e64 s5, 16, v0
	v_mov_b32_e32 v3, 0
	v_mov_b32_e32 v5, 0
	s_waitcnt vmcnt(3) lgkmcnt(0)
	v_subrev_nc_u32_e32 v6, s60, v8
	v_ashrrev_i32_e32 v7, 31, v6
	s_waitcnt vmcnt(2)
	v_sub_nc_u32_e32 v26, v9, v8
	s_waitcnt vmcnt(1)
	v_subrev_nc_u32_e32 v27, s61, v10
	v_lshlrev_b64 v[8:9], 2, v[6:7]
	s_waitcnt vmcnt(0)
	v_cmp_lt_i32_e64 s11, v11, v10
	v_subrev_nc_u32_e32 v28, s61, v11
	v_lshlrev_b64 v[10:11], 3, v[6:7]
	v_cmp_lt_i32_e64 s12, 0, v26
	v_add_co_u32 v29, vcc_lo, s20, v8
	v_add_co_ci_u32_e64 v30, null, s21, v9, vcc_lo
	v_add_co_u32 v31, vcc_lo, s22, v10
	v_add_co_ci_u32_e64 v32, null, s23, v11, vcc_lo
	v_mov_b32_e32 v8, 0
	s_branch .LBB21_5
.LBB21_4:                               ;   in Loop: Header=BB21_5 Depth=1
	s_or_b32 exec_lo, exec_lo, s13
	s_and_b32 s13, exec_lo, s67
	s_or_b32 s58, s13, s58
	s_andn2_b32 exec_lo, exec_lo, s58
	s_cbranch_execz .LBB21_148
.LBB21_5:                               ; =>This Loop Header: Depth=1
                                        ;     Child Loop BB21_12 Depth 2
                                        ;       Child Loop BB21_16 Depth 3
                                        ;       Child Loop BB21_37 Depth 3
	;; [unrolled: 1-line block ×5, first 2 shown]
                                        ;     Child Loop BB21_129 Depth 2
                                        ;       Child Loop BB21_132 Depth 3
                                        ;       Child Loop BB21_135 Depth 3
	v_cndmask_b32_e64 v3, v3, 0, s33
	v_cndmask_b32_e64 v2, v2, 0, s33
	;; [unrolled: 1-line block ×4, first 2 shown]
	s_and_saveexec_b32 s67, s11
	s_cbranch_execnz .LBB21_9
; %bb.6:                                ;   in Loop: Header=BB21_5 Depth=1
	s_or_b32 exec_lo, exec_lo, s67
	s_andn2_b32 vcc_lo, exec_lo, s33
	s_cbranch_vccz .LBB21_84
.LBB21_7:                               ;   in Loop: Header=BB21_5 Depth=1
	s_andn2_b32 vcc_lo, exec_lo, s14
	s_cbranch_vccz .LBB21_105
.LBB21_8:                               ;   in Loop: Header=BB21_5 Depth=1
	s_and_saveexec_b32 s67, s10
	s_cbranch_execnz .LBB21_126
	s_branch .LBB21_136
.LBB21_9:                               ;   in Loop: Header=BB21_5 Depth=1
	v_mov_b32_e32 v9, v28
	s_mov_b32 s68, 0
	s_branch .LBB21_12
.LBB21_10:                              ;   in Loop: Header=BB21_12 Depth=2
	s_or_b32 exec_lo, exec_lo, s69
.LBB21_11:                              ;   in Loop: Header=BB21_12 Depth=2
	s_or_b32 exec_lo, exec_lo, s13
	v_add_nc_u32_e32 v9, 1, v9
	v_cmp_ge_i32_e32 vcc_lo, v9, v27
	s_or_b32 s68, vcc_lo, s68
	s_andn2_b32 exec_lo, exec_lo, s68
	s_cbranch_execz .LBB21_83
.LBB21_12:                              ;   Parent Loop BB21_5 Depth=1
                                        ; =>  This Loop Header: Depth=2
                                        ;       Child Loop BB21_16 Depth 3
                                        ;       Child Loop BB21_37 Depth 3
                                        ;       Child Loop BB21_51 Depth 3
                                        ;       Child Loop BB21_70 Depth 3
                                        ;       Child Loop BB21_78 Depth 3
	v_ashrrev_i32_e32 v10, 31, v9
	v_mov_b32_e32 v18, 0
	v_lshlrev_b64 v[11:12], 2, v[9:10]
	v_add_co_u32 v11, vcc_lo, s28, v11
	v_add_co_ci_u32_e64 v12, null, s29, v12, vcc_lo
	global_load_dword v7, v[11:12], off
	s_waitcnt vmcnt(0)
	v_subrev_nc_u32_e32 v11, s61, v7
	v_ashrrev_i32_e32 v12, 31, v11
	v_lshlrev_b64 v[13:14], 2, v[11:12]
	v_add_co_u32 v15, vcc_lo, s36, v13
	v_add_co_ci_u32_e64 v16, null, s37, v14, vcc_lo
	v_add_co_u32 v13, vcc_lo, s38, v13
	v_add_co_ci_u32_e64 v14, null, s39, v14, vcc_lo
	global_load_dword v7, v[15:16], off
	global_load_dword v15, v[13:14], off
	v_mov_b32_e32 v13, 0
	v_mov_b32_e32 v14, 0
	s_waitcnt vmcnt(1)
	v_subrev_nc_u32_e32 v17, s62, v7
	s_waitcnt vmcnt(0)
	v_sub_nc_u32_e32 v33, v15, v7
	v_mov_b32_e32 v7, v18
	s_and_saveexec_b32 s69, s12
	s_cbranch_execz .LBB21_20
; %bb.13:                               ;   in Loop: Header=BB21_12 Depth=2
	v_ashrrev_i32_e32 v18, 31, v17
	v_mov_b32_e32 v13, 0
	v_mov_b32_e32 v14, 0
	v_mov_b32_e32 v7, 0
	s_mov_b32 s70, 0
	v_lshlrev_b64 v[15:16], 2, v[17:18]
	v_lshlrev_b64 v[18:19], 3, v[17:18]
                                        ; implicit-def: $sgpr71
	v_add_co_u32 v15, vcc_lo, s40, v15
	v_add_co_ci_u32_e64 v16, null, s41, v16, vcc_lo
	v_add_co_u32 v20, vcc_lo, s42, v18
	v_add_co_ci_u32_e64 v21, null, s43, v19, vcc_lo
	v_mov_b32_e32 v18, 0
	s_branch .LBB21_16
.LBB21_14:                              ;   in Loop: Header=BB21_16 Depth=3
	s_or_b32 exec_lo, exec_lo, s13
	v_cmp_le_i32_e32 vcc_lo, v22, v23
	v_cmp_ge_i32_e64 s13, v22, v23
	v_add_co_ci_u32_e64 v7, null, 0, v7, vcc_lo
	v_add_co_ci_u32_e64 v18, null, 0, v18, s13
	s_andn2_b32 s13, s71, exec_lo
	v_cmp_ge_i32_e32 vcc_lo, v7, v26
	s_and_b32 s71, vcc_lo, exec_lo
	s_or_b32 s71, s13, s71
.LBB21_15:                              ;   in Loop: Header=BB21_16 Depth=3
	s_or_b32 exec_lo, exec_lo, s72
	s_and_b32 s13, exec_lo, s71
	s_or_b32 s70, s13, s70
	s_andn2_b32 exec_lo, exec_lo, s70
	s_cbranch_execz .LBB21_19
.LBB21_16:                              ;   Parent Loop BB21_5 Depth=1
                                        ;     Parent Loop BB21_12 Depth=2
                                        ; =>    This Inner Loop Header: Depth=3
	s_or_b32 s71, s71, exec_lo
	s_mov_b32 s72, exec_lo
	v_cmpx_lt_i32_e64 v18, v33
	s_cbranch_execz .LBB21_15
; %bb.17:                               ;   in Loop: Header=BB21_16 Depth=3
	v_mov_b32_e32 v19, v8
	v_lshlrev_b64 v[22:23], 2, v[7:8]
	s_mov_b32 s13, exec_lo
	v_lshlrev_b64 v[34:35], 2, v[18:19]
	v_add_co_u32 v22, vcc_lo, v29, v22
	v_add_co_ci_u32_e64 v23, null, v30, v23, vcc_lo
	v_add_co_u32 v34, vcc_lo, v15, v34
	v_add_co_ci_u32_e64 v35, null, v16, v35, vcc_lo
	global_load_dword v22, v[22:23], off
	global_load_dword v23, v[34:35], off
	s_waitcnt vmcnt(1)
	v_subrev_nc_u32_e32 v22, s60, v22
	s_waitcnt vmcnt(0)
	v_subrev_nc_u32_e32 v23, s62, v23
	v_cmpx_eq_u32_e64 v22, v23
	s_cbranch_execz .LBB21_14
; %bb.18:                               ;   in Loop: Header=BB21_16 Depth=3
	v_lshlrev_b64 v[34:35], 3, v[7:8]
	v_lshlrev_b64 v[36:37], 3, v[18:19]
	v_add_co_u32 v34, vcc_lo, v31, v34
	v_add_co_ci_u32_e64 v35, null, v32, v35, vcc_lo
	v_add_co_u32 v36, vcc_lo, v20, v36
	v_add_co_ci_u32_e64 v37, null, v21, v37, vcc_lo
	global_load_dwordx2 v[34:35], v[34:35], off
	global_load_dwordx2 v[36:37], v[36:37], off
	s_waitcnt vmcnt(0)
	v_fma_f64 v[13:14], v[34:35], v[36:37], v[13:14]
	s_branch .LBB21_14
.LBB21_19:                              ;   in Loop: Header=BB21_12 Depth=2
	s_or_b32 exec_lo, exec_lo, s70
.LBB21_20:                              ;   in Loop: Header=BB21_12 Depth=2
	s_or_b32 exec_lo, exec_lo, s69
	v_lshlrev_b64 v[15:16], 3, v[9:10]
	v_cmp_le_i32_e64 s13, v1, v11
	s_mov_b32 s69, exec_lo
	v_add_co_u32 v15, vcc_lo, s30, v15
	v_add_co_ci_u32_e64 v16, null, s31, v16, vcc_lo
	global_load_dwordx2 v[15:16], v[15:16], off
	s_waitcnt vmcnt(0)
	v_add_f64 v[19:20], v[15:16], -v[13:14]
	v_cmpx_gt_i32_e64 v1, v11
	s_cbranch_execnz .LBB21_23
; %bb.21:                               ;   in Loop: Header=BB21_12 Depth=2
	s_or_b32 exec_lo, exec_lo, s69
	v_cmp_class_f64_e64 s69, v[19:20], 0x1f8
	s_and_saveexec_b32 s70, s69
	s_cbranch_execnz .LBB21_26
.LBB21_22:                              ;   in Loop: Header=BB21_12 Depth=2
	s_or_b32 exec_lo, exec_lo, s70
	s_and_b32 s69, s14, s69
	s_and_saveexec_b32 s13, s69
	s_cbranch_execz .LBB21_11
	s_branch .LBB21_61
.LBB21_23:                              ;   in Loop: Header=BB21_12 Depth=2
	v_lshlrev_b64 v[21:22], 3, v[11:12]
	v_mov_b32_e32 v23, 0
	v_mov_b32_e32 v24, 0
	s_mov_b32 s70, exec_lo
	v_add_co_u32 v21, vcc_lo, s24, v21
	v_add_co_ci_u32_e64 v22, null, s25, v22, vcc_lo
	global_load_dwordx2 v[21:22], v[21:22], off
	s_waitcnt vmcnt(0)
	v_cmpx_lg_f64_e32 0, v[21:22]
	s_cbranch_execz .LBB21_25
; %bb.24:                               ;   in Loop: Header=BB21_12 Depth=2
	v_div_scale_f64 v[23:24], null, v[21:22], v[21:22], v[19:20]
	v_rcp_f64_e32 v[34:35], v[23:24]
	v_fma_f64 v[36:37], -v[23:24], v[34:35], 1.0
	v_fma_f64 v[34:35], v[34:35], v[36:37], v[34:35]
	v_fma_f64 v[36:37], -v[23:24], v[34:35], 1.0
	v_fma_f64 v[34:35], v[34:35], v[36:37], v[34:35]
	v_div_scale_f64 v[36:37], vcc_lo, v[19:20], v[21:22], v[19:20]
	v_mul_f64 v[38:39], v[36:37], v[34:35]
	v_fma_f64 v[23:24], -v[23:24], v[38:39], v[36:37]
	v_div_fmas_f64 v[23:24], v[23:24], v[34:35], v[38:39]
	v_div_fixup_f64 v[23:24], v[23:24], v[21:22], v[19:20]
.LBB21_25:                              ;   in Loop: Header=BB21_12 Depth=2
	s_or_b32 exec_lo, exec_lo, s70
	v_mov_b32_e32 v19, v23
	v_mov_b32_e32 v20, v24
	s_or_b32 exec_lo, exec_lo, s69
	v_cmp_class_f64_e64 s69, v[19:20], 0x1f8
	s_and_saveexec_b32 s70, s69
	s_cbranch_execz .LBB21_22
.LBB21_26:                              ;   in Loop: Header=BB21_12 Depth=2
	s_and_saveexec_b32 s71, s13
	s_xor_b32 s13, exec_lo, s71
	s_cbranch_execz .LBB21_47
; %bb.27:                               ;   in Loop: Header=BB21_12 Depth=2
	s_mov_b32 s71, exec_lo
	v_cmpx_ge_i32_e64 v1, v11
	s_xor_b32 s71, exec_lo, s71
	s_cbranch_execz .LBB21_33
; %bb.28:                               ;   in Loop: Header=BB21_12 Depth=2
	v_lshlrev_b64 v[21:22], 3, v[11:12]
	v_add_co_u32 v23, vcc_lo, s26, v21
	v_add_co_ci_u32_e64 v24, null, s27, v22, vcc_lo
	s_andn2_b32 vcc_lo, exec_lo, s33
	global_store_dwordx2 v[23:24], v[19:20], off
	s_cbranch_vccnz .LBB21_32
; %bb.29:                               ;   in Loop: Header=BB21_12 Depth=2
	v_add_co_u32 v21, vcc_lo, s24, v21
	v_add_co_ci_u32_e64 v22, null, s25, v22, vcc_lo
	global_load_dwordx2 v[21:22], v[21:22], off
	s_waitcnt vmcnt(0)
	v_add_f64 v[19:20], v[21:22], -v[19:20]
	v_cmp_class_f64_e64 s73, v[19:20], 0x1f8
	s_and_saveexec_b32 s72, s73
	s_cbranch_execz .LBB21_31
; %bb.30:                               ;   in Loop: Header=BB21_12 Depth=2
	v_cmp_lt_f64_e64 vcc_lo, v[2:3], |v[19:20]|
	v_and_b32_e32 v10, 0x7fffffff, v20
	v_cndmask_b32_e32 v3, v3, v10, vcc_lo
	v_cndmask_b32_e32 v2, v2, v19, vcc_lo
.LBB21_31:                              ;   in Loop: Header=BB21_12 Depth=2
	s_or_b32 exec_lo, exec_lo, s72
.LBB21_32:                              ;   in Loop: Header=BB21_12 Depth=2
                                        ; implicit-def: $vgpr19_vgpr20
.LBB21_33:                              ;   in Loop: Header=BB21_12 Depth=2
	s_andn2_saveexec_b32 s71, s71
	s_cbranch_execz .LBB21_46
; %bb.34:                               ;   in Loop: Header=BB21_12 Depth=2
	s_mov_b32 s72, exec_lo
	v_cmpx_lt_i32_e64 v18, v33
	s_cbranch_execz .LBB21_45
; %bb.35:                               ;   in Loop: Header=BB21_12 Depth=2
	v_mov_b32_e32 v10, v18
	s_mov_b32 s73, 0
                                        ; implicit-def: $sgpr74
                                        ; implicit-def: $sgpr76
                                        ; implicit-def: $sgpr75
	s_inst_prefetch 0x1
	s_branch .LBB21_37
	.p2align	6
.LBB21_36:                              ;   in Loop: Header=BB21_37 Depth=3
	s_or_b32 exec_lo, exec_lo, s77
	s_and_b32 s77, exec_lo, s76
	s_or_b32 s73, s77, s73
	s_andn2_b32 s74, s74, exec_lo
	s_and_b32 s77, s75, exec_lo
	s_or_b32 s74, s74, s77
	s_andn2_b32 exec_lo, exec_lo, s73
	s_cbranch_execz .LBB21_39
.LBB21_37:                              ;   Parent Loop BB21_5 Depth=1
                                        ;     Parent Loop BB21_12 Depth=2
                                        ; =>    This Inner Loop Header: Depth=3
	v_add_nc_u32_e32 v21, v17, v10
	s_or_b32 s75, s75, exec_lo
	s_or_b32 s76, s76, exec_lo
	s_mov_b32 s77, exec_lo
	v_ashrrev_i32_e32 v22, 31, v21
	v_lshlrev_b64 v[23:24], 2, v[21:22]
	v_add_co_u32 v23, vcc_lo, s40, v23
	v_add_co_ci_u32_e64 v24, null, s41, v24, vcc_lo
	global_load_dword v23, v[23:24], off
	s_waitcnt vmcnt(0)
	v_subrev_nc_u32_e32 v23, s62, v23
	v_cmpx_ne_u32_e64 v23, v1
	s_cbranch_execz .LBB21_36
; %bb.38:                               ;   in Loop: Header=BB21_37 Depth=3
	v_add_nc_u32_e32 v10, 1, v10
	s_andn2_b32 s76, s76, exec_lo
	s_andn2_b32 s75, s75, exec_lo
	v_cmp_ge_i32_e32 vcc_lo, v10, v33
	s_and_b32 s78, vcc_lo, exec_lo
	s_or_b32 s76, s76, s78
	s_branch .LBB21_36
.LBB21_39:                              ;   in Loop: Header=BB21_12 Depth=2
	s_inst_prefetch 0x2
	s_or_b32 exec_lo, exec_lo, s73
	s_and_saveexec_b32 s73, s74
	s_xor_b32 s73, exec_lo, s73
	s_cbranch_execz .LBB21_44
; %bb.40:                               ;   in Loop: Header=BB21_12 Depth=2
	v_lshlrev_b64 v[21:22], 3, v[21:22]
	v_add_co_u32 v23, vcc_lo, s54, v21
	v_add_co_ci_u32_e64 v24, null, s55, v22, vcc_lo
	s_andn2_b32 vcc_lo, exec_lo, s33
	global_store_dwordx2 v[23:24], v[19:20], off
	s_cbranch_vccnz .LBB21_44
; %bb.41:                               ;   in Loop: Header=BB21_12 Depth=2
	v_add_co_u32 v21, vcc_lo, s42, v21
	v_add_co_ci_u32_e64 v22, null, s43, v22, vcc_lo
	global_load_dwordx2 v[21:22], v[21:22], off
	s_waitcnt vmcnt(0)
	v_add_f64 v[19:20], v[21:22], -v[19:20]
	v_cmp_class_f64_e64 s75, v[19:20], 0x1f8
	s_and_saveexec_b32 s74, s75
	s_cbranch_execz .LBB21_43
; %bb.42:                               ;   in Loop: Header=BB21_12 Depth=2
	v_cmp_lt_f64_e64 vcc_lo, v[2:3], |v[19:20]|
	v_and_b32_e32 v10, 0x7fffffff, v20
	v_cndmask_b32_e32 v3, v3, v10, vcc_lo
	v_cndmask_b32_e32 v2, v2, v19, vcc_lo
.LBB21_43:                              ;   in Loop: Header=BB21_12 Depth=2
	s_or_b32 exec_lo, exec_lo, s74
.LBB21_44:                              ;   in Loop: Header=BB21_12 Depth=2
	s_or_b32 exec_lo, exec_lo, s73
.LBB21_45:                              ;   in Loop: Header=BB21_12 Depth=2
	s_or_b32 exec_lo, exec_lo, s72
.LBB21_46:                              ;   in Loop: Header=BB21_12 Depth=2
	s_or_b32 exec_lo, exec_lo, s71
                                        ; implicit-def: $vgpr19_vgpr20
.LBB21_47:                              ;   in Loop: Header=BB21_12 Depth=2
	s_andn2_saveexec_b32 s13, s13
	s_cbranch_execz .LBB21_60
; %bb.48:                               ;   in Loop: Header=BB21_12 Depth=2
	s_mov_b32 s71, exec_lo
	v_cmpx_lt_i32_e64 v7, v26
	s_cbranch_execz .LBB21_59
; %bb.49:                               ;   in Loop: Header=BB21_12 Depth=2
	v_mov_b32_e32 v10, v7
	s_mov_b32 s72, 0
                                        ; implicit-def: $sgpr73
                                        ; implicit-def: $sgpr75
                                        ; implicit-def: $sgpr74
	s_inst_prefetch 0x1
	s_branch .LBB21_51
	.p2align	6
.LBB21_50:                              ;   in Loop: Header=BB21_51 Depth=3
	s_or_b32 exec_lo, exec_lo, s76
	s_and_b32 s76, exec_lo, s75
	s_or_b32 s72, s76, s72
	s_andn2_b32 s73, s73, exec_lo
	s_and_b32 s76, s74, exec_lo
	s_or_b32 s73, s73, s76
	s_andn2_b32 exec_lo, exec_lo, s72
	s_cbranch_execz .LBB21_53
.LBB21_51:                              ;   Parent Loop BB21_5 Depth=1
                                        ;     Parent Loop BB21_12 Depth=2
                                        ; =>    This Inner Loop Header: Depth=3
	v_add_nc_u32_e32 v21, v6, v10
	s_or_b32 s74, s74, exec_lo
	s_or_b32 s75, s75, exec_lo
	s_mov_b32 s76, exec_lo
	v_ashrrev_i32_e32 v22, 31, v21
	v_lshlrev_b64 v[23:24], 2, v[21:22]
	v_add_co_u32 v23, vcc_lo, s20, v23
	v_add_co_ci_u32_e64 v24, null, s21, v24, vcc_lo
	global_load_dword v23, v[23:24], off
	s_waitcnt vmcnt(0)
	v_subrev_nc_u32_e32 v23, s60, v23
	v_cmpx_ne_u32_e64 v23, v11
	s_cbranch_execz .LBB21_50
; %bb.52:                               ;   in Loop: Header=BB21_51 Depth=3
	v_add_nc_u32_e32 v10, 1, v10
	s_andn2_b32 s75, s75, exec_lo
	s_andn2_b32 s74, s74, exec_lo
	v_cmp_ge_i32_e32 vcc_lo, v10, v26
	s_and_b32 s77, vcc_lo, exec_lo
	s_or_b32 s75, s75, s77
	s_branch .LBB21_50
.LBB21_53:                              ;   in Loop: Header=BB21_12 Depth=2
	s_inst_prefetch 0x2
	s_or_b32 exec_lo, exec_lo, s72
	s_and_saveexec_b32 s72, s73
	s_xor_b32 s72, exec_lo, s72
	s_cbranch_execz .LBB21_58
; %bb.54:                               ;   in Loop: Header=BB21_12 Depth=2
	v_lshlrev_b64 v[21:22], 3, v[21:22]
	v_add_co_u32 v23, vcc_lo, s34, v21
	v_add_co_ci_u32_e64 v24, null, s35, v22, vcc_lo
	s_andn2_b32 vcc_lo, exec_lo, s33
	global_store_dwordx2 v[23:24], v[19:20], off
	s_cbranch_vccnz .LBB21_58
; %bb.55:                               ;   in Loop: Header=BB21_12 Depth=2
	v_add_co_u32 v21, vcc_lo, s22, v21
	v_add_co_ci_u32_e64 v22, null, s23, v22, vcc_lo
	global_load_dwordx2 v[21:22], v[21:22], off
	s_waitcnt vmcnt(0)
	v_add_f64 v[19:20], v[21:22], -v[19:20]
	v_cmp_class_f64_e64 s74, v[19:20], 0x1f8
	s_and_saveexec_b32 s73, s74
	s_cbranch_execz .LBB21_57
; %bb.56:                               ;   in Loop: Header=BB21_12 Depth=2
	v_cmp_lt_f64_e64 vcc_lo, v[2:3], |v[19:20]|
	v_and_b32_e32 v10, 0x7fffffff, v20
	v_cndmask_b32_e32 v3, v3, v10, vcc_lo
	v_cndmask_b32_e32 v2, v2, v19, vcc_lo
.LBB21_57:                              ;   in Loop: Header=BB21_12 Depth=2
	s_or_b32 exec_lo, exec_lo, s73
.LBB21_58:                              ;   in Loop: Header=BB21_12 Depth=2
	s_or_b32 exec_lo, exec_lo, s72
.LBB21_59:                              ;   in Loop: Header=BB21_12 Depth=2
	s_or_b32 exec_lo, exec_lo, s71
.LBB21_60:                              ;   in Loop: Header=BB21_12 Depth=2
	s_or_b32 exec_lo, exec_lo, s13
	s_or_b32 exec_lo, exec_lo, s70
	s_and_b32 s69, s14, s69
	s_and_saveexec_b32 s13, s69
	s_cbranch_execz .LBB21_11
.LBB21_61:                              ;   in Loop: Header=BB21_12 Depth=2
	s_mov_b32 s69, exec_lo
	v_cmpx_ge_i32_e64 v18, v33
	s_xor_b32 s69, exec_lo, s69
	s_cbranch_execnz .LBB21_67
; %bb.62:                               ;   in Loop: Header=BB21_12 Depth=2
	s_andn2_saveexec_b32 s69, s69
	s_cbranch_execnz .LBB21_76
.LBB21_63:                              ;   in Loop: Header=BB21_12 Depth=2
	s_or_b32 exec_lo, exec_lo, s69
	s_mov_b32 s69, exec_lo
	v_cmpx_eq_u32_e64 v1, v11
	s_cbranch_execz .LBB21_65
.LBB21_64:                              ;   in Loop: Header=BB21_12 Depth=2
	v_lshlrev_b64 v[10:11], 3, v[11:12]
	v_add_co_u32 v10, vcc_lo, s24, v10
	v_add_co_ci_u32_e64 v11, null, s25, v11, vcc_lo
	global_load_dwordx2 v[10:11], v[10:11], off
	s_waitcnt vmcnt(0)
	v_add_f64 v[13:14], v[13:14], v[10:11]
.LBB21_65:                              ;   in Loop: Header=BB21_12 Depth=2
	s_or_b32 exec_lo, exec_lo, s69
	v_add_f64 v[10:11], v[15:16], -v[13:14]
	v_cmp_class_f64_e64 s70, v[10:11], 0x1f8
	s_and_saveexec_b32 s69, s70
	s_cbranch_execz .LBB21_10
; %bb.66:                               ;   in Loop: Header=BB21_12 Depth=2
	v_cmp_lt_f64_e64 vcc_lo, v[4:5], |v[10:11]|
	v_and_b32_e32 v7, 0x7fffffff, v11
	v_cndmask_b32_e32 v5, v5, v7, vcc_lo
	v_cndmask_b32_e32 v4, v4, v10, vcc_lo
	s_branch .LBB21_10
.LBB21_67:                              ;   in Loop: Header=BB21_12 Depth=2
	s_mov_b32 s70, exec_lo
	v_cmpx_lt_i32_e64 v7, v26
	s_cbranch_execz .LBB21_75
; %bb.68:                               ;   in Loop: Header=BB21_12 Depth=2
	s_mov_b32 s71, 0
                                        ; implicit-def: $sgpr72
                                        ; implicit-def: $sgpr74
                                        ; implicit-def: $sgpr73
	s_inst_prefetch 0x1
	s_branch .LBB21_70
	.p2align	6
.LBB21_69:                              ;   in Loop: Header=BB21_70 Depth=3
	s_or_b32 exec_lo, exec_lo, s75
	s_and_b32 s75, exec_lo, s74
	s_or_b32 s71, s75, s71
	s_andn2_b32 s72, s72, exec_lo
	s_and_b32 s75, s73, exec_lo
	s_or_b32 s72, s72, s75
	s_andn2_b32 exec_lo, exec_lo, s71
	s_cbranch_execz .LBB21_72
.LBB21_70:                              ;   Parent Loop BB21_5 Depth=1
                                        ;     Parent Loop BB21_12 Depth=2
                                        ; =>    This Inner Loop Header: Depth=3
	v_add_nc_u32_e32 v17, v6, v7
	s_or_b32 s73, s73, exec_lo
	s_or_b32 s74, s74, exec_lo
	s_mov_b32 s75, exec_lo
	v_ashrrev_i32_e32 v18, 31, v17
	v_lshlrev_b64 v[19:20], 2, v[17:18]
	v_add_co_u32 v19, vcc_lo, s20, v19
	v_add_co_ci_u32_e64 v20, null, s21, v20, vcc_lo
	global_load_dword v10, v[19:20], off
	s_waitcnt vmcnt(0)
	v_subrev_nc_u32_e32 v10, s60, v10
	v_cmpx_ne_u32_e64 v10, v11
	s_cbranch_execz .LBB21_69
; %bb.71:                               ;   in Loop: Header=BB21_70 Depth=3
	v_add_nc_u32_e32 v7, 1, v7
	s_andn2_b32 s74, s74, exec_lo
	s_andn2_b32 s73, s73, exec_lo
	v_cmp_ge_i32_e32 vcc_lo, v7, v26
	s_and_b32 s76, vcc_lo, exec_lo
	s_or_b32 s74, s74, s76
	s_branch .LBB21_69
.LBB21_72:                              ;   in Loop: Header=BB21_12 Depth=2
	s_inst_prefetch 0x2
	s_or_b32 exec_lo, exec_lo, s71
	s_and_saveexec_b32 s71, s72
	s_xor_b32 s71, exec_lo, s71
	s_cbranch_execz .LBB21_74
; %bb.73:                               ;   in Loop: Header=BB21_12 Depth=2
	v_lshlrev_b64 v[17:18], 3, v[17:18]
	v_lshlrev_b64 v[19:20], 3, v[11:12]
	v_add_co_u32 v17, vcc_lo, s22, v17
	v_add_co_ci_u32_e64 v18, null, s23, v18, vcc_lo
	v_add_co_u32 v19, vcc_lo, s24, v19
	v_add_co_ci_u32_e64 v20, null, s25, v20, vcc_lo
	global_load_dwordx2 v[17:18], v[17:18], off
	global_load_dwordx2 v[19:20], v[19:20], off
	s_waitcnt vmcnt(0)
	v_fma_f64 v[13:14], v[17:18], v[19:20], v[13:14]
.LBB21_74:                              ;   in Loop: Header=BB21_12 Depth=2
	s_or_b32 exec_lo, exec_lo, s71
.LBB21_75:                              ;   in Loop: Header=BB21_12 Depth=2
	s_or_b32 exec_lo, exec_lo, s70
                                        ; implicit-def: $vgpr18
                                        ; implicit-def: $vgpr17
                                        ; implicit-def: $vgpr33
	s_andn2_saveexec_b32 s69, s69
	s_cbranch_execz .LBB21_63
.LBB21_76:                              ;   in Loop: Header=BB21_12 Depth=2
	s_mov_b32 s70, 0
                                        ; implicit-def: $sgpr71
                                        ; implicit-def: $sgpr73
                                        ; implicit-def: $sgpr72
	s_inst_prefetch 0x1
	s_branch .LBB21_78
	.p2align	6
.LBB21_77:                              ;   in Loop: Header=BB21_78 Depth=3
	s_or_b32 exec_lo, exec_lo, s74
	s_and_b32 s74, exec_lo, s73
	s_or_b32 s70, s74, s70
	s_andn2_b32 s71, s71, exec_lo
	s_and_b32 s74, s72, exec_lo
	s_or_b32 s71, s71, s74
	s_andn2_b32 exec_lo, exec_lo, s70
	s_cbranch_execz .LBB21_80
.LBB21_78:                              ;   Parent Loop BB21_5 Depth=1
                                        ;     Parent Loop BB21_12 Depth=2
                                        ; =>    This Inner Loop Header: Depth=3
	v_add_nc_u32_e32 v19, v17, v18
	s_or_b32 s72, s72, exec_lo
	s_or_b32 s73, s73, exec_lo
	s_mov_b32 s74, exec_lo
	v_ashrrev_i32_e32 v20, 31, v19
	v_lshlrev_b64 v[21:22], 2, v[19:20]
	v_add_co_u32 v21, vcc_lo, s40, v21
	v_add_co_ci_u32_e64 v22, null, s41, v22, vcc_lo
	global_load_dword v7, v[21:22], off
	s_waitcnt vmcnt(0)
	v_subrev_nc_u32_e32 v7, s62, v7
	v_cmpx_ne_u32_e64 v7, v1
	s_cbranch_execz .LBB21_77
; %bb.79:                               ;   in Loop: Header=BB21_78 Depth=3
	v_add_nc_u32_e32 v18, 1, v18
	s_andn2_b32 s73, s73, exec_lo
	s_andn2_b32 s72, s72, exec_lo
	v_cmp_ge_i32_e32 vcc_lo, v18, v33
	s_and_b32 s75, vcc_lo, exec_lo
	s_or_b32 s73, s73, s75
	s_branch .LBB21_77
.LBB21_80:                              ;   in Loop: Header=BB21_12 Depth=2
	s_inst_prefetch 0x2
	s_or_b32 exec_lo, exec_lo, s70
	s_and_saveexec_b32 s70, s71
	s_xor_b32 s70, exec_lo, s70
	s_cbranch_execz .LBB21_82
; %bb.81:                               ;   in Loop: Header=BB21_12 Depth=2
	v_lshlrev_b64 v[17:18], 3, v[19:20]
	v_add_co_u32 v17, vcc_lo, s42, v17
	v_add_co_ci_u32_e64 v18, null, s43, v18, vcc_lo
	global_load_dwordx2 v[17:18], v[17:18], off
	s_waitcnt vmcnt(0)
	v_add_f64 v[13:14], v[13:14], v[17:18]
.LBB21_82:                              ;   in Loop: Header=BB21_12 Depth=2
	s_or_b32 exec_lo, exec_lo, s70
	s_or_b32 exec_lo, exec_lo, s69
	s_mov_b32 s69, exec_lo
	v_cmpx_eq_u32_e64 v1, v11
	s_cbranch_execnz .LBB21_64
	s_branch .LBB21_65
.LBB21_83:                              ;   in Loop: Header=BB21_5 Depth=1
	s_or_b32 exec_lo, exec_lo, s68
	s_or_b32 exec_lo, exec_lo, s67
	s_andn2_b32 vcc_lo, exec_lo, s33
	s_cbranch_vccnz .LBB21_7
.LBB21_84:                              ;   in Loop: Header=BB21_5 Depth=1
	ds_write_b64 v25, v[2:3]
	s_waitcnt lgkmcnt(0)
	s_waitcnt_vscnt null, 0x0
	s_barrier
	buffer_gl0_inv
	s_and_saveexec_b32 s13, s0
	s_cbranch_execz .LBB21_86
; %bb.85:                               ;   in Loop: Header=BB21_5 Depth=1
	ds_read2st64_b64 v[9:12], v25 offset1:8
	s_waitcnt lgkmcnt(0)
	v_cmp_lt_f64_e32 vcc_lo, v[9:10], v[11:12]
	v_cndmask_b32_e32 v3, v10, v12, vcc_lo
	v_cndmask_b32_e32 v2, v9, v11, vcc_lo
	ds_write_b64 v25, v[2:3]
.LBB21_86:                              ;   in Loop: Header=BB21_5 Depth=1
	s_or_b32 exec_lo, exec_lo, s13
	s_waitcnt lgkmcnt(0)
	s_barrier
	buffer_gl0_inv
	s_and_saveexec_b32 s13, s1
	s_cbranch_execz .LBB21_88
; %bb.87:                               ;   in Loop: Header=BB21_5 Depth=1
	ds_read2st64_b64 v[9:12], v25 offset1:4
	s_waitcnt lgkmcnt(0)
	v_cmp_lt_f64_e32 vcc_lo, v[9:10], v[11:12]
	v_cndmask_b32_e32 v3, v10, v12, vcc_lo
	v_cndmask_b32_e32 v2, v9, v11, vcc_lo
	ds_write_b64 v25, v[2:3]
.LBB21_88:                              ;   in Loop: Header=BB21_5 Depth=1
	s_or_b32 exec_lo, exec_lo, s13
	s_waitcnt lgkmcnt(0)
	;; [unrolled: 14-line block ×4, first 2 shown]
	s_barrier
	buffer_gl0_inv
	s_and_saveexec_b32 s13, s4
	s_cbranch_execz .LBB21_94
; %bb.93:                               ;   in Loop: Header=BB21_5 Depth=1
	ds_read2_b64 v[9:12], v25 offset1:32
	s_waitcnt lgkmcnt(0)
	v_cmp_lt_f64_e32 vcc_lo, v[9:10], v[11:12]
	v_cndmask_b32_e32 v3, v10, v12, vcc_lo
	v_cndmask_b32_e32 v2, v9, v11, vcc_lo
	ds_write_b64 v25, v[2:3]
.LBB21_94:                              ;   in Loop: Header=BB21_5 Depth=1
	s_or_b32 exec_lo, exec_lo, s13
	s_waitcnt lgkmcnt(0)
	s_barrier
	buffer_gl0_inv
	s_and_saveexec_b32 s13, s5
	s_cbranch_execz .LBB21_96
; %bb.95:                               ;   in Loop: Header=BB21_5 Depth=1
	ds_read2_b64 v[9:12], v25 offset1:16
	s_waitcnt lgkmcnt(0)
	v_cmp_lt_f64_e32 vcc_lo, v[9:10], v[11:12]
	v_cndmask_b32_e32 v3, v10, v12, vcc_lo
	v_cndmask_b32_e32 v2, v9, v11, vcc_lo
	ds_write_b64 v25, v[2:3]
.LBB21_96:                              ;   in Loop: Header=BB21_5 Depth=1
	s_or_b32 exec_lo, exec_lo, s13
	s_waitcnt lgkmcnt(0)
	;; [unrolled: 14-line block ×3, first 2 shown]
	s_barrier
	buffer_gl0_inv
	s_and_saveexec_b32 s13, s7
	s_cbranch_execz .LBB21_100
; %bb.99:                               ;   in Loop: Header=BB21_5 Depth=1
	ds_read2_b64 v[9:12], v25 offset1:4
	s_waitcnt lgkmcnt(0)
	v_cmp_lt_f64_e32 vcc_lo, v[9:10], v[11:12]
	v_cndmask_b32_e32 v3, v10, v12, vcc_lo
	v_cndmask_b32_e32 v2, v9, v11, vcc_lo
	ds_write_b64 v25, v[2:3]
.LBB21_100:                             ;   in Loop: Header=BB21_5 Depth=1
	s_or_b32 exec_lo, exec_lo, s13
	s_waitcnt lgkmcnt(0)
	s_barrier
	buffer_gl0_inv
	s_and_saveexec_b32 s13, s8
	s_cbranch_execz .LBB21_102
; %bb.101:                              ;   in Loop: Header=BB21_5 Depth=1
	ds_read2_b64 v[9:12], v25 offset1:2
	s_waitcnt lgkmcnt(0)
	v_cmp_lt_f64_e32 vcc_lo, v[9:10], v[11:12]
	v_cndmask_b32_e32 v3, v10, v12, vcc_lo
	v_cndmask_b32_e32 v2, v9, v11, vcc_lo
	ds_write_b64 v25, v[2:3]
.LBB21_102:                             ;   in Loop: Header=BB21_5 Depth=1
	s_or_b32 exec_lo, exec_lo, s13
	s_waitcnt lgkmcnt(0)
	s_barrier
	buffer_gl0_inv
	s_and_saveexec_b32 s13, s9
	s_cbranch_execz .LBB21_104
; %bb.103:                              ;   in Loop: Header=BB21_5 Depth=1
	ds_read_b128 v[9:12], v8
	s_waitcnt lgkmcnt(0)
	v_cmp_lt_f64_e32 vcc_lo, v[9:10], v[11:12]
	v_cndmask_b32_e32 v3, v10, v12, vcc_lo
	v_cndmask_b32_e32 v2, v9, v11, vcc_lo
	ds_write_b64 v8, v[2:3]
.LBB21_104:                             ;   in Loop: Header=BB21_5 Depth=1
	s_or_b32 exec_lo, exec_lo, s13
	s_waitcnt lgkmcnt(0)
	s_barrier
	buffer_gl0_inv
	ds_read_b64 v[2:3], v8
	s_load_dwordx2 s[68:69], s[52:53], 0x0
	s_waitcnt lgkmcnt(0)
	v_div_scale_f64 v[9:10], null, s[68:69], s[68:69], v[2:3]
	v_rcp_f64_e32 v[11:12], v[9:10]
	v_fma_f64 v[13:14], -v[9:10], v[11:12], 1.0
	v_fma_f64 v[11:12], v[11:12], v[13:14], v[11:12]
	v_fma_f64 v[13:14], -v[9:10], v[11:12], 1.0
	v_fma_f64 v[11:12], v[11:12], v[13:14], v[11:12]
	v_div_scale_f64 v[13:14], vcc_lo, v[2:3], s[68:69], v[2:3]
	v_mul_f64 v[15:16], v[13:14], v[11:12]
	v_fma_f64 v[9:10], -v[9:10], v[15:16], v[13:14]
	v_div_fmas_f64 v[9:10], v[9:10], v[11:12], v[15:16]
	v_div_fixup_f64 v[2:3], v[9:10], s[68:69], v[2:3]
	s_andn2_b32 vcc_lo, exec_lo, s14
	s_cbranch_vccnz .LBB21_8
.LBB21_105:                             ;   in Loop: Header=BB21_5 Depth=1
	ds_write_b64 v25, v[4:5]
	s_waitcnt lgkmcnt(0)
	s_waitcnt_vscnt null, 0x0
	s_barrier
	buffer_gl0_inv
	s_and_saveexec_b32 s13, s0
	s_cbranch_execz .LBB21_107
; %bb.106:                              ;   in Loop: Header=BB21_5 Depth=1
	ds_read2st64_b64 v[9:12], v25 offset1:8
	s_waitcnt lgkmcnt(0)
	v_cmp_lt_f64_e32 vcc_lo, v[9:10], v[11:12]
	v_cndmask_b32_e32 v5, v10, v12, vcc_lo
	v_cndmask_b32_e32 v4, v9, v11, vcc_lo
	ds_write_b64 v25, v[4:5]
.LBB21_107:                             ;   in Loop: Header=BB21_5 Depth=1
	s_or_b32 exec_lo, exec_lo, s13
	s_waitcnt lgkmcnt(0)
	s_barrier
	buffer_gl0_inv
	s_and_saveexec_b32 s13, s1
	s_cbranch_execz .LBB21_109
; %bb.108:                              ;   in Loop: Header=BB21_5 Depth=1
	ds_read2st64_b64 v[9:12], v25 offset1:4
	s_waitcnt lgkmcnt(0)
	v_cmp_lt_f64_e32 vcc_lo, v[9:10], v[11:12]
	v_cndmask_b32_e32 v5, v10, v12, vcc_lo
	v_cndmask_b32_e32 v4, v9, v11, vcc_lo
	ds_write_b64 v25, v[4:5]
.LBB21_109:                             ;   in Loop: Header=BB21_5 Depth=1
	s_or_b32 exec_lo, exec_lo, s13
	s_waitcnt lgkmcnt(0)
	;; [unrolled: 14-line block ×4, first 2 shown]
	s_barrier
	buffer_gl0_inv
	s_and_saveexec_b32 s13, s4
	s_cbranch_execz .LBB21_115
; %bb.114:                              ;   in Loop: Header=BB21_5 Depth=1
	ds_read2_b64 v[9:12], v25 offset1:32
	s_waitcnt lgkmcnt(0)
	v_cmp_lt_f64_e32 vcc_lo, v[9:10], v[11:12]
	v_cndmask_b32_e32 v5, v10, v12, vcc_lo
	v_cndmask_b32_e32 v4, v9, v11, vcc_lo
	ds_write_b64 v25, v[4:5]
.LBB21_115:                             ;   in Loop: Header=BB21_5 Depth=1
	s_or_b32 exec_lo, exec_lo, s13
	s_waitcnt lgkmcnt(0)
	s_barrier
	buffer_gl0_inv
	s_and_saveexec_b32 s13, s5
	s_cbranch_execz .LBB21_117
; %bb.116:                              ;   in Loop: Header=BB21_5 Depth=1
	ds_read2_b64 v[9:12], v25 offset1:16
	s_waitcnt lgkmcnt(0)
	v_cmp_lt_f64_e32 vcc_lo, v[9:10], v[11:12]
	v_cndmask_b32_e32 v5, v10, v12, vcc_lo
	v_cndmask_b32_e32 v4, v9, v11, vcc_lo
	ds_write_b64 v25, v[4:5]
.LBB21_117:                             ;   in Loop: Header=BB21_5 Depth=1
	s_or_b32 exec_lo, exec_lo, s13
	s_waitcnt lgkmcnt(0)
	;; [unrolled: 14-line block ×5, first 2 shown]
	s_barrier
	buffer_gl0_inv
	s_and_saveexec_b32 s13, s9
	s_cbranch_execz .LBB21_125
; %bb.124:                              ;   in Loop: Header=BB21_5 Depth=1
	ds_read_b128 v[9:12], v8
	s_waitcnt lgkmcnt(0)
	v_cmp_lt_f64_e32 vcc_lo, v[9:10], v[11:12]
	v_cndmask_b32_e32 v5, v10, v12, vcc_lo
	v_cndmask_b32_e32 v4, v9, v11, vcc_lo
	ds_write_b64 v8, v[4:5]
.LBB21_125:                             ;   in Loop: Header=BB21_5 Depth=1
	s_or_b32 exec_lo, exec_lo, s13
	s_waitcnt lgkmcnt(0)
	s_barrier
	buffer_gl0_inv
	ds_read_b64 v[4:5], v8
	s_load_dwordx2 s[68:69], s[52:53], 0x0
	s_waitcnt lgkmcnt(0)
	v_div_scale_f64 v[9:10], null, s[68:69], s[68:69], v[4:5]
	v_rcp_f64_e32 v[11:12], v[9:10]
	v_fma_f64 v[13:14], -v[9:10], v[11:12], 1.0
	v_fma_f64 v[11:12], v[11:12], v[13:14], v[11:12]
	v_fma_f64 v[13:14], -v[9:10], v[11:12], 1.0
	v_fma_f64 v[11:12], v[11:12], v[13:14], v[11:12]
	v_div_scale_f64 v[13:14], vcc_lo, v[4:5], s[68:69], v[4:5]
	v_mul_f64 v[15:16], v[13:14], v[11:12]
	v_fma_f64 v[9:10], -v[9:10], v[15:16], v[13:14]
	v_div_fmas_f64 v[9:10], v[9:10], v[11:12], v[15:16]
	v_div_fixup_f64 v[4:5], v[9:10], s[68:69], v[4:5]
	s_and_saveexec_b32 s67, s10
	s_cbranch_execz .LBB21_136
.LBB21_126:                             ;   in Loop: Header=BB21_5 Depth=1
	v_mov_b32_e32 v9, v1
	s_mov_b32 s68, 0
	s_branch .LBB21_129
.LBB21_127:                             ;   in Loop: Header=BB21_129 Depth=2
	s_or_b32 exec_lo, exec_lo, s70
	v_lshlrev_b64 v[10:11], 3, v[9:10]
	v_add_co_u32 v12, vcc_lo, s26, v10
	v_add_co_ci_u32_e64 v13, null, s27, v11, vcc_lo
	v_add_co_u32 v10, vcc_lo, s24, v10
	v_add_co_ci_u32_e64 v11, null, s25, v11, vcc_lo
	global_load_dwordx2 v[12:13], v[12:13], off
	s_waitcnt vmcnt(0)
	global_store_dwordx2 v[10:11], v[12:13], off
.LBB21_128:                             ;   in Loop: Header=BB21_129 Depth=2
	s_or_b32 exec_lo, exec_lo, s69
	v_add_nc_u32_e32 v9, 0x400, v9
	v_cmp_le_u32_e32 vcc_lo, s63, v9
	s_or_b32 s68, vcc_lo, s68
	s_andn2_b32 exec_lo, exec_lo, s68
	s_cbranch_execz .LBB21_136
.LBB21_129:                             ;   Parent Loop BB21_5 Depth=1
                                        ; =>  This Loop Header: Depth=2
                                        ;       Child Loop BB21_132 Depth 3
                                        ;       Child Loop BB21_135 Depth 3
	s_mov_b32 s69, exec_lo
	v_cmpx_gt_i32_e64 s57, v9
	s_cbranch_execz .LBB21_128
; %bb.130:                              ;   in Loop: Header=BB21_129 Depth=2
	v_ashrrev_i32_e32 v10, 31, v9
	s_mov_b32 s70, exec_lo
	v_lshlrev_b64 v[11:12], 2, v[9:10]
	v_add_co_u32 v13, vcc_lo, s16, v11
	v_add_co_ci_u32_e64 v14, null, s17, v12, vcc_lo
	v_add_co_u32 v15, vcc_lo, s18, v11
	v_add_co_ci_u32_e64 v16, null, s19, v12, vcc_lo
	global_load_dword v13, v[13:14], off
	global_load_dword v7, v[15:16], off
	s_waitcnt vmcnt(0)
	v_cmpx_lt_i32_e64 v13, v7
	s_cbranch_execz .LBB21_133
; %bb.131:                              ;   in Loop: Header=BB21_129 Depth=2
	v_subrev_nc_u32_e32 v13, s60, v13
	v_subrev_nc_u32_e32 v7, s60, v7
	s_mov_b32 s71, 0
	v_ashrrev_i32_e32 v14, 31, v13
	v_lshlrev_b64 v[16:17], 3, v[13:14]
	v_add_co_u32 v14, vcc_lo, s34, v16
	v_add_co_ci_u32_e64 v15, null, s35, v17, vcc_lo
	v_add_co_u32 v16, vcc_lo, s22, v16
	v_add_co_ci_u32_e64 v17, null, s23, v17, vcc_lo
	.p2align	6
.LBB21_132:                             ;   Parent Loop BB21_5 Depth=1
                                        ;     Parent Loop BB21_129 Depth=2
                                        ; =>    This Inner Loop Header: Depth=3
	global_load_dwordx2 v[18:19], v[14:15], off
	v_add_nc_u32_e32 v13, 1, v13
	v_add_co_u32 v14, vcc_lo, v14, 8
	v_add_co_ci_u32_e64 v15, null, 0, v15, vcc_lo
	v_cmp_ge_i32_e32 vcc_lo, v13, v7
	s_or_b32 s71, vcc_lo, s71
	s_waitcnt vmcnt(0)
	global_store_dwordx2 v[16:17], v[18:19], off
	v_add_co_u32 v16, s13, v16, 8
	v_add_co_ci_u32_e64 v17, null, 0, v17, s13
	s_andn2_b32 exec_lo, exec_lo, s71
	s_cbranch_execnz .LBB21_132
.LBB21_133:                             ;   in Loop: Header=BB21_129 Depth=2
	s_or_b32 exec_lo, exec_lo, s70
	v_add_co_u32 v13, vcc_lo, s36, v11
	v_add_co_ci_u32_e64 v14, null, s37, v12, vcc_lo
	v_add_co_u32 v15, vcc_lo, s38, v11
	v_add_co_ci_u32_e64 v16, null, s39, v12, vcc_lo
	global_load_dword v11, v[13:14], off
	global_load_dword v7, v[15:16], off
	s_mov_b32 s70, exec_lo
	s_waitcnt vmcnt(0)
	v_cmpx_lt_i32_e64 v11, v7
	s_cbranch_execz .LBB21_127
; %bb.134:                              ;   in Loop: Header=BB21_129 Depth=2
	v_subrev_nc_u32_e32 v11, s62, v11
	v_subrev_nc_u32_e32 v7, s62, v7
	s_mov_b32 s71, 0
	v_ashrrev_i32_e32 v12, 31, v11
	v_lshlrev_b64 v[14:15], 3, v[11:12]
	v_add_co_u32 v12, vcc_lo, s54, v14
	v_add_co_ci_u32_e64 v13, null, s55, v15, vcc_lo
	v_add_co_u32 v14, vcc_lo, s42, v14
	v_add_co_ci_u32_e64 v15, null, s43, v15, vcc_lo
	.p2align	6
.LBB21_135:                             ;   Parent Loop BB21_5 Depth=1
                                        ;     Parent Loop BB21_129 Depth=2
                                        ; =>    This Inner Loop Header: Depth=3
	global_load_dwordx2 v[16:17], v[12:13], off
	v_add_nc_u32_e32 v11, 1, v11
	v_add_co_u32 v12, vcc_lo, v12, 8
	v_add_co_ci_u32_e64 v13, null, 0, v13, vcc_lo
	v_cmp_ge_i32_e32 vcc_lo, v11, v7
	s_or_b32 s71, vcc_lo, s71
	s_waitcnt vmcnt(0)
	global_store_dwordx2 v[14:15], v[16:17], off
	v_add_co_u32 v14, s13, v14, 8
	v_add_co_ci_u32_e64 v15, null, 0, v15, s13
	s_andn2_b32 exec_lo, exec_lo, s71
	s_cbranch_execnz .LBB21_135
	s_branch .LBB21_127
.LBB21_136:                             ;   in Loop: Header=BB21_5 Depth=1
	s_or_b32 exec_lo, exec_lo, s67
	s_mov_b32 s67, -1
	s_and_b32 vcc_lo, exec_lo, s56
	s_mov_b32 s68, -1
	s_cbranch_vccz .LBB21_146
; %bb.137:                              ;   in Loop: Header=BB21_5 Depth=1
	s_and_b32 vcc_lo, exec_lo, s65
	s_mov_b32 s13, -1
                                        ; implicit-def: $sgpr68
	s_cbranch_vccz .LBB21_143
; %bb.138:                              ;   in Loop: Header=BB21_5 Depth=1
	s_and_b32 vcc_lo, exec_lo, s64
                                        ; implicit-def: $sgpr68
	s_cbranch_vccz .LBB21_140
; %bb.139:                              ;   in Loop: Header=BB21_5 Depth=1
	v_cmp_ge_f64_e64 s68, s[50:51], v[4:5]
	s_mov_b32 s13, 0
.LBB21_140:                             ;   in Loop: Header=BB21_5 Depth=1
	s_andn2_b32 vcc_lo, exec_lo, s13
	s_cbranch_vccnz .LBB21_142
; %bb.141:                              ;   in Loop: Header=BB21_5 Depth=1
	v_cmp_ge_f64_e32 vcc_lo, s[50:51], v[2:3]
	s_andn2_b32 s13, s68, exec_lo
	s_and_b32 s68, vcc_lo, exec_lo
	s_or_b32 s68, s13, s68
.LBB21_142:                             ;   in Loop: Header=BB21_5 Depth=1
	s_mov_b32 s13, 0
.LBB21_143:                             ;   in Loop: Header=BB21_5 Depth=1
	s_andn2_b32 vcc_lo, exec_lo, s13
	s_cbranch_vccnz .LBB21_145
; %bb.144:                              ;   in Loop: Header=BB21_5 Depth=1
	v_cmp_ge_f64_e32 vcc_lo, s[50:51], v[2:3]
	v_cmp_ge_f64_e64 s13, s[50:51], v[4:5]
	s_andn2_b32 s68, s68, exec_lo
	s_and_b32 s13, vcc_lo, s13
	s_and_b32 s13, s13, exec_lo
	s_or_b32 s68, s68, s13
.LBB21_145:                             ;   in Loop: Header=BB21_5 Depth=1
	s_xor_b32 s68, s68, -1
.LBB21_146:                             ;   in Loop: Header=BB21_5 Depth=1
	v_mov_b32_e32 v7, s66
	s_and_saveexec_b32 s13, s68
	s_cbranch_execz .LBB21_4
; %bb.147:                              ;   in Loop: Header=BB21_5 Depth=1
	s_add_i32 s66, s66, 1
	v_mov_b32_e32 v7, s15
	s_cmp_eq_u32 s66, s15
	s_cselect_b32 s67, -1, 0
	s_orn2_b32 s67, s67, exec_lo
	s_branch .LBB21_4
.LBB21_148:
	s_or_b32 exec_lo, exec_lo, s58
	s_or_b32 exec_lo, exec_lo, s59
	s_andn2_b32 vcc_lo, exec_lo, s56
	s_cbranch_vccnz .LBB21_2
.LBB21_149:
	v_lshlrev_b32_e32 v6, 2, v0
	s_mov_b32 s0, exec_lo
	v_or_b32_e32 v1, 0x2000, v6
	ds_write_b32 v6, v7 offset:8192
	s_waitcnt lgkmcnt(0)
	s_waitcnt_vscnt null, 0x0
	s_barrier
	buffer_gl0_inv
	v_cmpx_gt_u32_e32 0x200, v0
	s_cbranch_execz .LBB21_151
; %bb.150:
	ds_read2st64_b32 v[6:7], v1 offset1:8
	s_waitcnt lgkmcnt(0)
	v_max_i32_e32 v6, v6, v7
	ds_write_b32 v1, v6
.LBB21_151:
	s_or_b32 exec_lo, exec_lo, s0
	s_mov_b32 s0, exec_lo
	s_waitcnt lgkmcnt(0)
	s_barrier
	buffer_gl0_inv
	v_cmpx_gt_u32_e32 0x100, v0
	s_cbranch_execz .LBB21_153
; %bb.152:
	ds_read2st64_b32 v[6:7], v1 offset1:4
	s_waitcnt lgkmcnt(0)
	v_max_i32_e32 v6, v6, v7
	ds_write_b32 v1, v6
.LBB21_153:
	s_or_b32 exec_lo, exec_lo, s0
	s_mov_b32 s0, exec_lo
	s_waitcnt lgkmcnt(0)
	;; [unrolled: 13-line block ×4, first 2 shown]
	s_barrier
	buffer_gl0_inv
	v_cmpx_gt_u32_e32 32, v0
	s_cbranch_execz .LBB21_159
; %bb.158:
	ds_read2_b32 v[6:7], v1 offset1:32
	s_waitcnt lgkmcnt(0)
	v_max_i32_e32 v6, v6, v7
	ds_write_b32 v1, v6
.LBB21_159:
	s_or_b32 exec_lo, exec_lo, s0
	s_mov_b32 s0, exec_lo
	s_waitcnt lgkmcnt(0)
	s_barrier
	buffer_gl0_inv
	v_cmpx_gt_u32_e32 16, v0
	s_cbranch_execz .LBB21_161
; %bb.160:
	ds_read2_b32 v[6:7], v1 offset1:16
	s_waitcnt lgkmcnt(0)
	v_max_i32_e32 v6, v6, v7
	ds_write_b32 v1, v6
.LBB21_161:
	s_or_b32 exec_lo, exec_lo, s0
	s_mov_b32 s0, exec_lo
	s_waitcnt lgkmcnt(0)
	;; [unrolled: 13-line block ×4, first 2 shown]
	s_barrier
	buffer_gl0_inv
	v_cmpx_gt_u32_e32 2, v0
	s_cbranch_execz .LBB21_167
; %bb.166:
	ds_read2_b32 v[6:7], v1 offset1:2
	s_waitcnt lgkmcnt(0)
	v_max_i32_e32 v6, v6, v7
	ds_write_b32 v1, v6
.LBB21_167:
	s_or_b32 exec_lo, exec_lo, s0
	v_cmp_eq_u32_e32 vcc_lo, 0, v0
	s_waitcnt lgkmcnt(0)
	s_barrier
	buffer_gl0_inv
	s_and_saveexec_b32 s0, vcc_lo
	s_cbranch_execz .LBB21_169
; %bb.168:
	v_mov_b32_e32 v1, 0
	ds_read_b64 v[6:7], v1 offset:8192
	s_waitcnt lgkmcnt(0)
	v_max_i32_e32 v6, v6, v7
	ds_write_b32 v1, v6 offset:8192
.LBB21_169:
	s_or_b32 exec_lo, exec_lo, s0
	s_waitcnt lgkmcnt(0)
	s_barrier
	buffer_gl0_inv
	s_and_saveexec_b32 s0, vcc_lo
	s_cbranch_execz .LBB21_172
; %bb.170:
	v_mbcnt_lo_u32_b32 v1, exec_lo, 0
	v_cmp_eq_u32_e32 vcc_lo, 0, v1
	s_and_b32 exec_lo, exec_lo, vcc_lo
	s_cbranch_execz .LBB21_172
; %bb.171:
	v_mov_b32_e32 v1, 0
	ds_read_b32 v6, v1 offset:8192
	s_waitcnt lgkmcnt(0)
	v_add_nc_u32_e32 v6, 1, v6
	global_atomic_smax v1, v6, s[48:49]
.LBB21_172:
	s_or_b32 exec_lo, exec_lo, s0
	v_cmp_eq_u32_e32 vcc_lo, 0, v0
	s_and_b32 s0, vcc_lo, s33
	s_and_saveexec_b32 s1, s0
	s_cbranch_execz .LBB21_179
.LBB21_173:
	v_mov_b32_e32 v0, 0
	v_mov_b32_e32 v1, 0x7ff80000
	s_mov_b32 s0, exec_lo
.LBB21_174:                             ; =>This Inner Loop Header: Depth=1
	s_ff1_i32_b32 s4, s0
	v_max_f64 v[0:1], v[0:1], v[0:1]
	v_readlane_b32 s3, v3, s4
	v_readlane_b32 s2, v2, s4
	v_max_f64 v[6:7], s[2:3], s[2:3]
	s_lshl_b32 s2, 1, s4
	s_andn2_b32 s0, s0, s2
	s_cmp_lg_u32 s0, 0
	v_max_f64 v[0:1], v[0:1], v[6:7]
	s_cbranch_scc1 .LBB21_174
; %bb.175:
	v_mbcnt_lo_u32_b32 v2, exec_lo, 0
	s_mov_b32 s2, 0
	s_mov_b32 s3, exec_lo
	v_cmpx_eq_u32_e32 0, v2
	s_xor_b32 s3, exec_lo, s3
	s_cbranch_execz .LBB21_179
; %bb.176:
	v_mov_b32_e32 v8, 0
	v_max_f64 v[6:7], v[0:1], v[0:1]
	global_load_dwordx2 v[2:3], v8, s[44:45]
.LBB21_177:                             ; =>This Inner Loop Header: Depth=1
	s_waitcnt vmcnt(0)
	v_max_f64 v[0:1], v[2:3], v[2:3]
	v_max_f64 v[0:1], v[0:1], v[6:7]
	global_atomic_cmpswap_x2 v[0:1], v8, v[0:3], s[44:45] glc
	s_waitcnt vmcnt(0)
	v_cmp_eq_u64_e64 s0, v[0:1], v[2:3]
	v_mov_b32_e32 v3, v1
	v_mov_b32_e32 v2, v0
	s_or_b32 s2, s0, s2
	s_andn2_b32 exec_lo, exec_lo, s2
	s_cbranch_execnz .LBB21_177
; %bb.178:
	s_or_b32 exec_lo, exec_lo, s2
.LBB21_179:
	s_or_b32 exec_lo, exec_lo, s1
	s_and_b32 s0, vcc_lo, s14
	s_and_saveexec_b32 s1, s0
	s_cbranch_execz .LBB21_185
; %bb.180:
	v_mov_b32_e32 v0, 0
	v_mov_b32_e32 v1, 0x7ff80000
	s_mov_b32 s0, exec_lo
.LBB21_181:                             ; =>This Inner Loop Header: Depth=1
	s_ff1_i32_b32 s1, s0
	v_max_f64 v[0:1], v[0:1], v[0:1]
	v_readlane_b32 s3, v5, s1
	v_readlane_b32 s2, v4, s1
	s_lshl_b32 s1, 1, s1
	s_andn2_b32 s0, s0, s1
	v_max_f64 v[2:3], s[2:3], s[2:3]
	s_cmp_lg_u32 s0, 0
	v_max_f64 v[0:1], v[0:1], v[2:3]
	s_cbranch_scc1 .LBB21_181
; %bb.182:
	v_mbcnt_lo_u32_b32 v2, exec_lo, 0
	s_mov_b32 s0, 0
	s_mov_b32 s1, exec_lo
	v_cmpx_eq_u32_e32 0, v2
	s_xor_b32 s1, exec_lo, s1
	s_cbranch_execz .LBB21_185
; %bb.183:
	v_mov_b32_e32 v6, 0
	v_max_f64 v[4:5], v[0:1], v[0:1]
	global_load_dwordx2 v[2:3], v6, s[46:47]
.LBB21_184:                             ; =>This Inner Loop Header: Depth=1
	s_waitcnt vmcnt(0)
	v_max_f64 v[0:1], v[2:3], v[2:3]
	v_max_f64 v[0:1], v[0:1], v[4:5]
	global_atomic_cmpswap_x2 v[0:1], v6, v[0:3], s[46:47] glc
	s_waitcnt vmcnt(0)
	v_cmp_eq_u64_e32 vcc_lo, v[0:1], v[2:3]
	v_mov_b32_e32 v3, v1
	v_mov_b32_e32 v2, v0
	s_or_b32 s0, vcc_lo, s0
	s_andn2_b32 exec_lo, exec_lo, s0
	s_cbranch_execnz .LBB21_184
.LBB21_185:
	s_endpgm
	.section	.rodata,"a",@progbits
	.p2align	6, 0x0
	.amdhsa_kernel _ZN9rocsparseL6kernelILi1024ELi1EdiiEEvbbbT3_PS1_NS_15floating_traitsIT1_E6data_tES1_T2_PKS7_S9_PKS1_PKS4_21rocsparse_index_base_S9_S9_SB_PS4_SF_SE_S9_S9_SB_SF_SF_SE_SF_SF_PS6_SG_PKS6_
		.amdhsa_group_segment_fixed_size 12288
		.amdhsa_private_segment_fixed_size 0
		.amdhsa_kernarg_size 208
		.amdhsa_user_sgpr_count 6
		.amdhsa_user_sgpr_private_segment_buffer 1
		.amdhsa_user_sgpr_dispatch_ptr 0
		.amdhsa_user_sgpr_queue_ptr 0
		.amdhsa_user_sgpr_kernarg_segment_ptr 1
		.amdhsa_user_sgpr_dispatch_id 0
		.amdhsa_user_sgpr_flat_scratch_init 0
		.amdhsa_user_sgpr_private_segment_size 0
		.amdhsa_wavefront_size32 1
		.amdhsa_uses_dynamic_stack 0
		.amdhsa_system_sgpr_private_segment_wavefront_offset 0
		.amdhsa_system_sgpr_workgroup_id_x 1
		.amdhsa_system_sgpr_workgroup_id_y 0
		.amdhsa_system_sgpr_workgroup_id_z 0
		.amdhsa_system_sgpr_workgroup_info 0
		.amdhsa_system_vgpr_workitem_id 0
		.amdhsa_next_free_vgpr 40
		.amdhsa_next_free_sgpr 79
		.amdhsa_reserve_vcc 1
		.amdhsa_reserve_flat_scratch 0
		.amdhsa_float_round_mode_32 0
		.amdhsa_float_round_mode_16_64 0
		.amdhsa_float_denorm_mode_32 3
		.amdhsa_float_denorm_mode_16_64 3
		.amdhsa_dx10_clamp 1
		.amdhsa_ieee_mode 1
		.amdhsa_fp16_overflow 0
		.amdhsa_workgroup_processor_mode 1
		.amdhsa_memory_ordered 1
		.amdhsa_forward_progress 1
		.amdhsa_shared_vgpr_count 0
		.amdhsa_exception_fp_ieee_invalid_op 0
		.amdhsa_exception_fp_denorm_src 0
		.amdhsa_exception_fp_ieee_div_zero 0
		.amdhsa_exception_fp_ieee_overflow 0
		.amdhsa_exception_fp_ieee_underflow 0
		.amdhsa_exception_fp_ieee_inexact 0
		.amdhsa_exception_int_div_zero 0
	.end_amdhsa_kernel
	.section	.text._ZN9rocsparseL6kernelILi1024ELi1EdiiEEvbbbT3_PS1_NS_15floating_traitsIT1_E6data_tES1_T2_PKS7_S9_PKS1_PKS4_21rocsparse_index_base_S9_S9_SB_PS4_SF_SE_S9_S9_SB_SF_SF_SE_SF_SF_PS6_SG_PKS6_,"axG",@progbits,_ZN9rocsparseL6kernelILi1024ELi1EdiiEEvbbbT3_PS1_NS_15floating_traitsIT1_E6data_tES1_T2_PKS7_S9_PKS1_PKS4_21rocsparse_index_base_S9_S9_SB_PS4_SF_SE_S9_S9_SB_SF_SF_SE_SF_SF_PS6_SG_PKS6_,comdat
.Lfunc_end21:
	.size	_ZN9rocsparseL6kernelILi1024ELi1EdiiEEvbbbT3_PS1_NS_15floating_traitsIT1_E6data_tES1_T2_PKS7_S9_PKS1_PKS4_21rocsparse_index_base_S9_S9_SB_PS4_SF_SE_S9_S9_SB_SF_SF_SE_SF_SF_PS6_SG_PKS6_, .Lfunc_end21-_ZN9rocsparseL6kernelILi1024ELi1EdiiEEvbbbT3_PS1_NS_15floating_traitsIT1_E6data_tES1_T2_PKS7_S9_PKS1_PKS4_21rocsparse_index_base_S9_S9_SB_PS4_SF_SE_S9_S9_SB_SF_SF_SE_SF_SF_PS6_SG_PKS6_
                                        ; -- End function
	.set _ZN9rocsparseL6kernelILi1024ELi1EdiiEEvbbbT3_PS1_NS_15floating_traitsIT1_E6data_tES1_T2_PKS7_S9_PKS1_PKS4_21rocsparse_index_base_S9_S9_SB_PS4_SF_SE_S9_S9_SB_SF_SF_SE_SF_SF_PS6_SG_PKS6_.num_vgpr, 40
	.set _ZN9rocsparseL6kernelILi1024ELi1EdiiEEvbbbT3_PS1_NS_15floating_traitsIT1_E6data_tES1_T2_PKS7_S9_PKS1_PKS4_21rocsparse_index_base_S9_S9_SB_PS4_SF_SE_S9_S9_SB_SF_SF_SE_SF_SF_PS6_SG_PKS6_.num_agpr, 0
	.set _ZN9rocsparseL6kernelILi1024ELi1EdiiEEvbbbT3_PS1_NS_15floating_traitsIT1_E6data_tES1_T2_PKS7_S9_PKS1_PKS4_21rocsparse_index_base_S9_S9_SB_PS4_SF_SE_S9_S9_SB_SF_SF_SE_SF_SF_PS6_SG_PKS6_.numbered_sgpr, 79
	.set _ZN9rocsparseL6kernelILi1024ELi1EdiiEEvbbbT3_PS1_NS_15floating_traitsIT1_E6data_tES1_T2_PKS7_S9_PKS1_PKS4_21rocsparse_index_base_S9_S9_SB_PS4_SF_SE_S9_S9_SB_SF_SF_SE_SF_SF_PS6_SG_PKS6_.num_named_barrier, 0
	.set _ZN9rocsparseL6kernelILi1024ELi1EdiiEEvbbbT3_PS1_NS_15floating_traitsIT1_E6data_tES1_T2_PKS7_S9_PKS1_PKS4_21rocsparse_index_base_S9_S9_SB_PS4_SF_SE_S9_S9_SB_SF_SF_SE_SF_SF_PS6_SG_PKS6_.private_seg_size, 0
	.set _ZN9rocsparseL6kernelILi1024ELi1EdiiEEvbbbT3_PS1_NS_15floating_traitsIT1_E6data_tES1_T2_PKS7_S9_PKS1_PKS4_21rocsparse_index_base_S9_S9_SB_PS4_SF_SE_S9_S9_SB_SF_SF_SE_SF_SF_PS6_SG_PKS6_.uses_vcc, 1
	.set _ZN9rocsparseL6kernelILi1024ELi1EdiiEEvbbbT3_PS1_NS_15floating_traitsIT1_E6data_tES1_T2_PKS7_S9_PKS1_PKS4_21rocsparse_index_base_S9_S9_SB_PS4_SF_SE_S9_S9_SB_SF_SF_SE_SF_SF_PS6_SG_PKS6_.uses_flat_scratch, 0
	.set _ZN9rocsparseL6kernelILi1024ELi1EdiiEEvbbbT3_PS1_NS_15floating_traitsIT1_E6data_tES1_T2_PKS7_S9_PKS1_PKS4_21rocsparse_index_base_S9_S9_SB_PS4_SF_SE_S9_S9_SB_SF_SF_SE_SF_SF_PS6_SG_PKS6_.has_dyn_sized_stack, 0
	.set _ZN9rocsparseL6kernelILi1024ELi1EdiiEEvbbbT3_PS1_NS_15floating_traitsIT1_E6data_tES1_T2_PKS7_S9_PKS1_PKS4_21rocsparse_index_base_S9_S9_SB_PS4_SF_SE_S9_S9_SB_SF_SF_SE_SF_SF_PS6_SG_PKS6_.has_recursion, 0
	.set _ZN9rocsparseL6kernelILi1024ELi1EdiiEEvbbbT3_PS1_NS_15floating_traitsIT1_E6data_tES1_T2_PKS7_S9_PKS1_PKS4_21rocsparse_index_base_S9_S9_SB_PS4_SF_SE_S9_S9_SB_SF_SF_SE_SF_SF_PS6_SG_PKS6_.has_indirect_call, 0
	.section	.AMDGPU.csdata,"",@progbits
; Kernel info:
; codeLenInByte = 6512
; TotalNumSgprs: 81
; NumVgprs: 40
; ScratchSize: 0
; MemoryBound: 1
; FloatMode: 240
; IeeeMode: 1
; LDSByteSize: 12288 bytes/workgroup (compile time only)
; SGPRBlocks: 0
; VGPRBlocks: 4
; NumSGPRsForWavesPerEU: 81
; NumVGPRsForWavesPerEU: 40
; Occupancy: 16
; WaveLimiterHint : 1
; COMPUTE_PGM_RSRC2:SCRATCH_EN: 0
; COMPUTE_PGM_RSRC2:USER_SGPR: 6
; COMPUTE_PGM_RSRC2:TRAP_HANDLER: 0
; COMPUTE_PGM_RSRC2:TGID_X_EN: 1
; COMPUTE_PGM_RSRC2:TGID_Y_EN: 0
; COMPUTE_PGM_RSRC2:TGID_Z_EN: 0
; COMPUTE_PGM_RSRC2:TIDIG_COMP_CNT: 0
	.section	.text._ZN9rocsparseL6kernelILi1024ELi2EdiiEEvbbbT3_PS1_NS_15floating_traitsIT1_E6data_tES1_T2_PKS7_S9_PKS1_PKS4_21rocsparse_index_base_S9_S9_SB_PS4_SF_SE_S9_S9_SB_SF_SF_SE_SF_SF_PS6_SG_PKS6_,"axG",@progbits,_ZN9rocsparseL6kernelILi1024ELi2EdiiEEvbbbT3_PS1_NS_15floating_traitsIT1_E6data_tES1_T2_PKS7_S9_PKS1_PKS4_21rocsparse_index_base_S9_S9_SB_PS4_SF_SE_S9_S9_SB_SF_SF_SE_SF_SF_PS6_SG_PKS6_,comdat
	.globl	_ZN9rocsparseL6kernelILi1024ELi2EdiiEEvbbbT3_PS1_NS_15floating_traitsIT1_E6data_tES1_T2_PKS7_S9_PKS1_PKS4_21rocsparse_index_base_S9_S9_SB_PS4_SF_SE_S9_S9_SB_SF_SF_SE_SF_SF_PS6_SG_PKS6_ ; -- Begin function _ZN9rocsparseL6kernelILi1024ELi2EdiiEEvbbbT3_PS1_NS_15floating_traitsIT1_E6data_tES1_T2_PKS7_S9_PKS1_PKS4_21rocsparse_index_base_S9_S9_SB_PS4_SF_SE_S9_S9_SB_SF_SF_SE_SF_SF_PS6_SG_PKS6_
	.p2align	8
	.type	_ZN9rocsparseL6kernelILi1024ELi2EdiiEEvbbbT3_PS1_NS_15floating_traitsIT1_E6data_tES1_T2_PKS7_S9_PKS1_PKS4_21rocsparse_index_base_S9_S9_SB_PS4_SF_SE_S9_S9_SB_SF_SF_SE_SF_SF_PS6_SG_PKS6_,@function
_ZN9rocsparseL6kernelILi1024ELi2EdiiEEvbbbT3_PS1_NS_15floating_traitsIT1_E6data_tES1_T2_PKS7_S9_PKS1_PKS4_21rocsparse_index_base_S9_S9_SB_PS4_SF_SE_S9_S9_SB_SF_SF_SE_SF_SF_PS6_SG_PKS6_: ; @_ZN9rocsparseL6kernelILi1024ELi2EdiiEEvbbbT3_PS1_NS_15floating_traitsIT1_E6data_tES1_T2_PKS7_S9_PKS1_PKS4_21rocsparse_index_base_S9_S9_SB_PS4_SF_SE_S9_S9_SB_SF_SF_SE_SF_SF_PS6_SG_PKS6_
; %bb.0:
	s_clause 0x4
	s_load_dword s0, s[4:5], 0x0
	s_load_dwordx2 s[14:15], s[4:5], 0x0
	s_load_dword s60, s[4:5], 0x18
	s_load_dwordx4 s[48:51], s[4:5], 0x8
	s_load_dwordx4 s[44:47], s[4:5], 0xb8
	v_lshrrev_b32_e32 v26, 1, v0
	v_mov_b32_e32 v3, 0
	v_lshlrev_b32_e32 v28, 3, v0
	v_mov_b32_e32 v1, 0
	v_and_b32_e32 v27, 1, v0
	v_mov_b32_e32 v2, 0
	v_mov_b32_e32 v4, v3
	v_mbcnt_lo_u32_b32 v29, -1, 0
	s_mov_b32 s62, 0
	ds_write_b64 v28, v[3:4]
	v_mov_b32_e32 v4, 0
	v_mov_b32_e32 v5, 0
	s_waitcnt lgkmcnt(0)
	s_bitcmp1_b32 s0, 0
	s_barrier
	s_cselect_b32 s61, -1, 0
	s_bitcmp1_b32 s0, 8
	buffer_gl0_inv
	s_cselect_b32 s33, -1, 0
	s_bitcmp1_b32 s14, 16
	s_cselect_b32 s14, -1, 0
	s_lshl_b32 s67, s6, 10
	s_cmp_gt_i32 s15, 0
	v_or_b32_e32 v30, s67, v26
	s_cselect_b32 s0, -1, 0
	v_cmp_gt_i32_e32 vcc_lo, s60, v30
	s_and_b32 s0, s0, vcc_lo
	s_and_saveexec_b32 s63, s0
	s_cbranch_execnz .LBB22_3
; %bb.1:
	s_or_b32 exec_lo, exec_lo, s63
	s_andn2_b32 vcc_lo, exec_lo, s61
	s_cbranch_vccz .LBB22_154
.LBB22_2:
	v_cmp_eq_u32_e32 vcc_lo, 0, v0
	s_and_b32 s0, vcc_lo, s33
	s_and_saveexec_b32 s1, s0
	s_cbranch_execnz .LBB22_178
	s_branch .LBB22_184
.LBB22_3:
	s_clause 0x9
	s_load_dword s64, s[4:5], 0x40
	s_load_dwordx2 s[34:35], s[4:5], 0xc8
	s_load_dwordx4 s[52:55], s[4:5], 0xa8
	s_load_dwordx2 s[56:57], s[4:5], 0x68
	s_load_dword s65, s[4:5], 0x70
	s_load_dwordx2 s[58:59], s[4:5], 0x98
	s_load_dword s66, s[4:5], 0xa0
	s_load_dwordx8 s[16:23], s[4:5], 0x78
	s_load_dwordx8 s[24:31], s[4:5], 0x48
	;; [unrolled: 1-line block ×3, first 2 shown]
	s_addk_i32 s67, 0x400
	v_mov_b32_e32 v1, 0
	v_mov_b32_e32 v4, 0
	v_cmp_eq_u32_e64 s0, 0, v27
	v_cmp_ne_u32_e64 s1, 0, v27
	v_lshlrev_b32_e32 v31, 3, v26
	v_cmp_gt_u32_e64 s2, 0x100, v0
	v_cmp_gt_u32_e64 s3, 0x80, v0
	;; [unrolled: 1-line block ×6, first 2 shown]
	s_waitcnt lgkmcnt(0)
	v_subrev_nc_u32_e32 v32, s64, v27
	v_cmp_gt_u32_e64 s8, 8, v0
	v_cmp_gt_u32_e64 s9, 4, v0
	;; [unrolled: 1-line block ×3, first 2 shown]
	v_cmp_eq_u32_e64 s11, 0, v0
	v_subrev_nc_u32_e32 v33, s65, v27
	v_subrev_nc_u32_e32 v34, s66, v27
	v_mov_b32_e32 v2, 0
	v_mov_b32_e32 v5, 0
	;; [unrolled: 1-line block ×3, first 2 shown]
	s_and_b32 s12, s33, s14
	s_xor_b32 s68, s33, -1
	s_xor_b32 s69, s12, -1
	s_mov_b32 s70, 0
	s_branch .LBB22_5
.LBB22_4:                               ;   in Loop: Header=BB22_5 Depth=1
	s_or_b32 exec_lo, exec_lo, s12
	s_and_b32 s12, exec_lo, s13
	s_or_b32 s62, s12, s62
	s_andn2_b32 exec_lo, exec_lo, s62
	s_cbranch_execz .LBB22_153
.LBB22_5:                               ; =>This Loop Header: Depth=1
                                        ;     Child Loop BB22_9 Depth 2
                                        ;       Child Loop BB22_14 Depth 3
                                        ;         Child Loop BB22_18 Depth 4
                                        ;         Child Loop BB22_39 Depth 4
                                        ;         Child Loop BB22_53 Depth 4
                                        ;         Child Loop BB22_72 Depth 4
                                        ;         Child Loop BB22_80 Depth 4
                                        ;     Child Loop BB22_132 Depth 2
                                        ;       Child Loop BB22_135 Depth 3
                                        ;       Child Loop BB22_138 Depth 3
	v_cndmask_b32_e64 v2, v2, 0, s33
	v_cndmask_b32_e64 v1, v1, 0, s33
	;; [unrolled: 1-line block ×4, first 2 shown]
	s_mov_b32 s12, 0
	s_mov_b32 s71, -1
	s_branch .LBB22_9
.LBB22_6:                               ;   in Loop: Header=BB22_9 Depth=2
	s_or_b32 exec_lo, exec_lo, s74
.LBB22_7:                               ;   in Loop: Header=BB22_9 Depth=2
	s_or_b32 exec_lo, exec_lo, s73
.LBB22_8:                               ;   in Loop: Header=BB22_9 Depth=2
	s_or_b32 exec_lo, exec_lo, s72
	s_xor_b32 s13, s71, -1
	s_movk_i32 s12, 0x200
	s_and_b32 vcc_lo, exec_lo, s13
	s_mov_b32 s71, 0
	s_cbranch_vccnz .LBB22_85
.LBB22_9:                               ;   Parent Loop BB22_5 Depth=1
                                        ; =>  This Loop Header: Depth=2
                                        ;       Child Loop BB22_14 Depth 3
                                        ;         Child Loop BB22_18 Depth 4
                                        ;         Child Loop BB22_39 Depth 4
	;; [unrolled: 1-line block ×5, first 2 shown]
	v_or_b32_e32 v8, s12, v30
	s_mov_b32 s72, exec_lo
	v_cmpx_gt_i32_e64 s60, v8
	s_cbranch_execz .LBB22_8
; %bb.10:                               ;   in Loop: Header=BB22_9 Depth=2
	v_ashrrev_i32_e32 v9, 31, v8
	s_mov_b32 s73, exec_lo
	v_lshlrev_b64 v[10:11], 2, v[8:9]
	v_add_co_u32 v12, vcc_lo, s36, v10
	v_add_co_ci_u32_e64 v13, null, s37, v11, vcc_lo
	v_add_co_u32 v14, vcc_lo, s38, v10
	v_add_co_ci_u32_e64 v15, null, s39, v11, vcc_lo
	global_load_dword v3, v[12:13], off
	global_load_dword v6, v[14:15], off
	s_waitcnt vmcnt(1)
	v_add_nc_u32_e32 v9, v32, v3
	s_waitcnt vmcnt(0)
	v_subrev_nc_u32_e32 v3, s64, v6
	v_cmpx_lt_i32_e64 v9, v3
	s_cbranch_execz .LBB22_7
; %bb.11:                               ;   in Loop: Header=BB22_9 Depth=2
	v_add_co_u32 v12, vcc_lo, s24, v10
	v_add_co_ci_u32_e64 v13, null, s25, v11, vcc_lo
	v_add_co_u32 v10, vcc_lo, s26, v10
	v_add_co_ci_u32_e64 v11, null, s27, v11, vcc_lo
	global_load_dword v6, v[12:13], off
	s_mov_b32 s74, 0
	global_load_dword v10, v[10:11], off
	s_waitcnt vmcnt(1)
	v_subrev_nc_u32_e32 v11, s65, v6
	s_waitcnt vmcnt(0)
	v_sub_nc_u32_e32 v35, v10, v6
	v_ashrrev_i32_e32 v12, 31, v11
	v_cmp_lt_i32_e64 s12, 0, v35
	v_lshlrev_b64 v[13:14], 2, v[11:12]
	v_lshlrev_b64 v[15:16], 3, v[11:12]
	v_add_co_u32 v36, vcc_lo, s28, v13
	v_add_co_ci_u32_e64 v37, null, s29, v14, vcc_lo
	v_add_co_u32 v38, vcc_lo, s30, v15
	v_add_co_ci_u32_e64 v39, null, s31, v16, vcc_lo
	s_branch .LBB22_14
.LBB22_12:                              ;   in Loop: Header=BB22_14 Depth=3
	s_or_b32 exec_lo, exec_lo, s75
.LBB22_13:                              ;   in Loop: Header=BB22_14 Depth=3
	s_or_b32 exec_lo, exec_lo, s13
	v_add_nc_u32_e32 v9, 2, v9
	v_cmp_ge_i32_e32 vcc_lo, v9, v3
	s_or_b32 s74, vcc_lo, s74
	s_andn2_b32 exec_lo, exec_lo, s74
	s_cbranch_execz .LBB22_6
.LBB22_14:                              ;   Parent Loop BB22_5 Depth=1
                                        ;     Parent Loop BB22_9 Depth=2
                                        ; =>    This Loop Header: Depth=3
                                        ;         Child Loop BB22_18 Depth 4
                                        ;         Child Loop BB22_39 Depth 4
                                        ;         Child Loop BB22_53 Depth 4
                                        ;         Child Loop BB22_72 Depth 4
                                        ;         Child Loop BB22_80 Depth 4
	v_ashrrev_i32_e32 v10, 31, v9
	v_mov_b32_e32 v19, 0
	v_lshlrev_b64 v[12:13], 2, v[9:10]
	v_add_co_u32 v12, vcc_lo, s40, v12
	v_add_co_ci_u32_e64 v13, null, s41, v13, vcc_lo
	global_load_dword v6, v[12:13], off
	s_waitcnt vmcnt(0)
	v_subrev_nc_u32_e32 v12, s64, v6
	v_ashrrev_i32_e32 v13, 31, v12
	v_lshlrev_b64 v[14:15], 2, v[12:13]
	v_add_co_u32 v16, vcc_lo, s16, v14
	v_add_co_ci_u32_e64 v17, null, s17, v15, vcc_lo
	v_add_co_u32 v14, vcc_lo, s18, v14
	v_add_co_ci_u32_e64 v15, null, s19, v15, vcc_lo
	global_load_dword v6, v[16:17], off
	global_load_dword v16, v[14:15], off
	v_mov_b32_e32 v14, 0
	v_mov_b32_e32 v15, 0
	s_waitcnt vmcnt(1)
	v_subrev_nc_u32_e32 v18, s66, v6
	s_waitcnt vmcnt(0)
	v_sub_nc_u32_e32 v40, v16, v6
	v_mov_b32_e32 v6, v19
	s_and_saveexec_b32 s75, s12
	s_cbranch_execz .LBB22_22
; %bb.15:                               ;   in Loop: Header=BB22_14 Depth=3
	v_ashrrev_i32_e32 v19, 31, v18
	v_mov_b32_e32 v14, 0
	v_mov_b32_e32 v15, 0
	;; [unrolled: 1-line block ×3, first 2 shown]
	s_mov_b32 s76, 0
	v_lshlrev_b64 v[16:17], 2, v[18:19]
	v_lshlrev_b64 v[19:20], 3, v[18:19]
                                        ; implicit-def: $sgpr77
	v_add_co_u32 v16, vcc_lo, s20, v16
	v_add_co_ci_u32_e64 v17, null, s21, v17, vcc_lo
	v_add_co_u32 v21, vcc_lo, s22, v19
	v_add_co_ci_u32_e64 v22, null, s23, v20, vcc_lo
	v_mov_b32_e32 v19, 0
	s_branch .LBB22_18
.LBB22_16:                              ;   in Loop: Header=BB22_18 Depth=4
	s_or_b32 exec_lo, exec_lo, s13
	v_cmp_le_i32_e32 vcc_lo, v23, v24
	v_cmp_ge_i32_e64 s13, v23, v24
	v_add_co_ci_u32_e64 v6, null, 0, v6, vcc_lo
	v_add_co_ci_u32_e64 v19, null, 0, v19, s13
	s_andn2_b32 s13, s77, exec_lo
	v_cmp_ge_i32_e32 vcc_lo, v6, v35
	s_and_b32 s77, vcc_lo, exec_lo
	s_or_b32 s77, s13, s77
.LBB22_17:                              ;   in Loop: Header=BB22_18 Depth=4
	s_or_b32 exec_lo, exec_lo, s78
	s_and_b32 s13, exec_lo, s77
	s_or_b32 s76, s13, s76
	s_andn2_b32 exec_lo, exec_lo, s76
	s_cbranch_execz .LBB22_21
.LBB22_18:                              ;   Parent Loop BB22_5 Depth=1
                                        ;     Parent Loop BB22_9 Depth=2
                                        ;       Parent Loop BB22_14 Depth=3
                                        ; =>      This Inner Loop Header: Depth=4
	s_or_b32 s77, s77, exec_lo
	s_mov_b32 s78, exec_lo
	v_cmpx_lt_i32_e64 v19, v40
	s_cbranch_execz .LBB22_17
; %bb.19:                               ;   in Loop: Header=BB22_18 Depth=4
	v_mov_b32_e32 v20, v7
	v_lshlrev_b64 v[23:24], 2, v[6:7]
	s_mov_b32 s13, exec_lo
	v_lshlrev_b64 v[41:42], 2, v[19:20]
	v_add_co_u32 v23, vcc_lo, v36, v23
	v_add_co_ci_u32_e64 v24, null, v37, v24, vcc_lo
	v_add_co_u32 v41, vcc_lo, v16, v41
	v_add_co_ci_u32_e64 v42, null, v17, v42, vcc_lo
	global_load_dword v23, v[23:24], off
	global_load_dword v24, v[41:42], off
	s_waitcnt vmcnt(1)
	v_subrev_nc_u32_e32 v23, s65, v23
	s_waitcnt vmcnt(0)
	v_subrev_nc_u32_e32 v24, s66, v24
	v_cmpx_eq_u32_e64 v23, v24
	s_cbranch_execz .LBB22_16
; %bb.20:                               ;   in Loop: Header=BB22_18 Depth=4
	v_lshlrev_b64 v[41:42], 3, v[6:7]
	v_lshlrev_b64 v[43:44], 3, v[19:20]
	v_add_co_u32 v41, vcc_lo, v38, v41
	v_add_co_ci_u32_e64 v42, null, v39, v42, vcc_lo
	v_add_co_u32 v43, vcc_lo, v21, v43
	v_add_co_ci_u32_e64 v44, null, v22, v44, vcc_lo
	global_load_dwordx2 v[41:42], v[41:42], off
	global_load_dwordx2 v[43:44], v[43:44], off
	s_waitcnt vmcnt(0)
	v_fma_f64 v[14:15], v[41:42], v[43:44], v[14:15]
	s_branch .LBB22_16
.LBB22_21:                              ;   in Loop: Header=BB22_14 Depth=3
	s_or_b32 exec_lo, exec_lo, s76
.LBB22_22:                              ;   in Loop: Header=BB22_14 Depth=3
	s_or_b32 exec_lo, exec_lo, s75
	v_lshlrev_b64 v[16:17], 3, v[9:10]
	v_cmp_le_i32_e64 s13, v8, v12
	s_mov_b32 s75, exec_lo
	v_add_co_u32 v16, vcc_lo, s42, v16
	v_add_co_ci_u32_e64 v17, null, s43, v17, vcc_lo
	global_load_dwordx2 v[16:17], v[16:17], off
	s_waitcnt vmcnt(0)
	v_add_f64 v[20:21], v[16:17], -v[14:15]
	v_cmpx_gt_i32_e64 v8, v12
	s_cbranch_execnz .LBB22_25
; %bb.23:                               ;   in Loop: Header=BB22_14 Depth=3
	s_or_b32 exec_lo, exec_lo, s75
	v_cmp_class_f64_e64 s75, v[20:21], 0x1f8
	s_and_saveexec_b32 s76, s75
	s_cbranch_execnz .LBB22_28
.LBB22_24:                              ;   in Loop: Header=BB22_14 Depth=3
	s_or_b32 exec_lo, exec_lo, s76
	s_and_b32 s75, s14, s75
	s_and_saveexec_b32 s13, s75
	s_cbranch_execz .LBB22_13
	s_branch .LBB22_63
.LBB22_25:                              ;   in Loop: Header=BB22_14 Depth=3
	v_lshlrev_b64 v[22:23], 3, v[12:13]
	v_mov_b32_e32 v24, 0
	v_mov_b32_e32 v25, 0
	s_mov_b32 s76, exec_lo
	v_add_co_u32 v22, vcc_lo, s52, v22
	v_add_co_ci_u32_e64 v23, null, s53, v23, vcc_lo
	global_load_dwordx2 v[22:23], v[22:23], off
	s_waitcnt vmcnt(0)
	v_cmpx_lg_f64_e32 0, v[22:23]
	s_cbranch_execz .LBB22_27
; %bb.26:                               ;   in Loop: Header=BB22_14 Depth=3
	v_div_scale_f64 v[24:25], null, v[22:23], v[22:23], v[20:21]
	v_rcp_f64_e32 v[41:42], v[24:25]
	v_fma_f64 v[43:44], -v[24:25], v[41:42], 1.0
	v_fma_f64 v[41:42], v[41:42], v[43:44], v[41:42]
	v_fma_f64 v[43:44], -v[24:25], v[41:42], 1.0
	v_fma_f64 v[41:42], v[41:42], v[43:44], v[41:42]
	v_div_scale_f64 v[43:44], vcc_lo, v[20:21], v[22:23], v[20:21]
	v_mul_f64 v[45:46], v[43:44], v[41:42]
	v_fma_f64 v[24:25], -v[24:25], v[45:46], v[43:44]
	v_div_fmas_f64 v[24:25], v[24:25], v[41:42], v[45:46]
	v_div_fixup_f64 v[24:25], v[24:25], v[22:23], v[20:21]
.LBB22_27:                              ;   in Loop: Header=BB22_14 Depth=3
	s_or_b32 exec_lo, exec_lo, s76
	v_mov_b32_e32 v20, v24
	v_mov_b32_e32 v21, v25
	s_or_b32 exec_lo, exec_lo, s75
	v_cmp_class_f64_e64 s75, v[20:21], 0x1f8
	s_and_saveexec_b32 s76, s75
	s_cbranch_execz .LBB22_24
.LBB22_28:                              ;   in Loop: Header=BB22_14 Depth=3
	s_and_saveexec_b32 s77, s13
	s_xor_b32 s13, exec_lo, s77
	s_cbranch_execz .LBB22_49
; %bb.29:                               ;   in Loop: Header=BB22_14 Depth=3
	s_mov_b32 s77, exec_lo
	v_cmpx_ge_i32_e64 v8, v12
	s_xor_b32 s77, exec_lo, s77
	s_cbranch_execz .LBB22_35
; %bb.30:                               ;   in Loop: Header=BB22_14 Depth=3
	v_lshlrev_b64 v[22:23], 3, v[12:13]
	v_add_co_u32 v24, vcc_lo, s54, v22
	v_add_co_ci_u32_e64 v25, null, s55, v23, vcc_lo
	s_andn2_b32 vcc_lo, exec_lo, s33
	global_store_dwordx2 v[24:25], v[20:21], off
	s_cbranch_vccnz .LBB22_34
; %bb.31:                               ;   in Loop: Header=BB22_14 Depth=3
	v_add_co_u32 v22, vcc_lo, s52, v22
	v_add_co_ci_u32_e64 v23, null, s53, v23, vcc_lo
	global_load_dwordx2 v[22:23], v[22:23], off
	s_waitcnt vmcnt(0)
	v_add_f64 v[20:21], v[22:23], -v[20:21]
	v_cmp_class_f64_e64 s79, v[20:21], 0x1f8
	s_and_saveexec_b32 s78, s79
	s_cbranch_execz .LBB22_33
; %bb.32:                               ;   in Loop: Header=BB22_14 Depth=3
	v_cmp_lt_f64_e64 vcc_lo, v[1:2], |v[20:21]|
	v_and_b32_e32 v10, 0x7fffffff, v21
	v_cndmask_b32_e32 v2, v2, v10, vcc_lo
	v_cndmask_b32_e32 v1, v1, v20, vcc_lo
.LBB22_33:                              ;   in Loop: Header=BB22_14 Depth=3
	s_or_b32 exec_lo, exec_lo, s78
.LBB22_34:                              ;   in Loop: Header=BB22_14 Depth=3
                                        ; implicit-def: $vgpr20_vgpr21
.LBB22_35:                              ;   in Loop: Header=BB22_14 Depth=3
	s_andn2_saveexec_b32 s77, s77
	s_cbranch_execz .LBB22_48
; %bb.36:                               ;   in Loop: Header=BB22_14 Depth=3
	s_mov_b32 s78, exec_lo
	v_cmpx_lt_i32_e64 v19, v40
	s_cbranch_execz .LBB22_47
; %bb.37:                               ;   in Loop: Header=BB22_14 Depth=3
	v_mov_b32_e32 v10, v19
	s_mov_b32 s79, 0
                                        ; implicit-def: $sgpr80
                                        ; implicit-def: $sgpr82
                                        ; implicit-def: $sgpr81
	s_inst_prefetch 0x1
	s_branch .LBB22_39
	.p2align	6
.LBB22_38:                              ;   in Loop: Header=BB22_39 Depth=4
	s_or_b32 exec_lo, exec_lo, s83
	s_and_b32 s83, exec_lo, s82
	s_or_b32 s79, s83, s79
	s_andn2_b32 s80, s80, exec_lo
	s_and_b32 s83, s81, exec_lo
	s_or_b32 s80, s80, s83
	s_andn2_b32 exec_lo, exec_lo, s79
	s_cbranch_execz .LBB22_41
.LBB22_39:                              ;   Parent Loop BB22_5 Depth=1
                                        ;     Parent Loop BB22_9 Depth=2
                                        ;       Parent Loop BB22_14 Depth=3
                                        ; =>      This Inner Loop Header: Depth=4
	v_add_nc_u32_e32 v22, v18, v10
	s_or_b32 s81, s81, exec_lo
	s_or_b32 s82, s82, exec_lo
	s_mov_b32 s83, exec_lo
	v_ashrrev_i32_e32 v23, 31, v22
	v_lshlrev_b64 v[24:25], 2, v[22:23]
	v_add_co_u32 v24, vcc_lo, s20, v24
	v_add_co_ci_u32_e64 v25, null, s21, v25, vcc_lo
	global_load_dword v24, v[24:25], off
	s_waitcnt vmcnt(0)
	v_subrev_nc_u32_e32 v24, s66, v24
	v_cmpx_ne_u32_e64 v24, v8
	s_cbranch_execz .LBB22_38
; %bb.40:                               ;   in Loop: Header=BB22_39 Depth=4
	v_add_nc_u32_e32 v10, 1, v10
	s_andn2_b32 s82, s82, exec_lo
	s_andn2_b32 s81, s81, exec_lo
	v_cmp_ge_i32_e32 vcc_lo, v10, v40
	s_and_b32 s84, vcc_lo, exec_lo
	s_or_b32 s82, s82, s84
	s_branch .LBB22_38
.LBB22_41:                              ;   in Loop: Header=BB22_14 Depth=3
	s_inst_prefetch 0x2
	s_or_b32 exec_lo, exec_lo, s79
	s_and_saveexec_b32 s79, s80
	s_xor_b32 s79, exec_lo, s79
	s_cbranch_execz .LBB22_46
; %bb.42:                               ;   in Loop: Header=BB22_14 Depth=3
	v_lshlrev_b64 v[22:23], 3, v[22:23]
	v_add_co_u32 v24, vcc_lo, s58, v22
	v_add_co_ci_u32_e64 v25, null, s59, v23, vcc_lo
	s_andn2_b32 vcc_lo, exec_lo, s33
	global_store_dwordx2 v[24:25], v[20:21], off
	s_cbranch_vccnz .LBB22_46
; %bb.43:                               ;   in Loop: Header=BB22_14 Depth=3
	v_add_co_u32 v22, vcc_lo, s22, v22
	v_add_co_ci_u32_e64 v23, null, s23, v23, vcc_lo
	global_load_dwordx2 v[22:23], v[22:23], off
	s_waitcnt vmcnt(0)
	v_add_f64 v[20:21], v[22:23], -v[20:21]
	v_cmp_class_f64_e64 s81, v[20:21], 0x1f8
	s_and_saveexec_b32 s80, s81
	s_cbranch_execz .LBB22_45
; %bb.44:                               ;   in Loop: Header=BB22_14 Depth=3
	v_cmp_lt_f64_e64 vcc_lo, v[1:2], |v[20:21]|
	v_and_b32_e32 v10, 0x7fffffff, v21
	v_cndmask_b32_e32 v2, v2, v10, vcc_lo
	v_cndmask_b32_e32 v1, v1, v20, vcc_lo
.LBB22_45:                              ;   in Loop: Header=BB22_14 Depth=3
	s_or_b32 exec_lo, exec_lo, s80
.LBB22_46:                              ;   in Loop: Header=BB22_14 Depth=3
	s_or_b32 exec_lo, exec_lo, s79
.LBB22_47:                              ;   in Loop: Header=BB22_14 Depth=3
	s_or_b32 exec_lo, exec_lo, s78
.LBB22_48:                              ;   in Loop: Header=BB22_14 Depth=3
	s_or_b32 exec_lo, exec_lo, s77
                                        ; implicit-def: $vgpr20_vgpr21
.LBB22_49:                              ;   in Loop: Header=BB22_14 Depth=3
	s_andn2_saveexec_b32 s13, s13
	s_cbranch_execz .LBB22_62
; %bb.50:                               ;   in Loop: Header=BB22_14 Depth=3
	s_mov_b32 s77, exec_lo
	v_cmpx_lt_i32_e64 v6, v35
	s_cbranch_execz .LBB22_61
; %bb.51:                               ;   in Loop: Header=BB22_14 Depth=3
	v_mov_b32_e32 v10, v6
	s_mov_b32 s78, 0
                                        ; implicit-def: $sgpr79
                                        ; implicit-def: $sgpr81
                                        ; implicit-def: $sgpr80
	s_inst_prefetch 0x1
	s_branch .LBB22_53
	.p2align	6
.LBB22_52:                              ;   in Loop: Header=BB22_53 Depth=4
	s_or_b32 exec_lo, exec_lo, s82
	s_and_b32 s82, exec_lo, s81
	s_or_b32 s78, s82, s78
	s_andn2_b32 s79, s79, exec_lo
	s_and_b32 s82, s80, exec_lo
	s_or_b32 s79, s79, s82
	s_andn2_b32 exec_lo, exec_lo, s78
	s_cbranch_execz .LBB22_55
.LBB22_53:                              ;   Parent Loop BB22_5 Depth=1
                                        ;     Parent Loop BB22_9 Depth=2
                                        ;       Parent Loop BB22_14 Depth=3
                                        ; =>      This Inner Loop Header: Depth=4
	v_add_nc_u32_e32 v22, v11, v10
	s_or_b32 s80, s80, exec_lo
	s_or_b32 s81, s81, exec_lo
	s_mov_b32 s82, exec_lo
	v_ashrrev_i32_e32 v23, 31, v22
	v_lshlrev_b64 v[24:25], 2, v[22:23]
	v_add_co_u32 v24, vcc_lo, s28, v24
	v_add_co_ci_u32_e64 v25, null, s29, v25, vcc_lo
	global_load_dword v24, v[24:25], off
	s_waitcnt vmcnt(0)
	v_subrev_nc_u32_e32 v24, s65, v24
	v_cmpx_ne_u32_e64 v24, v12
	s_cbranch_execz .LBB22_52
; %bb.54:                               ;   in Loop: Header=BB22_53 Depth=4
	v_add_nc_u32_e32 v10, 1, v10
	s_andn2_b32 s81, s81, exec_lo
	s_andn2_b32 s80, s80, exec_lo
	v_cmp_ge_i32_e32 vcc_lo, v10, v35
	s_and_b32 s83, vcc_lo, exec_lo
	s_or_b32 s81, s81, s83
	s_branch .LBB22_52
.LBB22_55:                              ;   in Loop: Header=BB22_14 Depth=3
	s_inst_prefetch 0x2
	s_or_b32 exec_lo, exec_lo, s78
	s_and_saveexec_b32 s78, s79
	s_xor_b32 s78, exec_lo, s78
	s_cbranch_execz .LBB22_60
; %bb.56:                               ;   in Loop: Header=BB22_14 Depth=3
	v_lshlrev_b64 v[22:23], 3, v[22:23]
	v_add_co_u32 v24, vcc_lo, s56, v22
	v_add_co_ci_u32_e64 v25, null, s57, v23, vcc_lo
	s_andn2_b32 vcc_lo, exec_lo, s33
	global_store_dwordx2 v[24:25], v[20:21], off
	s_cbranch_vccnz .LBB22_60
; %bb.57:                               ;   in Loop: Header=BB22_14 Depth=3
	v_add_co_u32 v22, vcc_lo, s30, v22
	v_add_co_ci_u32_e64 v23, null, s31, v23, vcc_lo
	global_load_dwordx2 v[22:23], v[22:23], off
	s_waitcnt vmcnt(0)
	v_add_f64 v[20:21], v[22:23], -v[20:21]
	v_cmp_class_f64_e64 s80, v[20:21], 0x1f8
	s_and_saveexec_b32 s79, s80
	s_cbranch_execz .LBB22_59
; %bb.58:                               ;   in Loop: Header=BB22_14 Depth=3
	v_cmp_lt_f64_e64 vcc_lo, v[1:2], |v[20:21]|
	v_and_b32_e32 v10, 0x7fffffff, v21
	v_cndmask_b32_e32 v2, v2, v10, vcc_lo
	v_cndmask_b32_e32 v1, v1, v20, vcc_lo
.LBB22_59:                              ;   in Loop: Header=BB22_14 Depth=3
	s_or_b32 exec_lo, exec_lo, s79
.LBB22_60:                              ;   in Loop: Header=BB22_14 Depth=3
	s_or_b32 exec_lo, exec_lo, s78
.LBB22_61:                              ;   in Loop: Header=BB22_14 Depth=3
	s_or_b32 exec_lo, exec_lo, s77
.LBB22_62:                              ;   in Loop: Header=BB22_14 Depth=3
	s_or_b32 exec_lo, exec_lo, s13
	s_or_b32 exec_lo, exec_lo, s76
	s_and_b32 s75, s14, s75
	s_and_saveexec_b32 s13, s75
	s_cbranch_execz .LBB22_13
.LBB22_63:                              ;   in Loop: Header=BB22_14 Depth=3
	s_mov_b32 s75, exec_lo
	v_cmpx_ge_i32_e64 v19, v40
	s_xor_b32 s75, exec_lo, s75
	s_cbranch_execnz .LBB22_69
; %bb.64:                               ;   in Loop: Header=BB22_14 Depth=3
	s_andn2_saveexec_b32 s75, s75
	s_cbranch_execnz .LBB22_78
.LBB22_65:                              ;   in Loop: Header=BB22_14 Depth=3
	s_or_b32 exec_lo, exec_lo, s75
	s_mov_b32 s75, exec_lo
	v_cmpx_eq_u32_e64 v8, v12
	s_cbranch_execz .LBB22_67
.LBB22_66:                              ;   in Loop: Header=BB22_14 Depth=3
	v_lshlrev_b64 v[12:13], 3, v[12:13]
	v_add_co_u32 v12, vcc_lo, s52, v12
	v_add_co_ci_u32_e64 v13, null, s53, v13, vcc_lo
	global_load_dwordx2 v[12:13], v[12:13], off
	s_waitcnt vmcnt(0)
	v_add_f64 v[14:15], v[14:15], v[12:13]
.LBB22_67:                              ;   in Loop: Header=BB22_14 Depth=3
	s_or_b32 exec_lo, exec_lo, s75
	v_add_f64 v[12:13], v[16:17], -v[14:15]
	v_cmp_class_f64_e64 s76, v[12:13], 0x1f8
	s_and_saveexec_b32 s75, s76
	s_cbranch_execz .LBB22_12
; %bb.68:                               ;   in Loop: Header=BB22_14 Depth=3
	v_cmp_lt_f64_e64 vcc_lo, v[4:5], |v[12:13]|
	v_and_b32_e32 v6, 0x7fffffff, v13
	v_cndmask_b32_e32 v5, v5, v6, vcc_lo
	v_cndmask_b32_e32 v4, v4, v12, vcc_lo
	s_branch .LBB22_12
.LBB22_69:                              ;   in Loop: Header=BB22_14 Depth=3
	s_mov_b32 s76, exec_lo
	v_cmpx_lt_i32_e64 v6, v35
	s_cbranch_execz .LBB22_77
; %bb.70:                               ;   in Loop: Header=BB22_14 Depth=3
	s_mov_b32 s77, 0
                                        ; implicit-def: $sgpr78
                                        ; implicit-def: $sgpr80
                                        ; implicit-def: $sgpr79
	s_inst_prefetch 0x1
	s_branch .LBB22_72
	.p2align	6
.LBB22_71:                              ;   in Loop: Header=BB22_72 Depth=4
	s_or_b32 exec_lo, exec_lo, s81
	s_and_b32 s81, exec_lo, s80
	s_or_b32 s77, s81, s77
	s_andn2_b32 s78, s78, exec_lo
	s_and_b32 s81, s79, exec_lo
	s_or_b32 s78, s78, s81
	s_andn2_b32 exec_lo, exec_lo, s77
	s_cbranch_execz .LBB22_74
.LBB22_72:                              ;   Parent Loop BB22_5 Depth=1
                                        ;     Parent Loop BB22_9 Depth=2
                                        ;       Parent Loop BB22_14 Depth=3
                                        ; =>      This Inner Loop Header: Depth=4
	v_add_nc_u32_e32 v18, v11, v6
	s_or_b32 s79, s79, exec_lo
	s_or_b32 s80, s80, exec_lo
	s_mov_b32 s81, exec_lo
	v_ashrrev_i32_e32 v19, 31, v18
	v_lshlrev_b64 v[20:21], 2, v[18:19]
	v_add_co_u32 v20, vcc_lo, s28, v20
	v_add_co_ci_u32_e64 v21, null, s29, v21, vcc_lo
	global_load_dword v10, v[20:21], off
	s_waitcnt vmcnt(0)
	v_subrev_nc_u32_e32 v10, s65, v10
	v_cmpx_ne_u32_e64 v10, v12
	s_cbranch_execz .LBB22_71
; %bb.73:                               ;   in Loop: Header=BB22_72 Depth=4
	v_add_nc_u32_e32 v6, 1, v6
	s_andn2_b32 s80, s80, exec_lo
	s_andn2_b32 s79, s79, exec_lo
	v_cmp_ge_i32_e32 vcc_lo, v6, v35
	s_and_b32 s82, vcc_lo, exec_lo
	s_or_b32 s80, s80, s82
	s_branch .LBB22_71
.LBB22_74:                              ;   in Loop: Header=BB22_14 Depth=3
	s_inst_prefetch 0x2
	s_or_b32 exec_lo, exec_lo, s77
	s_and_saveexec_b32 s77, s78
	s_xor_b32 s77, exec_lo, s77
	s_cbranch_execz .LBB22_76
; %bb.75:                               ;   in Loop: Header=BB22_14 Depth=3
	v_lshlrev_b64 v[18:19], 3, v[18:19]
	v_lshlrev_b64 v[20:21], 3, v[12:13]
	v_add_co_u32 v18, vcc_lo, s30, v18
	v_add_co_ci_u32_e64 v19, null, s31, v19, vcc_lo
	v_add_co_u32 v20, vcc_lo, s52, v20
	v_add_co_ci_u32_e64 v21, null, s53, v21, vcc_lo
	global_load_dwordx2 v[18:19], v[18:19], off
	global_load_dwordx2 v[20:21], v[20:21], off
	s_waitcnt vmcnt(0)
	v_fma_f64 v[14:15], v[18:19], v[20:21], v[14:15]
.LBB22_76:                              ;   in Loop: Header=BB22_14 Depth=3
	s_or_b32 exec_lo, exec_lo, s77
.LBB22_77:                              ;   in Loop: Header=BB22_14 Depth=3
	s_or_b32 exec_lo, exec_lo, s76
                                        ; implicit-def: $vgpr19
                                        ; implicit-def: $vgpr18
                                        ; implicit-def: $vgpr40
	s_andn2_saveexec_b32 s75, s75
	s_cbranch_execz .LBB22_65
.LBB22_78:                              ;   in Loop: Header=BB22_14 Depth=3
	s_mov_b32 s76, 0
                                        ; implicit-def: $sgpr77
                                        ; implicit-def: $sgpr79
                                        ; implicit-def: $sgpr78
	s_inst_prefetch 0x1
	s_branch .LBB22_80
	.p2align	6
.LBB22_79:                              ;   in Loop: Header=BB22_80 Depth=4
	s_or_b32 exec_lo, exec_lo, s80
	s_and_b32 s80, exec_lo, s79
	s_or_b32 s76, s80, s76
	s_andn2_b32 s77, s77, exec_lo
	s_and_b32 s80, s78, exec_lo
	s_or_b32 s77, s77, s80
	s_andn2_b32 exec_lo, exec_lo, s76
	s_cbranch_execz .LBB22_82
.LBB22_80:                              ;   Parent Loop BB22_5 Depth=1
                                        ;     Parent Loop BB22_9 Depth=2
                                        ;       Parent Loop BB22_14 Depth=3
                                        ; =>      This Inner Loop Header: Depth=4
	v_add_nc_u32_e32 v20, v18, v19
	s_or_b32 s78, s78, exec_lo
	s_or_b32 s79, s79, exec_lo
	s_mov_b32 s80, exec_lo
	v_ashrrev_i32_e32 v21, 31, v20
	v_lshlrev_b64 v[22:23], 2, v[20:21]
	v_add_co_u32 v22, vcc_lo, s20, v22
	v_add_co_ci_u32_e64 v23, null, s21, v23, vcc_lo
	global_load_dword v6, v[22:23], off
	s_waitcnt vmcnt(0)
	v_subrev_nc_u32_e32 v6, s66, v6
	v_cmpx_ne_u32_e64 v6, v8
	s_cbranch_execz .LBB22_79
; %bb.81:                               ;   in Loop: Header=BB22_80 Depth=4
	v_add_nc_u32_e32 v19, 1, v19
	s_andn2_b32 s79, s79, exec_lo
	s_andn2_b32 s78, s78, exec_lo
	v_cmp_ge_i32_e32 vcc_lo, v19, v40
	s_and_b32 s81, vcc_lo, exec_lo
	s_or_b32 s79, s79, s81
	s_branch .LBB22_79
.LBB22_82:                              ;   in Loop: Header=BB22_14 Depth=3
	s_inst_prefetch 0x2
	s_or_b32 exec_lo, exec_lo, s76
	s_and_saveexec_b32 s76, s77
	s_xor_b32 s76, exec_lo, s76
	s_cbranch_execz .LBB22_84
; %bb.83:                               ;   in Loop: Header=BB22_14 Depth=3
	v_lshlrev_b64 v[18:19], 3, v[20:21]
	v_add_co_u32 v18, vcc_lo, s22, v18
	v_add_co_ci_u32_e64 v19, null, s23, v19, vcc_lo
	global_load_dwordx2 v[18:19], v[18:19], off
	s_waitcnt vmcnt(0)
	v_add_f64 v[14:15], v[14:15], v[18:19]
.LBB22_84:                              ;   in Loop: Header=BB22_14 Depth=3
	s_or_b32 exec_lo, exec_lo, s76
	s_or_b32 exec_lo, exec_lo, s75
	s_mov_b32 s75, exec_lo
	v_cmpx_eq_u32_e64 v8, v12
	s_cbranch_execnz .LBB22_66
	s_branch .LBB22_67
.LBB22_85:                              ;   in Loop: Header=BB22_5 Depth=1
	v_xor_b32_e32 v3, 1, v29
	s_and_b32 vcc_lo, exec_lo, s33
	s_cbranch_vccnz .LBB22_88
; %bb.86:                               ;   in Loop: Header=BB22_5 Depth=1
	s_andn2_b32 vcc_lo, exec_lo, s14
	s_cbranch_vccz .LBB22_109
.LBB22_87:                              ;   in Loop: Header=BB22_5 Depth=1
	s_and_saveexec_b32 s13, s7
	s_cbranch_execnz .LBB22_130
	s_branch .LBB22_141
.LBB22_88:                              ;   in Loop: Header=BB22_5 Depth=1
	v_cmp_gt_i32_e32 vcc_lo, 32, v3
	v_cndmask_b32_e32 v6, v29, v3, vcc_lo
	v_lshlrev_b32_e32 v6, 2, v6
	ds_bpermute_b32 v8, v6, v1
	ds_bpermute_b32 v6, v6, v2
	s_and_saveexec_b32 s12, s1
	s_cbranch_execz .LBB22_90
; %bb.89:                               ;   in Loop: Header=BB22_5 Depth=1
	s_waitcnt lgkmcnt(0)
	v_mov_b32_e32 v9, v6
	v_cmp_lt_f64_e32 vcc_lo, v[1:2], v[8:9]
	v_cndmask_b32_e32 v2, v2, v6, vcc_lo
	v_cndmask_b32_e32 v1, v1, v8, vcc_lo
	ds_write_b64 v31, v[1:2]
.LBB22_90:                              ;   in Loop: Header=BB22_5 Depth=1
	s_or_b32 exec_lo, exec_lo, s12
	s_waitcnt lgkmcnt(0)
	s_waitcnt_vscnt null, 0x0
	s_barrier
	buffer_gl0_inv
	s_and_saveexec_b32 s12, s2
	s_cbranch_execz .LBB22_92
; %bb.91:                               ;   in Loop: Header=BB22_5 Depth=1
	ds_read2st64_b64 v[8:11], v28 offset1:4
	s_waitcnt lgkmcnt(0)
	v_cmp_lt_f64_e32 vcc_lo, v[8:9], v[10:11]
	v_cndmask_b32_e32 v2, v9, v11, vcc_lo
	v_cndmask_b32_e32 v1, v8, v10, vcc_lo
	ds_write_b64 v28, v[1:2]
.LBB22_92:                              ;   in Loop: Header=BB22_5 Depth=1
	s_or_b32 exec_lo, exec_lo, s12
	s_waitcnt lgkmcnt(0)
	s_barrier
	buffer_gl0_inv
	s_and_saveexec_b32 s12, s3
	s_cbranch_execz .LBB22_94
; %bb.93:                               ;   in Loop: Header=BB22_5 Depth=1
	ds_read2st64_b64 v[8:11], v28 offset1:2
	s_waitcnt lgkmcnt(0)
	v_cmp_lt_f64_e32 vcc_lo, v[8:9], v[10:11]
	v_cndmask_b32_e32 v2, v9, v11, vcc_lo
	v_cndmask_b32_e32 v1, v8, v10, vcc_lo
	ds_write_b64 v28, v[1:2]
.LBB22_94:                              ;   in Loop: Header=BB22_5 Depth=1
	s_or_b32 exec_lo, exec_lo, s12
	s_waitcnt lgkmcnt(0)
	;; [unrolled: 14-line block ×3, first 2 shown]
	s_barrier
	buffer_gl0_inv
	s_and_saveexec_b32 s12, s5
	s_cbranch_execz .LBB22_98
; %bb.97:                               ;   in Loop: Header=BB22_5 Depth=1
	ds_read2_b64 v[8:11], v28 offset1:32
	s_waitcnt lgkmcnt(0)
	v_cmp_lt_f64_e32 vcc_lo, v[8:9], v[10:11]
	v_cndmask_b32_e32 v2, v9, v11, vcc_lo
	v_cndmask_b32_e32 v1, v8, v10, vcc_lo
	ds_write_b64 v28, v[1:2]
.LBB22_98:                              ;   in Loop: Header=BB22_5 Depth=1
	s_or_b32 exec_lo, exec_lo, s12
	s_waitcnt lgkmcnt(0)
	s_barrier
	buffer_gl0_inv
	s_and_saveexec_b32 s12, s6
	s_cbranch_execz .LBB22_100
; %bb.99:                               ;   in Loop: Header=BB22_5 Depth=1
	ds_read2_b64 v[8:11], v28 offset1:16
	s_waitcnt lgkmcnt(0)
	v_cmp_lt_f64_e32 vcc_lo, v[8:9], v[10:11]
	v_cndmask_b32_e32 v2, v9, v11, vcc_lo
	v_cndmask_b32_e32 v1, v8, v10, vcc_lo
	ds_write_b64 v28, v[1:2]
.LBB22_100:                             ;   in Loop: Header=BB22_5 Depth=1
	s_or_b32 exec_lo, exec_lo, s12
	s_waitcnt lgkmcnt(0)
	s_barrier
	buffer_gl0_inv
	s_and_saveexec_b32 s12, s8
	s_cbranch_execz .LBB22_102
; %bb.101:                              ;   in Loop: Header=BB22_5 Depth=1
	ds_read2_b64 v[8:11], v28 offset1:8
	s_waitcnt lgkmcnt(0)
	v_cmp_lt_f64_e32 vcc_lo, v[8:9], v[10:11]
	v_cndmask_b32_e32 v2, v9, v11, vcc_lo
	v_cndmask_b32_e32 v1, v8, v10, vcc_lo
	ds_write_b64 v28, v[1:2]
.LBB22_102:                             ;   in Loop: Header=BB22_5 Depth=1
	s_or_b32 exec_lo, exec_lo, s12
	s_waitcnt lgkmcnt(0)
	s_barrier
	buffer_gl0_inv
	s_and_saveexec_b32 s12, s9
	s_cbranch_execz .LBB22_104
; %bb.103:                              ;   in Loop: Header=BB22_5 Depth=1
	ds_read2_b64 v[8:11], v28 offset1:4
	s_waitcnt lgkmcnt(0)
	v_cmp_lt_f64_e32 vcc_lo, v[8:9], v[10:11]
	v_cndmask_b32_e32 v2, v9, v11, vcc_lo
	v_cndmask_b32_e32 v1, v8, v10, vcc_lo
	ds_write_b64 v28, v[1:2]
.LBB22_104:                             ;   in Loop: Header=BB22_5 Depth=1
	;; [unrolled: 14-line block ×3, first 2 shown]
	s_or_b32 exec_lo, exec_lo, s12
	s_waitcnt lgkmcnt(0)
	s_barrier
	buffer_gl0_inv
	s_and_saveexec_b32 s12, s11
	s_cbranch_execz .LBB22_108
; %bb.107:                              ;   in Loop: Header=BB22_5 Depth=1
	ds_read_b128 v[8:11], v7
	s_waitcnt lgkmcnt(0)
	v_cmp_lt_f64_e32 vcc_lo, v[8:9], v[10:11]
	v_cndmask_b32_e32 v2, v9, v11, vcc_lo
	v_cndmask_b32_e32 v1, v8, v10, vcc_lo
	ds_write_b64 v7, v[1:2]
.LBB22_108:                             ;   in Loop: Header=BB22_5 Depth=1
	s_or_b32 exec_lo, exec_lo, s12
	s_waitcnt lgkmcnt(0)
	s_barrier
	buffer_gl0_inv
	ds_read_b64 v[1:2], v7
	s_load_dwordx2 s[12:13], s[34:35], 0x0
	s_waitcnt lgkmcnt(0)
	v_div_scale_f64 v[8:9], null, s[12:13], s[12:13], v[1:2]
	v_rcp_f64_e32 v[10:11], v[8:9]
	v_fma_f64 v[12:13], -v[8:9], v[10:11], 1.0
	v_fma_f64 v[10:11], v[10:11], v[12:13], v[10:11]
	v_fma_f64 v[12:13], -v[8:9], v[10:11], 1.0
	v_fma_f64 v[10:11], v[10:11], v[12:13], v[10:11]
	v_div_scale_f64 v[12:13], vcc_lo, v[1:2], s[12:13], v[1:2]
	v_mul_f64 v[14:15], v[12:13], v[10:11]
	v_fma_f64 v[8:9], -v[8:9], v[14:15], v[12:13]
	v_div_fmas_f64 v[8:9], v[8:9], v[10:11], v[14:15]
	v_div_fixup_f64 v[1:2], v[8:9], s[12:13], v[1:2]
	s_andn2_b32 vcc_lo, exec_lo, s14
	s_cbranch_vccnz .LBB22_87
.LBB22_109:                             ;   in Loop: Header=BB22_5 Depth=1
	v_cmp_gt_i32_e32 vcc_lo, 32, v3
	v_cndmask_b32_e32 v3, v29, v3, vcc_lo
	v_lshlrev_b32_e32 v3, 2, v3
	ds_bpermute_b32 v8, v3, v4
	ds_bpermute_b32 v3, v3, v5
	s_and_saveexec_b32 s12, s1
	s_cbranch_execz .LBB22_111
; %bb.110:                              ;   in Loop: Header=BB22_5 Depth=1
	s_waitcnt lgkmcnt(0)
	v_mov_b32_e32 v9, v3
	v_cmp_lt_f64_e32 vcc_lo, v[4:5], v[8:9]
	v_cndmask_b32_e32 v5, v5, v3, vcc_lo
	v_cndmask_b32_e32 v4, v4, v8, vcc_lo
	ds_write_b64 v31, v[4:5]
.LBB22_111:                             ;   in Loop: Header=BB22_5 Depth=1
	s_or_b32 exec_lo, exec_lo, s12
	s_waitcnt lgkmcnt(0)
	s_waitcnt_vscnt null, 0x0
	s_barrier
	buffer_gl0_inv
	s_and_saveexec_b32 s12, s2
	s_cbranch_execz .LBB22_113
; %bb.112:                              ;   in Loop: Header=BB22_5 Depth=1
	ds_read2st64_b64 v[3:6], v28 offset1:4
	s_waitcnt lgkmcnt(0)
	v_cmp_lt_f64_e32 vcc_lo, v[3:4], v[5:6]
	v_cndmask_b32_e32 v4, v4, v6, vcc_lo
	v_cndmask_b32_e32 v3, v3, v5, vcc_lo
	ds_write_b64 v28, v[3:4]
.LBB22_113:                             ;   in Loop: Header=BB22_5 Depth=1
	s_or_b32 exec_lo, exec_lo, s12
	s_waitcnt lgkmcnt(0)
	s_barrier
	buffer_gl0_inv
	s_and_saveexec_b32 s12, s3
	s_cbranch_execz .LBB22_115
; %bb.114:                              ;   in Loop: Header=BB22_5 Depth=1
	ds_read2st64_b64 v[3:6], v28 offset1:2
	s_waitcnt lgkmcnt(0)
	v_cmp_lt_f64_e32 vcc_lo, v[3:4], v[5:6]
	v_cndmask_b32_e32 v4, v4, v6, vcc_lo
	v_cndmask_b32_e32 v3, v3, v5, vcc_lo
	ds_write_b64 v28, v[3:4]
.LBB22_115:                             ;   in Loop: Header=BB22_5 Depth=1
	s_or_b32 exec_lo, exec_lo, s12
	s_waitcnt lgkmcnt(0)
	;; [unrolled: 14-line block ×3, first 2 shown]
	s_barrier
	buffer_gl0_inv
	s_and_saveexec_b32 s12, s5
	s_cbranch_execz .LBB22_119
; %bb.118:                              ;   in Loop: Header=BB22_5 Depth=1
	ds_read2_b64 v[3:6], v28 offset1:32
	s_waitcnt lgkmcnt(0)
	v_cmp_lt_f64_e32 vcc_lo, v[3:4], v[5:6]
	v_cndmask_b32_e32 v4, v4, v6, vcc_lo
	v_cndmask_b32_e32 v3, v3, v5, vcc_lo
	ds_write_b64 v28, v[3:4]
.LBB22_119:                             ;   in Loop: Header=BB22_5 Depth=1
	s_or_b32 exec_lo, exec_lo, s12
	s_waitcnt lgkmcnt(0)
	s_barrier
	buffer_gl0_inv
	s_and_saveexec_b32 s12, s6
	s_cbranch_execz .LBB22_121
; %bb.120:                              ;   in Loop: Header=BB22_5 Depth=1
	ds_read2_b64 v[3:6], v28 offset1:16
	s_waitcnt lgkmcnt(0)
	v_cmp_lt_f64_e32 vcc_lo, v[3:4], v[5:6]
	v_cndmask_b32_e32 v4, v4, v6, vcc_lo
	v_cndmask_b32_e32 v3, v3, v5, vcc_lo
	ds_write_b64 v28, v[3:4]
.LBB22_121:                             ;   in Loop: Header=BB22_5 Depth=1
	s_or_b32 exec_lo, exec_lo, s12
	s_waitcnt lgkmcnt(0)
	s_barrier
	buffer_gl0_inv
	s_and_saveexec_b32 s12, s8
	s_cbranch_execz .LBB22_123
; %bb.122:                              ;   in Loop: Header=BB22_5 Depth=1
	ds_read2_b64 v[3:6], v28 offset1:8
	s_waitcnt lgkmcnt(0)
	v_cmp_lt_f64_e32 vcc_lo, v[3:4], v[5:6]
	v_cndmask_b32_e32 v4, v4, v6, vcc_lo
	v_cndmask_b32_e32 v3, v3, v5, vcc_lo
	ds_write_b64 v28, v[3:4]
.LBB22_123:                             ;   in Loop: Header=BB22_5 Depth=1
	s_or_b32 exec_lo, exec_lo, s12
	s_waitcnt lgkmcnt(0)
	s_barrier
	buffer_gl0_inv
	s_and_saveexec_b32 s12, s9
	s_cbranch_execz .LBB22_125
; %bb.124:                              ;   in Loop: Header=BB22_5 Depth=1
	ds_read2_b64 v[3:6], v28 offset1:4
	s_waitcnt lgkmcnt(0)
	v_cmp_lt_f64_e32 vcc_lo, v[3:4], v[5:6]
	v_cndmask_b32_e32 v4, v4, v6, vcc_lo
	v_cndmask_b32_e32 v3, v3, v5, vcc_lo
	ds_write_b64 v28, v[3:4]
.LBB22_125:                             ;   in Loop: Header=BB22_5 Depth=1
	s_or_b32 exec_lo, exec_lo, s12
	s_waitcnt lgkmcnt(0)
	s_barrier
	buffer_gl0_inv
	s_and_saveexec_b32 s12, s10
	s_cbranch_execz .LBB22_127
; %bb.126:                              ;   in Loop: Header=BB22_5 Depth=1
	ds_read2_b64 v[3:6], v28 offset1:2
	s_waitcnt lgkmcnt(0)
	v_cmp_lt_f64_e32 vcc_lo, v[3:4], v[5:6]
	v_cndmask_b32_e32 v4, v4, v6, vcc_lo
	v_cndmask_b32_e32 v3, v3, v5, vcc_lo
	ds_write_b64 v28, v[3:4]
.LBB22_127:                             ;   in Loop: Header=BB22_5 Depth=1
	s_or_b32 exec_lo, exec_lo, s12
	s_waitcnt lgkmcnt(0)
	s_barrier
	buffer_gl0_inv
	s_and_saveexec_b32 s12, s11
	s_cbranch_execz .LBB22_129
; %bb.128:                              ;   in Loop: Header=BB22_5 Depth=1
	ds_read_b128 v[3:6], v7
	s_waitcnt lgkmcnt(0)
	v_cmp_lt_f64_e32 vcc_lo, v[3:4], v[5:6]
	v_cndmask_b32_e32 v4, v4, v6, vcc_lo
	v_cndmask_b32_e32 v3, v3, v5, vcc_lo
	ds_write_b64 v7, v[3:4]
.LBB22_129:                             ;   in Loop: Header=BB22_5 Depth=1
	s_or_b32 exec_lo, exec_lo, s12
	s_waitcnt lgkmcnt(0)
	s_barrier
	buffer_gl0_inv
	ds_read_b64 v[3:4], v7
	s_load_dwordx2 s[12:13], s[34:35], 0x0
	s_waitcnt lgkmcnt(0)
	v_div_scale_f64 v[5:6], null, s[12:13], s[12:13], v[3:4]
	v_rcp_f64_e32 v[8:9], v[5:6]
	v_fma_f64 v[10:11], -v[5:6], v[8:9], 1.0
	v_fma_f64 v[8:9], v[8:9], v[10:11], v[8:9]
	v_fma_f64 v[10:11], -v[5:6], v[8:9], 1.0
	v_fma_f64 v[8:9], v[8:9], v[10:11], v[8:9]
	v_div_scale_f64 v[10:11], vcc_lo, v[3:4], s[12:13], v[3:4]
	v_mul_f64 v[12:13], v[10:11], v[8:9]
	v_fma_f64 v[5:6], -v[5:6], v[12:13], v[10:11]
	v_div_fmas_f64 v[5:6], v[5:6], v[8:9], v[12:13]
	v_div_fixup_f64 v[4:5], v[5:6], s[12:13], v[3:4]
	s_and_saveexec_b32 s13, s7
	s_cbranch_execz .LBB22_141
.LBB22_130:                             ;   in Loop: Header=BB22_5 Depth=1
	v_mov_b32_e32 v8, v30
	s_branch .LBB22_132
.LBB22_131:                             ;   in Loop: Header=BB22_132 Depth=2
	s_or_b32 exec_lo, exec_lo, s72
	v_add_nc_u32_e32 v8, 0x200, v8
	v_cmp_le_u32_e32 vcc_lo, s67, v8
	s_or_b32 s71, vcc_lo, s71
	s_andn2_b32 exec_lo, exec_lo, s71
	s_cbranch_execz .LBB22_141
.LBB22_132:                             ;   Parent Loop BB22_5 Depth=1
                                        ; =>  This Loop Header: Depth=2
                                        ;       Child Loop BB22_135 Depth 3
                                        ;       Child Loop BB22_138 Depth 3
	s_mov_b32 s72, exec_lo
	v_cmpx_gt_i32_e64 s60, v8
	s_cbranch_execz .LBB22_131
; %bb.133:                              ;   in Loop: Header=BB22_132 Depth=2
	v_ashrrev_i32_e32 v9, 31, v8
	s_mov_b32 s73, exec_lo
	v_lshlrev_b64 v[10:11], 2, v[8:9]
	v_add_co_u32 v12, vcc_lo, s24, v10
	v_add_co_ci_u32_e64 v13, null, s25, v11, vcc_lo
	v_add_co_u32 v14, vcc_lo, s26, v10
	v_add_co_ci_u32_e64 v15, null, s27, v11, vcc_lo
	global_load_dword v3, v[12:13], off
	global_load_dword v6, v[14:15], off
	s_waitcnt vmcnt(1)
	v_add_nc_u32_e32 v12, v33, v3
	s_waitcnt vmcnt(0)
	v_subrev_nc_u32_e32 v3, s65, v6
	v_cmpx_lt_i32_e64 v12, v3
	s_cbranch_execz .LBB22_136
; %bb.134:                              ;   in Loop: Header=BB22_132 Depth=2
	v_ashrrev_i32_e32 v13, 31, v12
	s_mov_b32 s74, 0
	v_lshlrev_b64 v[15:16], 3, v[12:13]
	v_add_co_u32 v13, vcc_lo, s56, v15
	v_add_co_ci_u32_e64 v14, null, s57, v16, vcc_lo
	v_add_co_u32 v15, vcc_lo, s30, v15
	v_add_co_ci_u32_e64 v16, null, s31, v16, vcc_lo
	.p2align	6
.LBB22_135:                             ;   Parent Loop BB22_5 Depth=1
                                        ;     Parent Loop BB22_132 Depth=2
                                        ; =>    This Inner Loop Header: Depth=3
	global_load_dwordx2 v[17:18], v[13:14], off
	v_add_nc_u32_e32 v12, 2, v12
	v_add_co_u32 v13, vcc_lo, v13, 16
	v_add_co_ci_u32_e64 v14, null, 0, v14, vcc_lo
	v_cmp_ge_i32_e32 vcc_lo, v12, v3
	s_or_b32 s74, vcc_lo, s74
	s_waitcnt vmcnt(0)
	global_store_dwordx2 v[15:16], v[17:18], off
	v_add_co_u32 v15, s12, v15, 16
	v_add_co_ci_u32_e64 v16, null, 0, v16, s12
	s_andn2_b32 exec_lo, exec_lo, s74
	s_cbranch_execnz .LBB22_135
.LBB22_136:                             ;   in Loop: Header=BB22_132 Depth=2
	s_or_b32 exec_lo, exec_lo, s73
	v_add_co_u32 v12, vcc_lo, s16, v10
	v_add_co_ci_u32_e64 v13, null, s17, v11, vcc_lo
	v_add_co_u32 v10, vcc_lo, s18, v10
	v_add_co_ci_u32_e64 v11, null, s19, v11, vcc_lo
	global_load_dword v3, v[12:13], off
	global_load_dword v6, v[10:11], off
	s_mov_b32 s73, exec_lo
	s_waitcnt vmcnt(1)
	v_add_nc_u32_e32 v10, v34, v3
	s_waitcnt vmcnt(0)
	v_subrev_nc_u32_e32 v3, s66, v6
	v_cmpx_lt_i32_e64 v10, v3
	s_cbranch_execz .LBB22_139
; %bb.137:                              ;   in Loop: Header=BB22_132 Depth=2
	v_ashrrev_i32_e32 v11, 31, v10
	s_mov_b32 s74, 0
	v_lshlrev_b64 v[13:14], 3, v[10:11]
	v_add_co_u32 v11, vcc_lo, s58, v13
	v_add_co_ci_u32_e64 v12, null, s59, v14, vcc_lo
	v_add_co_u32 v13, vcc_lo, s22, v13
	v_add_co_ci_u32_e64 v14, null, s23, v14, vcc_lo
	.p2align	6
.LBB22_138:                             ;   Parent Loop BB22_5 Depth=1
                                        ;     Parent Loop BB22_132 Depth=2
                                        ; =>    This Inner Loop Header: Depth=3
	global_load_dwordx2 v[15:16], v[11:12], off
	v_add_nc_u32_e32 v10, 2, v10
	v_add_co_u32 v11, vcc_lo, v11, 16
	v_add_co_ci_u32_e64 v12, null, 0, v12, vcc_lo
	v_cmp_ge_i32_e32 vcc_lo, v10, v3
	s_or_b32 s74, vcc_lo, s74
	s_waitcnt vmcnt(0)
	global_store_dwordx2 v[13:14], v[15:16], off
	v_add_co_u32 v13, s12, v13, 16
	v_add_co_ci_u32_e64 v14, null, 0, v14, s12
	s_andn2_b32 exec_lo, exec_lo, s74
	s_cbranch_execnz .LBB22_138
.LBB22_139:                             ;   in Loop: Header=BB22_132 Depth=2
	s_or_b32 exec_lo, exec_lo, s73
	s_and_b32 exec_lo, exec_lo, s0
	s_cbranch_execz .LBB22_131
; %bb.140:                              ;   in Loop: Header=BB22_132 Depth=2
	v_lshlrev_b64 v[9:10], 3, v[8:9]
	v_add_co_u32 v11, vcc_lo, s54, v9
	v_add_co_ci_u32_e64 v12, null, s55, v10, vcc_lo
	v_add_co_u32 v9, vcc_lo, s52, v9
	v_add_co_ci_u32_e64 v10, null, s53, v10, vcc_lo
	global_load_dwordx2 v[11:12], v[11:12], off
	s_waitcnt vmcnt(0)
	global_store_dwordx2 v[9:10], v[11:12], off
	s_branch .LBB22_131
.LBB22_141:                             ;   in Loop: Header=BB22_5 Depth=1
	s_or_b32 exec_lo, exec_lo, s13
	s_mov_b32 s13, -1
	s_and_b32 vcc_lo, exec_lo, s61
	s_mov_b32 s71, -1
	s_cbranch_vccz .LBB22_151
; %bb.142:                              ;   in Loop: Header=BB22_5 Depth=1
	s_and_b32 vcc_lo, exec_lo, s69
	s_mov_b32 s12, -1
                                        ; implicit-def: $sgpr71
	s_cbranch_vccz .LBB22_148
; %bb.143:                              ;   in Loop: Header=BB22_5 Depth=1
	s_and_b32 vcc_lo, exec_lo, s68
                                        ; implicit-def: $sgpr71
	s_cbranch_vccz .LBB22_145
; %bb.144:                              ;   in Loop: Header=BB22_5 Depth=1
	v_cmp_ge_f64_e64 s71, s[50:51], v[4:5]
	s_mov_b32 s12, 0
.LBB22_145:                             ;   in Loop: Header=BB22_5 Depth=1
	s_andn2_b32 vcc_lo, exec_lo, s12
	s_cbranch_vccnz .LBB22_147
; %bb.146:                              ;   in Loop: Header=BB22_5 Depth=1
	v_cmp_ge_f64_e32 vcc_lo, s[50:51], v[1:2]
	s_andn2_b32 s12, s71, exec_lo
	s_and_b32 s71, vcc_lo, exec_lo
	s_or_b32 s71, s12, s71
.LBB22_147:                             ;   in Loop: Header=BB22_5 Depth=1
	s_mov_b32 s12, 0
.LBB22_148:                             ;   in Loop: Header=BB22_5 Depth=1
	s_andn2_b32 vcc_lo, exec_lo, s12
	s_cbranch_vccnz .LBB22_150
; %bb.149:                              ;   in Loop: Header=BB22_5 Depth=1
	v_cmp_ge_f64_e32 vcc_lo, s[50:51], v[1:2]
	v_cmp_ge_f64_e64 s12, s[50:51], v[4:5]
	s_andn2_b32 s71, s71, exec_lo
	s_and_b32 s12, vcc_lo, s12
	s_and_b32 s12, s12, exec_lo
	s_or_b32 s71, s71, s12
.LBB22_150:                             ;   in Loop: Header=BB22_5 Depth=1
	s_xor_b32 s71, s71, -1
.LBB22_151:                             ;   in Loop: Header=BB22_5 Depth=1
	v_mov_b32_e32 v3, s70
	s_and_saveexec_b32 s12, s71
	s_cbranch_execz .LBB22_4
; %bb.152:                              ;   in Loop: Header=BB22_5 Depth=1
	s_add_i32 s70, s70, 1
	v_mov_b32_e32 v3, s15
	s_cmp_eq_u32 s70, s15
	s_cselect_b32 s13, -1, 0
	s_orn2_b32 s13, s13, exec_lo
	s_branch .LBB22_4
.LBB22_153:
	s_or_b32 exec_lo, exec_lo, s62
	s_or_b32 exec_lo, exec_lo, s63
	s_andn2_b32 vcc_lo, exec_lo, s61
	s_cbranch_vccnz .LBB22_2
.LBB22_154:
	v_xor_b32_e32 v6, 1, v29
	s_mov_b32 s0, exec_lo
	v_cmp_gt_i32_e32 vcc_lo, 32, v6
	v_cndmask_b32_e32 v6, v29, v6, vcc_lo
	v_lshlrev_b32_e32 v6, 2, v6
	ds_bpermute_b32 v6, v6, v3
	v_cmpx_ne_u32_e32 0, v27
	s_cbranch_execz .LBB22_156
; %bb.155:
	v_lshlrev_b32_e32 v7, 2, v26
	s_waitcnt lgkmcnt(0)
	v_max_i32_e32 v3, v3, v6
	ds_write_b32 v7, v3 offset:4096
.LBB22_156:
	s_or_b32 exec_lo, exec_lo, s0
	v_lshlrev_b32_e32 v3, 2, v0
	s_mov_b32 s0, exec_lo
	s_waitcnt lgkmcnt(0)
	s_waitcnt_vscnt null, 0x0
	s_barrier
	buffer_gl0_inv
	v_cmpx_gt_u32_e32 0x100, v0
	s_cbranch_execz .LBB22_158
; %bb.157:
	ds_read2st64_b32 v[6:7], v3 offset0:16 offset1:20
	s_waitcnt lgkmcnt(0)
	v_max_i32_e32 v6, v6, v7
	ds_write_b32 v3, v6 offset:4096
.LBB22_158:
	s_or_b32 exec_lo, exec_lo, s0
	s_mov_b32 s0, exec_lo
	s_waitcnt lgkmcnt(0)
	s_barrier
	buffer_gl0_inv
	v_cmpx_gt_u32_e32 0x80, v0
	s_cbranch_execz .LBB22_160
; %bb.159:
	ds_read2st64_b32 v[6:7], v3 offset0:16 offset1:18
	s_waitcnt lgkmcnt(0)
	v_max_i32_e32 v6, v6, v7
	ds_write_b32 v3, v6 offset:4096
.LBB22_160:
	s_or_b32 exec_lo, exec_lo, s0
	s_mov_b32 s0, exec_lo
	s_waitcnt lgkmcnt(0)
	;; [unrolled: 13-line block ×3, first 2 shown]
	s_barrier
	buffer_gl0_inv
	v_cmpx_gt_u32_e32 32, v0
	s_cbranch_execz .LBB22_164
; %bb.163:
	v_add_nc_u32_e32 v6, 0x1000, v3
	ds_read2_b32 v[6:7], v6 offset1:32
	s_waitcnt lgkmcnt(0)
	v_max_i32_e32 v6, v6, v7
	ds_write_b32 v3, v6 offset:4096
.LBB22_164:
	s_or_b32 exec_lo, exec_lo, s0
	s_mov_b32 s0, exec_lo
	s_waitcnt lgkmcnt(0)
	s_barrier
	buffer_gl0_inv
	v_cmpx_gt_u32_e32 16, v0
	s_cbranch_execz .LBB22_166
; %bb.165:
	v_add_nc_u32_e32 v6, 0x1000, v3
	ds_read2_b32 v[6:7], v6 offset1:16
	s_waitcnt lgkmcnt(0)
	v_max_i32_e32 v6, v6, v7
	ds_write_b32 v3, v6 offset:4096
.LBB22_166:
	s_or_b32 exec_lo, exec_lo, s0
	s_mov_b32 s0, exec_lo
	s_waitcnt lgkmcnt(0)
	;; [unrolled: 14-line block ×4, first 2 shown]
	s_barrier
	buffer_gl0_inv
	v_cmpx_gt_u32_e32 2, v0
	s_cbranch_execz .LBB22_172
; %bb.171:
	v_add_nc_u32_e32 v6, 0x1000, v3
	ds_read2_b32 v[6:7], v6 offset1:2
	s_waitcnt lgkmcnt(0)
	v_max_i32_e32 v6, v6, v7
	ds_write_b32 v3, v6 offset:4096
.LBB22_172:
	s_or_b32 exec_lo, exec_lo, s0
	v_cmp_eq_u32_e32 vcc_lo, 0, v0
	s_waitcnt lgkmcnt(0)
	s_barrier
	buffer_gl0_inv
	s_and_saveexec_b32 s0, vcc_lo
	s_cbranch_execz .LBB22_174
; %bb.173:
	v_mov_b32_e32 v3, 0
	ds_read_b64 v[6:7], v3 offset:4096
	s_waitcnt lgkmcnt(0)
	v_max_i32_e32 v6, v6, v7
	ds_write_b32 v3, v6 offset:4096
.LBB22_174:
	s_or_b32 exec_lo, exec_lo, s0
	s_waitcnt lgkmcnt(0)
	s_barrier
	buffer_gl0_inv
	s_and_saveexec_b32 s0, vcc_lo
	s_cbranch_execz .LBB22_177
; %bb.175:
	v_mbcnt_lo_u32_b32 v3, exec_lo, 0
	v_cmp_eq_u32_e32 vcc_lo, 0, v3
	s_and_b32 exec_lo, exec_lo, vcc_lo
	s_cbranch_execz .LBB22_177
; %bb.176:
	v_mov_b32_e32 v3, 0
	ds_read_b32 v6, v3 offset:4096
	s_waitcnt lgkmcnt(0)
	v_add_nc_u32_e32 v6, 1, v6
	global_atomic_smax v3, v6, s[48:49]
.LBB22_177:
	s_or_b32 exec_lo, exec_lo, s0
	v_cmp_eq_u32_e32 vcc_lo, 0, v0
	s_and_b32 s0, vcc_lo, s33
	s_and_saveexec_b32 s1, s0
	s_cbranch_execz .LBB22_184
.LBB22_178:
	v_mov_b32_e32 v6, 0
	v_mov_b32_e32 v7, 0x7ff80000
	s_mov_b32 s0, exec_lo
.LBB22_179:                             ; =>This Inner Loop Header: Depth=1
	s_ff1_i32_b32 s4, s0
	v_max_f64 v[6:7], v[6:7], v[6:7]
	v_readlane_b32 s3, v2, s4
	v_readlane_b32 s2, v1, s4
	v_max_f64 v[8:9], s[2:3], s[2:3]
	s_lshl_b32 s2, 1, s4
	s_andn2_b32 s0, s0, s2
	s_cmp_lg_u32 s0, 0
	v_max_f64 v[6:7], v[6:7], v[8:9]
	s_cbranch_scc1 .LBB22_179
; %bb.180:
	v_mbcnt_lo_u32_b32 v0, exec_lo, 0
	s_mov_b32 s2, 0
	s_mov_b32 s3, exec_lo
	v_cmpx_eq_u32_e32 0, v0
	s_xor_b32 s3, exec_lo, s3
	s_cbranch_execz .LBB22_184
; %bb.181:
	v_mov_b32_e32 v8, 0
	v_max_f64 v[6:7], v[6:7], v[6:7]
	global_load_dwordx2 v[2:3], v8, s[44:45]
.LBB22_182:                             ; =>This Inner Loop Header: Depth=1
	s_waitcnt vmcnt(0)
	v_max_f64 v[0:1], v[2:3], v[2:3]
	v_max_f64 v[0:1], v[0:1], v[6:7]
	global_atomic_cmpswap_x2 v[0:1], v8, v[0:3], s[44:45] glc
	s_waitcnt vmcnt(0)
	v_cmp_eq_u64_e64 s0, v[0:1], v[2:3]
	v_mov_b32_e32 v3, v1
	v_mov_b32_e32 v2, v0
	s_or_b32 s2, s0, s2
	s_andn2_b32 exec_lo, exec_lo, s2
	s_cbranch_execnz .LBB22_182
; %bb.183:
	s_or_b32 exec_lo, exec_lo, s2
.LBB22_184:
	s_or_b32 exec_lo, exec_lo, s1
	s_and_b32 s0, vcc_lo, s14
	s_and_saveexec_b32 s1, s0
	s_cbranch_execz .LBB22_190
; %bb.185:
	v_mov_b32_e32 v0, 0
	v_mov_b32_e32 v1, 0x7ff80000
	s_mov_b32 s0, exec_lo
.LBB22_186:                             ; =>This Inner Loop Header: Depth=1
	s_ff1_i32_b32 s1, s0
	v_max_f64 v[0:1], v[0:1], v[0:1]
	v_readlane_b32 s3, v5, s1
	v_readlane_b32 s2, v4, s1
	s_lshl_b32 s1, 1, s1
	s_andn2_b32 s0, s0, s1
	v_max_f64 v[2:3], s[2:3], s[2:3]
	s_cmp_lg_u32 s0, 0
	v_max_f64 v[0:1], v[0:1], v[2:3]
	s_cbranch_scc1 .LBB22_186
; %bb.187:
	v_mbcnt_lo_u32_b32 v2, exec_lo, 0
	s_mov_b32 s0, 0
	s_mov_b32 s1, exec_lo
	v_cmpx_eq_u32_e32 0, v2
	s_xor_b32 s1, exec_lo, s1
	s_cbranch_execz .LBB22_190
; %bb.188:
	v_mov_b32_e32 v6, 0
	v_max_f64 v[4:5], v[0:1], v[0:1]
	global_load_dwordx2 v[2:3], v6, s[46:47]
.LBB22_189:                             ; =>This Inner Loop Header: Depth=1
	s_waitcnt vmcnt(0)
	v_max_f64 v[0:1], v[2:3], v[2:3]
	v_max_f64 v[0:1], v[0:1], v[4:5]
	global_atomic_cmpswap_x2 v[0:1], v6, v[0:3], s[46:47] glc
	s_waitcnt vmcnt(0)
	v_cmp_eq_u64_e32 vcc_lo, v[0:1], v[2:3]
	v_mov_b32_e32 v3, v1
	v_mov_b32_e32 v2, v0
	s_or_b32 s0, vcc_lo, s0
	s_andn2_b32 exec_lo, exec_lo, s0
	s_cbranch_execnz .LBB22_189
.LBB22_190:
	s_endpgm
	.section	.rodata,"a",@progbits
	.p2align	6, 0x0
	.amdhsa_kernel _ZN9rocsparseL6kernelILi1024ELi2EdiiEEvbbbT3_PS1_NS_15floating_traitsIT1_E6data_tES1_T2_PKS7_S9_PKS1_PKS4_21rocsparse_index_base_S9_S9_SB_PS4_SF_SE_S9_S9_SB_SF_SF_SE_SF_SF_PS6_SG_PKS6_
		.amdhsa_group_segment_fixed_size 6144
		.amdhsa_private_segment_fixed_size 0
		.amdhsa_kernarg_size 208
		.amdhsa_user_sgpr_count 6
		.amdhsa_user_sgpr_private_segment_buffer 1
		.amdhsa_user_sgpr_dispatch_ptr 0
		.amdhsa_user_sgpr_queue_ptr 0
		.amdhsa_user_sgpr_kernarg_segment_ptr 1
		.amdhsa_user_sgpr_dispatch_id 0
		.amdhsa_user_sgpr_flat_scratch_init 0
		.amdhsa_user_sgpr_private_segment_size 0
		.amdhsa_wavefront_size32 1
		.amdhsa_uses_dynamic_stack 0
		.amdhsa_system_sgpr_private_segment_wavefront_offset 0
		.amdhsa_system_sgpr_workgroup_id_x 1
		.amdhsa_system_sgpr_workgroup_id_y 0
		.amdhsa_system_sgpr_workgroup_id_z 0
		.amdhsa_system_sgpr_workgroup_info 0
		.amdhsa_system_vgpr_workitem_id 0
		.amdhsa_next_free_vgpr 47
		.amdhsa_next_free_sgpr 85
		.amdhsa_reserve_vcc 1
		.amdhsa_reserve_flat_scratch 0
		.amdhsa_float_round_mode_32 0
		.amdhsa_float_round_mode_16_64 0
		.amdhsa_float_denorm_mode_32 3
		.amdhsa_float_denorm_mode_16_64 3
		.amdhsa_dx10_clamp 1
		.amdhsa_ieee_mode 1
		.amdhsa_fp16_overflow 0
		.amdhsa_workgroup_processor_mode 1
		.amdhsa_memory_ordered 1
		.amdhsa_forward_progress 1
		.amdhsa_shared_vgpr_count 0
		.amdhsa_exception_fp_ieee_invalid_op 0
		.amdhsa_exception_fp_denorm_src 0
		.amdhsa_exception_fp_ieee_div_zero 0
		.amdhsa_exception_fp_ieee_overflow 0
		.amdhsa_exception_fp_ieee_underflow 0
		.amdhsa_exception_fp_ieee_inexact 0
		.amdhsa_exception_int_div_zero 0
	.end_amdhsa_kernel
	.section	.text._ZN9rocsparseL6kernelILi1024ELi2EdiiEEvbbbT3_PS1_NS_15floating_traitsIT1_E6data_tES1_T2_PKS7_S9_PKS1_PKS4_21rocsparse_index_base_S9_S9_SB_PS4_SF_SE_S9_S9_SB_SF_SF_SE_SF_SF_PS6_SG_PKS6_,"axG",@progbits,_ZN9rocsparseL6kernelILi1024ELi2EdiiEEvbbbT3_PS1_NS_15floating_traitsIT1_E6data_tES1_T2_PKS7_S9_PKS1_PKS4_21rocsparse_index_base_S9_S9_SB_PS4_SF_SE_S9_S9_SB_SF_SF_SE_SF_SF_PS6_SG_PKS6_,comdat
.Lfunc_end22:
	.size	_ZN9rocsparseL6kernelILi1024ELi2EdiiEEvbbbT3_PS1_NS_15floating_traitsIT1_E6data_tES1_T2_PKS7_S9_PKS1_PKS4_21rocsparse_index_base_S9_S9_SB_PS4_SF_SE_S9_S9_SB_SF_SF_SE_SF_SF_PS6_SG_PKS6_, .Lfunc_end22-_ZN9rocsparseL6kernelILi1024ELi2EdiiEEvbbbT3_PS1_NS_15floating_traitsIT1_E6data_tES1_T2_PKS7_S9_PKS1_PKS4_21rocsparse_index_base_S9_S9_SB_PS4_SF_SE_S9_S9_SB_SF_SF_SE_SF_SF_PS6_SG_PKS6_
                                        ; -- End function
	.set _ZN9rocsparseL6kernelILi1024ELi2EdiiEEvbbbT3_PS1_NS_15floating_traitsIT1_E6data_tES1_T2_PKS7_S9_PKS1_PKS4_21rocsparse_index_base_S9_S9_SB_PS4_SF_SE_S9_S9_SB_SF_SF_SE_SF_SF_PS6_SG_PKS6_.num_vgpr, 47
	.set _ZN9rocsparseL6kernelILi1024ELi2EdiiEEvbbbT3_PS1_NS_15floating_traitsIT1_E6data_tES1_T2_PKS7_S9_PKS1_PKS4_21rocsparse_index_base_S9_S9_SB_PS4_SF_SE_S9_S9_SB_SF_SF_SE_SF_SF_PS6_SG_PKS6_.num_agpr, 0
	.set _ZN9rocsparseL6kernelILi1024ELi2EdiiEEvbbbT3_PS1_NS_15floating_traitsIT1_E6data_tES1_T2_PKS7_S9_PKS1_PKS4_21rocsparse_index_base_S9_S9_SB_PS4_SF_SE_S9_S9_SB_SF_SF_SE_SF_SF_PS6_SG_PKS6_.numbered_sgpr, 85
	.set _ZN9rocsparseL6kernelILi1024ELi2EdiiEEvbbbT3_PS1_NS_15floating_traitsIT1_E6data_tES1_T2_PKS7_S9_PKS1_PKS4_21rocsparse_index_base_S9_S9_SB_PS4_SF_SE_S9_S9_SB_SF_SF_SE_SF_SF_PS6_SG_PKS6_.num_named_barrier, 0
	.set _ZN9rocsparseL6kernelILi1024ELi2EdiiEEvbbbT3_PS1_NS_15floating_traitsIT1_E6data_tES1_T2_PKS7_S9_PKS1_PKS4_21rocsparse_index_base_S9_S9_SB_PS4_SF_SE_S9_S9_SB_SF_SF_SE_SF_SF_PS6_SG_PKS6_.private_seg_size, 0
	.set _ZN9rocsparseL6kernelILi1024ELi2EdiiEEvbbbT3_PS1_NS_15floating_traitsIT1_E6data_tES1_T2_PKS7_S9_PKS1_PKS4_21rocsparse_index_base_S9_S9_SB_PS4_SF_SE_S9_S9_SB_SF_SF_SE_SF_SF_PS6_SG_PKS6_.uses_vcc, 1
	.set _ZN9rocsparseL6kernelILi1024ELi2EdiiEEvbbbT3_PS1_NS_15floating_traitsIT1_E6data_tES1_T2_PKS7_S9_PKS1_PKS4_21rocsparse_index_base_S9_S9_SB_PS4_SF_SE_S9_S9_SB_SF_SF_SE_SF_SF_PS6_SG_PKS6_.uses_flat_scratch, 0
	.set _ZN9rocsparseL6kernelILi1024ELi2EdiiEEvbbbT3_PS1_NS_15floating_traitsIT1_E6data_tES1_T2_PKS7_S9_PKS1_PKS4_21rocsparse_index_base_S9_S9_SB_PS4_SF_SE_S9_S9_SB_SF_SF_SE_SF_SF_PS6_SG_PKS6_.has_dyn_sized_stack, 0
	.set _ZN9rocsparseL6kernelILi1024ELi2EdiiEEvbbbT3_PS1_NS_15floating_traitsIT1_E6data_tES1_T2_PKS7_S9_PKS1_PKS4_21rocsparse_index_base_S9_S9_SB_PS4_SF_SE_S9_S9_SB_SF_SF_SE_SF_SF_PS6_SG_PKS6_.has_recursion, 0
	.set _ZN9rocsparseL6kernelILi1024ELi2EdiiEEvbbbT3_PS1_NS_15floating_traitsIT1_E6data_tES1_T2_PKS7_S9_PKS1_PKS4_21rocsparse_index_base_S9_S9_SB_PS4_SF_SE_S9_S9_SB_SF_SF_SE_SF_SF_PS6_SG_PKS6_.has_indirect_call, 0
	.section	.AMDGPU.csdata,"",@progbits
; Kernel info:
; codeLenInByte = 6672
; TotalNumSgprs: 87
; NumVgprs: 47
; ScratchSize: 0
; MemoryBound: 1
; FloatMode: 240
; IeeeMode: 1
; LDSByteSize: 6144 bytes/workgroup (compile time only)
; SGPRBlocks: 0
; VGPRBlocks: 5
; NumSGPRsForWavesPerEU: 87
; NumVGPRsForWavesPerEU: 47
; Occupancy: 16
; WaveLimiterHint : 1
; COMPUTE_PGM_RSRC2:SCRATCH_EN: 0
; COMPUTE_PGM_RSRC2:USER_SGPR: 6
; COMPUTE_PGM_RSRC2:TRAP_HANDLER: 0
; COMPUTE_PGM_RSRC2:TGID_X_EN: 1
; COMPUTE_PGM_RSRC2:TGID_Y_EN: 0
; COMPUTE_PGM_RSRC2:TGID_Z_EN: 0
; COMPUTE_PGM_RSRC2:TIDIG_COMP_CNT: 0
	.section	.text._ZN9rocsparseL6kernelILi1024ELi4EdiiEEvbbbT3_PS1_NS_15floating_traitsIT1_E6data_tES1_T2_PKS7_S9_PKS1_PKS4_21rocsparse_index_base_S9_S9_SB_PS4_SF_SE_S9_S9_SB_SF_SF_SE_SF_SF_PS6_SG_PKS6_,"axG",@progbits,_ZN9rocsparseL6kernelILi1024ELi4EdiiEEvbbbT3_PS1_NS_15floating_traitsIT1_E6data_tES1_T2_PKS7_S9_PKS1_PKS4_21rocsparse_index_base_S9_S9_SB_PS4_SF_SE_S9_S9_SB_SF_SF_SE_SF_SF_PS6_SG_PKS6_,comdat
	.globl	_ZN9rocsparseL6kernelILi1024ELi4EdiiEEvbbbT3_PS1_NS_15floating_traitsIT1_E6data_tES1_T2_PKS7_S9_PKS1_PKS4_21rocsparse_index_base_S9_S9_SB_PS4_SF_SE_S9_S9_SB_SF_SF_SE_SF_SF_PS6_SG_PKS6_ ; -- Begin function _ZN9rocsparseL6kernelILi1024ELi4EdiiEEvbbbT3_PS1_NS_15floating_traitsIT1_E6data_tES1_T2_PKS7_S9_PKS1_PKS4_21rocsparse_index_base_S9_S9_SB_PS4_SF_SE_S9_S9_SB_SF_SF_SE_SF_SF_PS6_SG_PKS6_
	.p2align	8
	.type	_ZN9rocsparseL6kernelILi1024ELi4EdiiEEvbbbT3_PS1_NS_15floating_traitsIT1_E6data_tES1_T2_PKS7_S9_PKS1_PKS4_21rocsparse_index_base_S9_S9_SB_PS4_SF_SE_S9_S9_SB_SF_SF_SE_SF_SF_PS6_SG_PKS6_,@function
_ZN9rocsparseL6kernelILi1024ELi4EdiiEEvbbbT3_PS1_NS_15floating_traitsIT1_E6data_tES1_T2_PKS7_S9_PKS1_PKS4_21rocsparse_index_base_S9_S9_SB_PS4_SF_SE_S9_S9_SB_SF_SF_SE_SF_SF_PS6_SG_PKS6_: ; @_ZN9rocsparseL6kernelILi1024ELi4EdiiEEvbbbT3_PS1_NS_15floating_traitsIT1_E6data_tES1_T2_PKS7_S9_PKS1_PKS4_21rocsparse_index_base_S9_S9_SB_PS4_SF_SE_S9_S9_SB_SF_SF_SE_SF_SF_PS6_SG_PKS6_
; %bb.0:
	s_clause 0x4
	s_load_dword s0, s[4:5], 0x0
	s_load_dwordx2 s[12:13], s[4:5], 0x0
	s_load_dword s59, s[4:5], 0x18
	s_load_dwordx4 s[48:51], s[4:5], 0x8
	s_load_dwordx4 s[44:47], s[4:5], 0xb8
	v_lshrrev_b32_e32 v26, 2, v0
	v_mov_b32_e32 v3, 0
	v_lshlrev_b32_e32 v29, 3, v0
	v_mov_b32_e32 v1, 0
	v_and_b32_e32 v27, 3, v0
	v_mov_b32_e32 v2, 0
	v_mov_b32_e32 v4, v3
	v_mbcnt_lo_u32_b32 v28, -1, 0
	s_mov_b32 s61, 0
	ds_write_b64 v29, v[3:4]
	v_mov_b32_e32 v4, 0
	v_mov_b32_e32 v5, 0
	s_waitcnt lgkmcnt(0)
	s_bitcmp1_b32 s0, 0
	s_barrier
	s_cselect_b32 s60, -1, 0
	s_bitcmp1_b32 s0, 8
	buffer_gl0_inv
	s_cselect_b32 s58, -1, 0
	s_bitcmp1_b32 s12, 16
	s_cselect_b32 s33, -1, 0
	s_lshl_b32 s66, s6, 10
	s_cmp_gt_i32 s13, 0
	v_or_b32_e32 v30, s66, v26
	s_cselect_b32 s0, -1, 0
	v_cmp_gt_i32_e32 vcc_lo, s59, v30
	s_and_b32 s0, s0, vcc_lo
	s_and_saveexec_b32 s62, s0
	s_cbranch_execnz .LBB23_3
; %bb.1:
	s_or_b32 exec_lo, exec_lo, s62
	s_andn2_b32 vcc_lo, exec_lo, s60
	s_cbranch_vccz .LBB23_150
.LBB23_2:
	v_cmp_eq_u32_e32 vcc_lo, 0, v0
	s_and_b32 s0, vcc_lo, s58
	s_and_saveexec_b32 s1, s0
	s_cbranch_execnz .LBB23_172
	s_branch .LBB23_178
.LBB23_3:
	s_clause 0x9
	s_load_dword s63, s[4:5], 0x40
	s_load_dwordx2 s[14:15], s[4:5], 0x68
	s_load_dword s64, s[4:5], 0x70
	s_load_dwordx2 s[34:35], s[4:5], 0x98
	;; [unrolled: 2-line block ×3, first 2 shown]
	s_load_dwordx4 s[52:55], s[4:5], 0xa8
	s_load_dwordx8 s[16:23], s[4:5], 0x78
	s_load_dwordx8 s[24:31], s[4:5], 0x48
	;; [unrolled: 1-line block ×3, first 2 shown]
	s_addk_i32 s66, 0x400
	v_mov_b32_e32 v1, 0
	v_mov_b32_e32 v4, 0
	v_cmp_eq_u32_e64 s0, 3, v27
	v_lshlrev_b32_e32 v31, 3, v26
	v_cmp_gt_u32_e64 s1, 0x80, v0
	v_cmp_gt_u32_e64 s2, 64, v0
	;; [unrolled: 1-line block ×7, first 2 shown]
	s_waitcnt lgkmcnt(0)
	v_subrev_nc_u32_e32 v32, s63, v27
	v_cmp_gt_u32_e64 s8, 2, v0
	v_cmp_eq_u32_e64 s9, 0, v0
	v_subrev_nc_u32_e32 v33, s64, v27
	v_subrev_nc_u32_e32 v34, s65, v27
	v_cmp_eq_u32_e64 s10, 0, v27
	v_mov_b32_e32 v2, 0
	v_mov_b32_e32 v5, 0
	;; [unrolled: 1-line block ×3, first 2 shown]
	s_and_b32 s11, s58, s33
	s_xor_b32 s67, s58, -1
	s_xor_b32 s68, s11, -1
	s_mov_b32 s69, 0
	s_branch .LBB23_5
.LBB23_4:                               ;   in Loop: Header=BB23_5 Depth=1
	s_or_b32 exec_lo, exec_lo, s11
	s_and_b32 s11, exec_lo, s12
	s_or_b32 s61, s11, s61
	s_andn2_b32 exec_lo, exec_lo, s61
	s_cbranch_execz .LBB23_149
.LBB23_5:                               ; =>This Loop Header: Depth=1
                                        ;     Child Loop BB23_9 Depth 2
                                        ;       Child Loop BB23_14 Depth 3
                                        ;         Child Loop BB23_18 Depth 4
                                        ;         Child Loop BB23_39 Depth 4
	;; [unrolled: 1-line block ×5, first 2 shown]
                                        ;     Child Loop BB23_128 Depth 2
                                        ;       Child Loop BB23_131 Depth 3
                                        ;       Child Loop BB23_134 Depth 3
	v_cndmask_b32_e64 v2, v2, 0, s58
	v_cndmask_b32_e64 v1, v1, 0, s58
	;; [unrolled: 1-line block ×4, first 2 shown]
	s_mov_b32 s70, 0
	s_branch .LBB23_9
.LBB23_6:                               ;   in Loop: Header=BB23_9 Depth=2
	s_or_b32 exec_lo, exec_lo, s73
.LBB23_7:                               ;   in Loop: Header=BB23_9 Depth=2
	s_or_b32 exec_lo, exec_lo, s72
.LBB23_8:                               ;   in Loop: Header=BB23_9 Depth=2
	s_or_b32 exec_lo, exec_lo, s71
	s_add_i32 s70, s70, 1
	s_cmp_eq_u32 s70, 4
	s_cbranch_scc1 .LBB23_85
.LBB23_9:                               ;   Parent Loop BB23_5 Depth=1
                                        ; =>  This Loop Header: Depth=2
                                        ;       Child Loop BB23_14 Depth 3
                                        ;         Child Loop BB23_18 Depth 4
                                        ;         Child Loop BB23_39 Depth 4
	;; [unrolled: 1-line block ×5, first 2 shown]
	v_lshl_add_u32 v8, s70, 8, v30
	s_mov_b32 s71, exec_lo
	v_cmpx_gt_i32_e64 s59, v8
	s_cbranch_execz .LBB23_8
; %bb.10:                               ;   in Loop: Header=BB23_9 Depth=2
	v_ashrrev_i32_e32 v9, 31, v8
	s_mov_b32 s72, exec_lo
	v_lshlrev_b64 v[10:11], 2, v[8:9]
	v_add_co_u32 v12, vcc_lo, s36, v10
	v_add_co_ci_u32_e64 v13, null, s37, v11, vcc_lo
	v_add_co_u32 v14, vcc_lo, s38, v10
	v_add_co_ci_u32_e64 v15, null, s39, v11, vcc_lo
	global_load_dword v3, v[12:13], off
	global_load_dword v6, v[14:15], off
	s_waitcnt vmcnt(1)
	v_add_nc_u32_e32 v9, v32, v3
	s_waitcnt vmcnt(0)
	v_subrev_nc_u32_e32 v3, s63, v6
	v_cmpx_lt_i32_e64 v9, v3
	s_cbranch_execz .LBB23_7
; %bb.11:                               ;   in Loop: Header=BB23_9 Depth=2
	v_add_co_u32 v12, vcc_lo, s24, v10
	v_add_co_ci_u32_e64 v13, null, s25, v11, vcc_lo
	v_add_co_u32 v10, vcc_lo, s26, v10
	v_add_co_ci_u32_e64 v11, null, s27, v11, vcc_lo
	global_load_dword v6, v[12:13], off
	s_mov_b32 s73, 0
	global_load_dword v10, v[10:11], off
	s_waitcnt vmcnt(1)
	v_subrev_nc_u32_e32 v11, s64, v6
	s_waitcnt vmcnt(0)
	v_sub_nc_u32_e32 v35, v10, v6
	v_ashrrev_i32_e32 v12, 31, v11
	v_cmp_lt_i32_e64 s11, 0, v35
	v_lshlrev_b64 v[13:14], 2, v[11:12]
	v_lshlrev_b64 v[15:16], 3, v[11:12]
	v_add_co_u32 v36, vcc_lo, s28, v13
	v_add_co_ci_u32_e64 v37, null, s29, v14, vcc_lo
	v_add_co_u32 v38, vcc_lo, s30, v15
	v_add_co_ci_u32_e64 v39, null, s31, v16, vcc_lo
	s_branch .LBB23_14
.LBB23_12:                              ;   in Loop: Header=BB23_14 Depth=3
	s_or_b32 exec_lo, exec_lo, s74
.LBB23_13:                              ;   in Loop: Header=BB23_14 Depth=3
	s_or_b32 exec_lo, exec_lo, s12
	v_add_nc_u32_e32 v9, 4, v9
	v_cmp_ge_i32_e32 vcc_lo, v9, v3
	s_or_b32 s73, vcc_lo, s73
	s_andn2_b32 exec_lo, exec_lo, s73
	s_cbranch_execz .LBB23_6
.LBB23_14:                              ;   Parent Loop BB23_5 Depth=1
                                        ;     Parent Loop BB23_9 Depth=2
                                        ; =>    This Loop Header: Depth=3
                                        ;         Child Loop BB23_18 Depth 4
                                        ;         Child Loop BB23_39 Depth 4
	;; [unrolled: 1-line block ×5, first 2 shown]
	v_ashrrev_i32_e32 v10, 31, v9
	v_mov_b32_e32 v19, 0
	v_lshlrev_b64 v[12:13], 2, v[9:10]
	v_add_co_u32 v12, vcc_lo, s40, v12
	v_add_co_ci_u32_e64 v13, null, s41, v13, vcc_lo
	global_load_dword v6, v[12:13], off
	s_waitcnt vmcnt(0)
	v_subrev_nc_u32_e32 v12, s63, v6
	v_ashrrev_i32_e32 v13, 31, v12
	v_lshlrev_b64 v[14:15], 2, v[12:13]
	v_add_co_u32 v16, vcc_lo, s16, v14
	v_add_co_ci_u32_e64 v17, null, s17, v15, vcc_lo
	v_add_co_u32 v14, vcc_lo, s18, v14
	v_add_co_ci_u32_e64 v15, null, s19, v15, vcc_lo
	global_load_dword v6, v[16:17], off
	global_load_dword v16, v[14:15], off
	v_mov_b32_e32 v14, 0
	v_mov_b32_e32 v15, 0
	s_waitcnt vmcnt(1)
	v_subrev_nc_u32_e32 v18, s65, v6
	s_waitcnt vmcnt(0)
	v_sub_nc_u32_e32 v40, v16, v6
	v_mov_b32_e32 v6, v19
	s_and_saveexec_b32 s74, s11
	s_cbranch_execz .LBB23_22
; %bb.15:                               ;   in Loop: Header=BB23_14 Depth=3
	v_ashrrev_i32_e32 v19, 31, v18
	v_mov_b32_e32 v14, 0
	v_mov_b32_e32 v15, 0
	;; [unrolled: 1-line block ×3, first 2 shown]
	s_mov_b32 s75, 0
	v_lshlrev_b64 v[16:17], 2, v[18:19]
	v_lshlrev_b64 v[19:20], 3, v[18:19]
                                        ; implicit-def: $sgpr76
	v_add_co_u32 v16, vcc_lo, s20, v16
	v_add_co_ci_u32_e64 v17, null, s21, v17, vcc_lo
	v_add_co_u32 v21, vcc_lo, s22, v19
	v_add_co_ci_u32_e64 v22, null, s23, v20, vcc_lo
	v_mov_b32_e32 v19, 0
	s_branch .LBB23_18
.LBB23_16:                              ;   in Loop: Header=BB23_18 Depth=4
	s_or_b32 exec_lo, exec_lo, s12
	v_cmp_le_i32_e32 vcc_lo, v23, v24
	v_cmp_ge_i32_e64 s12, v23, v24
	v_add_co_ci_u32_e64 v6, null, 0, v6, vcc_lo
	v_add_co_ci_u32_e64 v19, null, 0, v19, s12
	s_andn2_b32 s12, s76, exec_lo
	v_cmp_ge_i32_e32 vcc_lo, v6, v35
	s_and_b32 s76, vcc_lo, exec_lo
	s_or_b32 s76, s12, s76
.LBB23_17:                              ;   in Loop: Header=BB23_18 Depth=4
	s_or_b32 exec_lo, exec_lo, s77
	s_and_b32 s12, exec_lo, s76
	s_or_b32 s75, s12, s75
	s_andn2_b32 exec_lo, exec_lo, s75
	s_cbranch_execz .LBB23_21
.LBB23_18:                              ;   Parent Loop BB23_5 Depth=1
                                        ;     Parent Loop BB23_9 Depth=2
                                        ;       Parent Loop BB23_14 Depth=3
                                        ; =>      This Inner Loop Header: Depth=4
	s_or_b32 s76, s76, exec_lo
	s_mov_b32 s77, exec_lo
	v_cmpx_lt_i32_e64 v19, v40
	s_cbranch_execz .LBB23_17
; %bb.19:                               ;   in Loop: Header=BB23_18 Depth=4
	v_mov_b32_e32 v20, v7
	v_lshlrev_b64 v[23:24], 2, v[6:7]
	s_mov_b32 s12, exec_lo
	v_lshlrev_b64 v[41:42], 2, v[19:20]
	v_add_co_u32 v23, vcc_lo, v36, v23
	v_add_co_ci_u32_e64 v24, null, v37, v24, vcc_lo
	v_add_co_u32 v41, vcc_lo, v16, v41
	v_add_co_ci_u32_e64 v42, null, v17, v42, vcc_lo
	global_load_dword v23, v[23:24], off
	global_load_dword v24, v[41:42], off
	s_waitcnt vmcnt(1)
	v_subrev_nc_u32_e32 v23, s64, v23
	s_waitcnt vmcnt(0)
	v_subrev_nc_u32_e32 v24, s65, v24
	v_cmpx_eq_u32_e64 v23, v24
	s_cbranch_execz .LBB23_16
; %bb.20:                               ;   in Loop: Header=BB23_18 Depth=4
	v_lshlrev_b64 v[41:42], 3, v[6:7]
	v_lshlrev_b64 v[43:44], 3, v[19:20]
	v_add_co_u32 v41, vcc_lo, v38, v41
	v_add_co_ci_u32_e64 v42, null, v39, v42, vcc_lo
	v_add_co_u32 v43, vcc_lo, v21, v43
	v_add_co_ci_u32_e64 v44, null, v22, v44, vcc_lo
	global_load_dwordx2 v[41:42], v[41:42], off
	global_load_dwordx2 v[43:44], v[43:44], off
	s_waitcnt vmcnt(0)
	v_fma_f64 v[14:15], v[41:42], v[43:44], v[14:15]
	s_branch .LBB23_16
.LBB23_21:                              ;   in Loop: Header=BB23_14 Depth=3
	s_or_b32 exec_lo, exec_lo, s75
.LBB23_22:                              ;   in Loop: Header=BB23_14 Depth=3
	s_or_b32 exec_lo, exec_lo, s74
	v_lshlrev_b64 v[16:17], 3, v[9:10]
	v_cmp_le_i32_e64 s12, v8, v12
	s_mov_b32 s74, exec_lo
	v_add_co_u32 v16, vcc_lo, s42, v16
	v_add_co_ci_u32_e64 v17, null, s43, v17, vcc_lo
	global_load_dwordx2 v[16:17], v[16:17], off
	s_waitcnt vmcnt(0)
	v_add_f64 v[20:21], v[16:17], -v[14:15]
	v_cmpx_gt_i32_e64 v8, v12
	s_cbranch_execnz .LBB23_25
; %bb.23:                               ;   in Loop: Header=BB23_14 Depth=3
	s_or_b32 exec_lo, exec_lo, s74
	v_cmp_class_f64_e64 s74, v[20:21], 0x1f8
	s_and_saveexec_b32 s75, s74
	s_cbranch_execnz .LBB23_28
.LBB23_24:                              ;   in Loop: Header=BB23_14 Depth=3
	s_or_b32 exec_lo, exec_lo, s75
	s_and_b32 s74, s33, s74
	s_and_saveexec_b32 s12, s74
	s_cbranch_execz .LBB23_13
	s_branch .LBB23_63
.LBB23_25:                              ;   in Loop: Header=BB23_14 Depth=3
	v_lshlrev_b64 v[22:23], 3, v[12:13]
	v_mov_b32_e32 v24, 0
	v_mov_b32_e32 v25, 0
	s_mov_b32 s75, exec_lo
	v_add_co_u32 v22, vcc_lo, s52, v22
	v_add_co_ci_u32_e64 v23, null, s53, v23, vcc_lo
	global_load_dwordx2 v[22:23], v[22:23], off
	s_waitcnt vmcnt(0)
	v_cmpx_lg_f64_e32 0, v[22:23]
	s_cbranch_execz .LBB23_27
; %bb.26:                               ;   in Loop: Header=BB23_14 Depth=3
	v_div_scale_f64 v[24:25], null, v[22:23], v[22:23], v[20:21]
	v_rcp_f64_e32 v[41:42], v[24:25]
	v_fma_f64 v[43:44], -v[24:25], v[41:42], 1.0
	v_fma_f64 v[41:42], v[41:42], v[43:44], v[41:42]
	v_fma_f64 v[43:44], -v[24:25], v[41:42], 1.0
	v_fma_f64 v[41:42], v[41:42], v[43:44], v[41:42]
	v_div_scale_f64 v[43:44], vcc_lo, v[20:21], v[22:23], v[20:21]
	v_mul_f64 v[45:46], v[43:44], v[41:42]
	v_fma_f64 v[24:25], -v[24:25], v[45:46], v[43:44]
	v_div_fmas_f64 v[24:25], v[24:25], v[41:42], v[45:46]
	v_div_fixup_f64 v[24:25], v[24:25], v[22:23], v[20:21]
.LBB23_27:                              ;   in Loop: Header=BB23_14 Depth=3
	s_or_b32 exec_lo, exec_lo, s75
	v_mov_b32_e32 v20, v24
	v_mov_b32_e32 v21, v25
	s_or_b32 exec_lo, exec_lo, s74
	v_cmp_class_f64_e64 s74, v[20:21], 0x1f8
	s_and_saveexec_b32 s75, s74
	s_cbranch_execz .LBB23_24
.LBB23_28:                              ;   in Loop: Header=BB23_14 Depth=3
	s_and_saveexec_b32 s76, s12
	s_xor_b32 s12, exec_lo, s76
	s_cbranch_execz .LBB23_49
; %bb.29:                               ;   in Loop: Header=BB23_14 Depth=3
	s_mov_b32 s76, exec_lo
	v_cmpx_ge_i32_e64 v8, v12
	s_xor_b32 s76, exec_lo, s76
	s_cbranch_execz .LBB23_35
; %bb.30:                               ;   in Loop: Header=BB23_14 Depth=3
	v_lshlrev_b64 v[22:23], 3, v[12:13]
	v_add_co_u32 v24, vcc_lo, s54, v22
	v_add_co_ci_u32_e64 v25, null, s55, v23, vcc_lo
	s_andn2_b32 vcc_lo, exec_lo, s58
	global_store_dwordx2 v[24:25], v[20:21], off
	s_cbranch_vccnz .LBB23_34
; %bb.31:                               ;   in Loop: Header=BB23_14 Depth=3
	v_add_co_u32 v22, vcc_lo, s52, v22
	v_add_co_ci_u32_e64 v23, null, s53, v23, vcc_lo
	global_load_dwordx2 v[22:23], v[22:23], off
	s_waitcnt vmcnt(0)
	v_add_f64 v[20:21], v[22:23], -v[20:21]
	v_cmp_class_f64_e64 s78, v[20:21], 0x1f8
	s_and_saveexec_b32 s77, s78
	s_cbranch_execz .LBB23_33
; %bb.32:                               ;   in Loop: Header=BB23_14 Depth=3
	v_cmp_lt_f64_e64 vcc_lo, v[1:2], |v[20:21]|
	v_and_b32_e32 v10, 0x7fffffff, v21
	v_cndmask_b32_e32 v2, v2, v10, vcc_lo
	v_cndmask_b32_e32 v1, v1, v20, vcc_lo
.LBB23_33:                              ;   in Loop: Header=BB23_14 Depth=3
	s_or_b32 exec_lo, exec_lo, s77
.LBB23_34:                              ;   in Loop: Header=BB23_14 Depth=3
                                        ; implicit-def: $vgpr20_vgpr21
.LBB23_35:                              ;   in Loop: Header=BB23_14 Depth=3
	s_andn2_saveexec_b32 s76, s76
	s_cbranch_execz .LBB23_48
; %bb.36:                               ;   in Loop: Header=BB23_14 Depth=3
	s_mov_b32 s77, exec_lo
	v_cmpx_lt_i32_e64 v19, v40
	s_cbranch_execz .LBB23_47
; %bb.37:                               ;   in Loop: Header=BB23_14 Depth=3
	v_mov_b32_e32 v10, v19
	s_mov_b32 s78, 0
                                        ; implicit-def: $sgpr79
                                        ; implicit-def: $sgpr81
                                        ; implicit-def: $sgpr80
	s_inst_prefetch 0x1
	s_branch .LBB23_39
	.p2align	6
.LBB23_38:                              ;   in Loop: Header=BB23_39 Depth=4
	s_or_b32 exec_lo, exec_lo, s82
	s_and_b32 s82, exec_lo, s81
	s_or_b32 s78, s82, s78
	s_andn2_b32 s79, s79, exec_lo
	s_and_b32 s82, s80, exec_lo
	s_or_b32 s79, s79, s82
	s_andn2_b32 exec_lo, exec_lo, s78
	s_cbranch_execz .LBB23_41
.LBB23_39:                              ;   Parent Loop BB23_5 Depth=1
                                        ;     Parent Loop BB23_9 Depth=2
                                        ;       Parent Loop BB23_14 Depth=3
                                        ; =>      This Inner Loop Header: Depth=4
	v_add_nc_u32_e32 v22, v18, v10
	s_or_b32 s80, s80, exec_lo
	s_or_b32 s81, s81, exec_lo
	s_mov_b32 s82, exec_lo
	v_ashrrev_i32_e32 v23, 31, v22
	v_lshlrev_b64 v[24:25], 2, v[22:23]
	v_add_co_u32 v24, vcc_lo, s20, v24
	v_add_co_ci_u32_e64 v25, null, s21, v25, vcc_lo
	global_load_dword v24, v[24:25], off
	s_waitcnt vmcnt(0)
	v_subrev_nc_u32_e32 v24, s65, v24
	v_cmpx_ne_u32_e64 v24, v8
	s_cbranch_execz .LBB23_38
; %bb.40:                               ;   in Loop: Header=BB23_39 Depth=4
	v_add_nc_u32_e32 v10, 1, v10
	s_andn2_b32 s81, s81, exec_lo
	s_andn2_b32 s80, s80, exec_lo
	v_cmp_ge_i32_e32 vcc_lo, v10, v40
	s_and_b32 s83, vcc_lo, exec_lo
	s_or_b32 s81, s81, s83
	s_branch .LBB23_38
.LBB23_41:                              ;   in Loop: Header=BB23_14 Depth=3
	s_inst_prefetch 0x2
	s_or_b32 exec_lo, exec_lo, s78
	s_and_saveexec_b32 s78, s79
	s_xor_b32 s78, exec_lo, s78
	s_cbranch_execz .LBB23_46
; %bb.42:                               ;   in Loop: Header=BB23_14 Depth=3
	v_lshlrev_b64 v[22:23], 3, v[22:23]
	v_add_co_u32 v24, vcc_lo, s34, v22
	v_add_co_ci_u32_e64 v25, null, s35, v23, vcc_lo
	s_andn2_b32 vcc_lo, exec_lo, s58
	global_store_dwordx2 v[24:25], v[20:21], off
	s_cbranch_vccnz .LBB23_46
; %bb.43:                               ;   in Loop: Header=BB23_14 Depth=3
	v_add_co_u32 v22, vcc_lo, s22, v22
	v_add_co_ci_u32_e64 v23, null, s23, v23, vcc_lo
	global_load_dwordx2 v[22:23], v[22:23], off
	s_waitcnt vmcnt(0)
	v_add_f64 v[20:21], v[22:23], -v[20:21]
	v_cmp_class_f64_e64 s80, v[20:21], 0x1f8
	s_and_saveexec_b32 s79, s80
	s_cbranch_execz .LBB23_45
; %bb.44:                               ;   in Loop: Header=BB23_14 Depth=3
	v_cmp_lt_f64_e64 vcc_lo, v[1:2], |v[20:21]|
	v_and_b32_e32 v10, 0x7fffffff, v21
	v_cndmask_b32_e32 v2, v2, v10, vcc_lo
	v_cndmask_b32_e32 v1, v1, v20, vcc_lo
.LBB23_45:                              ;   in Loop: Header=BB23_14 Depth=3
	s_or_b32 exec_lo, exec_lo, s79
.LBB23_46:                              ;   in Loop: Header=BB23_14 Depth=3
	s_or_b32 exec_lo, exec_lo, s78
.LBB23_47:                              ;   in Loop: Header=BB23_14 Depth=3
	s_or_b32 exec_lo, exec_lo, s77
.LBB23_48:                              ;   in Loop: Header=BB23_14 Depth=3
	s_or_b32 exec_lo, exec_lo, s76
                                        ; implicit-def: $vgpr20_vgpr21
.LBB23_49:                              ;   in Loop: Header=BB23_14 Depth=3
	s_andn2_saveexec_b32 s12, s12
	s_cbranch_execz .LBB23_62
; %bb.50:                               ;   in Loop: Header=BB23_14 Depth=3
	s_mov_b32 s76, exec_lo
	v_cmpx_lt_i32_e64 v6, v35
	s_cbranch_execz .LBB23_61
; %bb.51:                               ;   in Loop: Header=BB23_14 Depth=3
	v_mov_b32_e32 v10, v6
	s_mov_b32 s77, 0
                                        ; implicit-def: $sgpr78
                                        ; implicit-def: $sgpr80
                                        ; implicit-def: $sgpr79
	s_inst_prefetch 0x1
	s_branch .LBB23_53
	.p2align	6
.LBB23_52:                              ;   in Loop: Header=BB23_53 Depth=4
	s_or_b32 exec_lo, exec_lo, s81
	s_and_b32 s81, exec_lo, s80
	s_or_b32 s77, s81, s77
	s_andn2_b32 s78, s78, exec_lo
	s_and_b32 s81, s79, exec_lo
	s_or_b32 s78, s78, s81
	s_andn2_b32 exec_lo, exec_lo, s77
	s_cbranch_execz .LBB23_55
.LBB23_53:                              ;   Parent Loop BB23_5 Depth=1
                                        ;     Parent Loop BB23_9 Depth=2
                                        ;       Parent Loop BB23_14 Depth=3
                                        ; =>      This Inner Loop Header: Depth=4
	v_add_nc_u32_e32 v22, v11, v10
	s_or_b32 s79, s79, exec_lo
	s_or_b32 s80, s80, exec_lo
	s_mov_b32 s81, exec_lo
	v_ashrrev_i32_e32 v23, 31, v22
	v_lshlrev_b64 v[24:25], 2, v[22:23]
	v_add_co_u32 v24, vcc_lo, s28, v24
	v_add_co_ci_u32_e64 v25, null, s29, v25, vcc_lo
	global_load_dword v24, v[24:25], off
	s_waitcnt vmcnt(0)
	v_subrev_nc_u32_e32 v24, s64, v24
	v_cmpx_ne_u32_e64 v24, v12
	s_cbranch_execz .LBB23_52
; %bb.54:                               ;   in Loop: Header=BB23_53 Depth=4
	v_add_nc_u32_e32 v10, 1, v10
	s_andn2_b32 s80, s80, exec_lo
	s_andn2_b32 s79, s79, exec_lo
	v_cmp_ge_i32_e32 vcc_lo, v10, v35
	s_and_b32 s82, vcc_lo, exec_lo
	s_or_b32 s80, s80, s82
	s_branch .LBB23_52
.LBB23_55:                              ;   in Loop: Header=BB23_14 Depth=3
	s_inst_prefetch 0x2
	s_or_b32 exec_lo, exec_lo, s77
	s_and_saveexec_b32 s77, s78
	s_xor_b32 s77, exec_lo, s77
	s_cbranch_execz .LBB23_60
; %bb.56:                               ;   in Loop: Header=BB23_14 Depth=3
	v_lshlrev_b64 v[22:23], 3, v[22:23]
	v_add_co_u32 v24, vcc_lo, s14, v22
	v_add_co_ci_u32_e64 v25, null, s15, v23, vcc_lo
	s_andn2_b32 vcc_lo, exec_lo, s58
	global_store_dwordx2 v[24:25], v[20:21], off
	s_cbranch_vccnz .LBB23_60
; %bb.57:                               ;   in Loop: Header=BB23_14 Depth=3
	v_add_co_u32 v22, vcc_lo, s30, v22
	v_add_co_ci_u32_e64 v23, null, s31, v23, vcc_lo
	global_load_dwordx2 v[22:23], v[22:23], off
	s_waitcnt vmcnt(0)
	v_add_f64 v[20:21], v[22:23], -v[20:21]
	v_cmp_class_f64_e64 s79, v[20:21], 0x1f8
	s_and_saveexec_b32 s78, s79
	s_cbranch_execz .LBB23_59
; %bb.58:                               ;   in Loop: Header=BB23_14 Depth=3
	v_cmp_lt_f64_e64 vcc_lo, v[1:2], |v[20:21]|
	v_and_b32_e32 v10, 0x7fffffff, v21
	v_cndmask_b32_e32 v2, v2, v10, vcc_lo
	v_cndmask_b32_e32 v1, v1, v20, vcc_lo
.LBB23_59:                              ;   in Loop: Header=BB23_14 Depth=3
	s_or_b32 exec_lo, exec_lo, s78
.LBB23_60:                              ;   in Loop: Header=BB23_14 Depth=3
	s_or_b32 exec_lo, exec_lo, s77
.LBB23_61:                              ;   in Loop: Header=BB23_14 Depth=3
	s_or_b32 exec_lo, exec_lo, s76
.LBB23_62:                              ;   in Loop: Header=BB23_14 Depth=3
	s_or_b32 exec_lo, exec_lo, s12
	s_or_b32 exec_lo, exec_lo, s75
	s_and_b32 s74, s33, s74
	s_and_saveexec_b32 s12, s74
	s_cbranch_execz .LBB23_13
.LBB23_63:                              ;   in Loop: Header=BB23_14 Depth=3
	s_mov_b32 s74, exec_lo
	v_cmpx_ge_i32_e64 v19, v40
	s_xor_b32 s74, exec_lo, s74
	s_cbranch_execnz .LBB23_69
; %bb.64:                               ;   in Loop: Header=BB23_14 Depth=3
	s_andn2_saveexec_b32 s74, s74
	s_cbranch_execnz .LBB23_78
.LBB23_65:                              ;   in Loop: Header=BB23_14 Depth=3
	s_or_b32 exec_lo, exec_lo, s74
	s_mov_b32 s74, exec_lo
	v_cmpx_eq_u32_e64 v8, v12
	s_cbranch_execz .LBB23_67
.LBB23_66:                              ;   in Loop: Header=BB23_14 Depth=3
	v_lshlrev_b64 v[12:13], 3, v[12:13]
	v_add_co_u32 v12, vcc_lo, s52, v12
	v_add_co_ci_u32_e64 v13, null, s53, v13, vcc_lo
	global_load_dwordx2 v[12:13], v[12:13], off
	s_waitcnt vmcnt(0)
	v_add_f64 v[14:15], v[14:15], v[12:13]
.LBB23_67:                              ;   in Loop: Header=BB23_14 Depth=3
	s_or_b32 exec_lo, exec_lo, s74
	v_add_f64 v[12:13], v[16:17], -v[14:15]
	v_cmp_class_f64_e64 s75, v[12:13], 0x1f8
	s_and_saveexec_b32 s74, s75
	s_cbranch_execz .LBB23_12
; %bb.68:                               ;   in Loop: Header=BB23_14 Depth=3
	v_cmp_lt_f64_e64 vcc_lo, v[4:5], |v[12:13]|
	v_and_b32_e32 v6, 0x7fffffff, v13
	v_cndmask_b32_e32 v5, v5, v6, vcc_lo
	v_cndmask_b32_e32 v4, v4, v12, vcc_lo
	s_branch .LBB23_12
.LBB23_69:                              ;   in Loop: Header=BB23_14 Depth=3
	s_mov_b32 s75, exec_lo
	v_cmpx_lt_i32_e64 v6, v35
	s_cbranch_execz .LBB23_77
; %bb.70:                               ;   in Loop: Header=BB23_14 Depth=3
	s_mov_b32 s76, 0
                                        ; implicit-def: $sgpr77
                                        ; implicit-def: $sgpr79
                                        ; implicit-def: $sgpr78
	s_inst_prefetch 0x1
	s_branch .LBB23_72
	.p2align	6
.LBB23_71:                              ;   in Loop: Header=BB23_72 Depth=4
	s_or_b32 exec_lo, exec_lo, s80
	s_and_b32 s80, exec_lo, s79
	s_or_b32 s76, s80, s76
	s_andn2_b32 s77, s77, exec_lo
	s_and_b32 s80, s78, exec_lo
	s_or_b32 s77, s77, s80
	s_andn2_b32 exec_lo, exec_lo, s76
	s_cbranch_execz .LBB23_74
.LBB23_72:                              ;   Parent Loop BB23_5 Depth=1
                                        ;     Parent Loop BB23_9 Depth=2
                                        ;       Parent Loop BB23_14 Depth=3
                                        ; =>      This Inner Loop Header: Depth=4
	v_add_nc_u32_e32 v18, v11, v6
	s_or_b32 s78, s78, exec_lo
	s_or_b32 s79, s79, exec_lo
	s_mov_b32 s80, exec_lo
	v_ashrrev_i32_e32 v19, 31, v18
	v_lshlrev_b64 v[20:21], 2, v[18:19]
	v_add_co_u32 v20, vcc_lo, s28, v20
	v_add_co_ci_u32_e64 v21, null, s29, v21, vcc_lo
	global_load_dword v10, v[20:21], off
	s_waitcnt vmcnt(0)
	v_subrev_nc_u32_e32 v10, s64, v10
	v_cmpx_ne_u32_e64 v10, v12
	s_cbranch_execz .LBB23_71
; %bb.73:                               ;   in Loop: Header=BB23_72 Depth=4
	v_add_nc_u32_e32 v6, 1, v6
	s_andn2_b32 s79, s79, exec_lo
	s_andn2_b32 s78, s78, exec_lo
	v_cmp_ge_i32_e32 vcc_lo, v6, v35
	s_and_b32 s81, vcc_lo, exec_lo
	s_or_b32 s79, s79, s81
	s_branch .LBB23_71
.LBB23_74:                              ;   in Loop: Header=BB23_14 Depth=3
	s_inst_prefetch 0x2
	s_or_b32 exec_lo, exec_lo, s76
	s_and_saveexec_b32 s76, s77
	s_xor_b32 s76, exec_lo, s76
	s_cbranch_execz .LBB23_76
; %bb.75:                               ;   in Loop: Header=BB23_14 Depth=3
	v_lshlrev_b64 v[18:19], 3, v[18:19]
	v_lshlrev_b64 v[20:21], 3, v[12:13]
	v_add_co_u32 v18, vcc_lo, s30, v18
	v_add_co_ci_u32_e64 v19, null, s31, v19, vcc_lo
	v_add_co_u32 v20, vcc_lo, s52, v20
	v_add_co_ci_u32_e64 v21, null, s53, v21, vcc_lo
	global_load_dwordx2 v[18:19], v[18:19], off
	global_load_dwordx2 v[20:21], v[20:21], off
	s_waitcnt vmcnt(0)
	v_fma_f64 v[14:15], v[18:19], v[20:21], v[14:15]
.LBB23_76:                              ;   in Loop: Header=BB23_14 Depth=3
	s_or_b32 exec_lo, exec_lo, s76
.LBB23_77:                              ;   in Loop: Header=BB23_14 Depth=3
	s_or_b32 exec_lo, exec_lo, s75
                                        ; implicit-def: $vgpr19
                                        ; implicit-def: $vgpr18
                                        ; implicit-def: $vgpr40
	s_andn2_saveexec_b32 s74, s74
	s_cbranch_execz .LBB23_65
.LBB23_78:                              ;   in Loop: Header=BB23_14 Depth=3
	s_mov_b32 s75, 0
                                        ; implicit-def: $sgpr76
                                        ; implicit-def: $sgpr78
                                        ; implicit-def: $sgpr77
	s_inst_prefetch 0x1
	s_branch .LBB23_80
	.p2align	6
.LBB23_79:                              ;   in Loop: Header=BB23_80 Depth=4
	s_or_b32 exec_lo, exec_lo, s79
	s_and_b32 s79, exec_lo, s78
	s_or_b32 s75, s79, s75
	s_andn2_b32 s76, s76, exec_lo
	s_and_b32 s79, s77, exec_lo
	s_or_b32 s76, s76, s79
	s_andn2_b32 exec_lo, exec_lo, s75
	s_cbranch_execz .LBB23_82
.LBB23_80:                              ;   Parent Loop BB23_5 Depth=1
                                        ;     Parent Loop BB23_9 Depth=2
                                        ;       Parent Loop BB23_14 Depth=3
                                        ; =>      This Inner Loop Header: Depth=4
	v_add_nc_u32_e32 v20, v18, v19
	s_or_b32 s77, s77, exec_lo
	s_or_b32 s78, s78, exec_lo
	s_mov_b32 s79, exec_lo
	v_ashrrev_i32_e32 v21, 31, v20
	v_lshlrev_b64 v[22:23], 2, v[20:21]
	v_add_co_u32 v22, vcc_lo, s20, v22
	v_add_co_ci_u32_e64 v23, null, s21, v23, vcc_lo
	global_load_dword v6, v[22:23], off
	s_waitcnt vmcnt(0)
	v_subrev_nc_u32_e32 v6, s65, v6
	v_cmpx_ne_u32_e64 v6, v8
	s_cbranch_execz .LBB23_79
; %bb.81:                               ;   in Loop: Header=BB23_80 Depth=4
	v_add_nc_u32_e32 v19, 1, v19
	s_andn2_b32 s78, s78, exec_lo
	s_andn2_b32 s77, s77, exec_lo
	v_cmp_ge_i32_e32 vcc_lo, v19, v40
	s_and_b32 s80, vcc_lo, exec_lo
	s_or_b32 s78, s78, s80
	s_branch .LBB23_79
.LBB23_82:                              ;   in Loop: Header=BB23_14 Depth=3
	s_inst_prefetch 0x2
	s_or_b32 exec_lo, exec_lo, s75
	s_and_saveexec_b32 s75, s76
	s_xor_b32 s75, exec_lo, s75
	s_cbranch_execz .LBB23_84
; %bb.83:                               ;   in Loop: Header=BB23_14 Depth=3
	v_lshlrev_b64 v[18:19], 3, v[20:21]
	v_add_co_u32 v18, vcc_lo, s22, v18
	v_add_co_ci_u32_e64 v19, null, s23, v19, vcc_lo
	global_load_dwordx2 v[18:19], v[18:19], off
	s_waitcnt vmcnt(0)
	v_add_f64 v[14:15], v[14:15], v[18:19]
.LBB23_84:                              ;   in Loop: Header=BB23_14 Depth=3
	s_or_b32 exec_lo, exec_lo, s75
	s_or_b32 exec_lo, exec_lo, s74
	s_mov_b32 s74, exec_lo
	v_cmpx_eq_u32_e64 v8, v12
	s_cbranch_execnz .LBB23_66
	s_branch .LBB23_67
.LBB23_85:                              ;   in Loop: Header=BB23_5 Depth=1
	v_xor_b32_e32 v6, 2, v28
	v_xor_b32_e32 v3, 1, v28
	s_and_b32 vcc_lo, exec_lo, s58
	s_cbranch_vccnz .LBB23_88
; %bb.86:                               ;   in Loop: Header=BB23_5 Depth=1
	s_andn2_b32 vcc_lo, exec_lo, s33
	s_cbranch_vccz .LBB23_107
.LBB23_87:                              ;   in Loop: Header=BB23_5 Depth=1
	s_and_saveexec_b32 s12, s7
	s_cbranch_execnz .LBB23_126
	s_branch .LBB23_137
.LBB23_88:                              ;   in Loop: Header=BB23_5 Depth=1
	v_cmp_gt_i32_e32 vcc_lo, 32, v6
	v_cmp_gt_i32_e64 s11, 32, v3
	v_cndmask_b32_e32 v8, v28, v6, vcc_lo
	v_cndmask_b32_e64 v10, v28, v3, s11
	v_lshlrev_b32_e32 v9, 2, v8
	v_lshlrev_b32_e32 v10, 2, v10
	ds_bpermute_b32 v8, v9, v1
	ds_bpermute_b32 v9, v9, v2
	s_waitcnt lgkmcnt(0)
	v_cmp_lt_f64_e32 vcc_lo, v[1:2], v[8:9]
	v_cndmask_b32_e32 v2, v2, v9, vcc_lo
	v_cndmask_b32_e32 v1, v1, v8, vcc_lo
	ds_bpermute_b32 v8, v10, v1
	ds_bpermute_b32 v10, v10, v2
	s_and_saveexec_b32 s11, s0
	s_cbranch_execz .LBB23_90
; %bb.89:                               ;   in Loop: Header=BB23_5 Depth=1
	s_waitcnt lgkmcnt(0)
	v_mov_b32_e32 v9, v10
	v_cmp_lt_f64_e32 vcc_lo, v[1:2], v[8:9]
	v_cndmask_b32_e32 v2, v2, v10, vcc_lo
	v_cndmask_b32_e32 v1, v1, v8, vcc_lo
	ds_write_b64 v31, v[1:2]
.LBB23_90:                              ;   in Loop: Header=BB23_5 Depth=1
	s_or_b32 exec_lo, exec_lo, s11
	s_waitcnt lgkmcnt(0)
	s_waitcnt_vscnt null, 0x0
	s_barrier
	buffer_gl0_inv
	s_and_saveexec_b32 s11, s1
	s_cbranch_execz .LBB23_92
; %bb.91:                               ;   in Loop: Header=BB23_5 Depth=1
	ds_read2st64_b64 v[8:11], v29 offset1:2
	s_waitcnt lgkmcnt(0)
	v_cmp_lt_f64_e32 vcc_lo, v[8:9], v[10:11]
	v_cndmask_b32_e32 v2, v9, v11, vcc_lo
	v_cndmask_b32_e32 v1, v8, v10, vcc_lo
	ds_write_b64 v29, v[1:2]
.LBB23_92:                              ;   in Loop: Header=BB23_5 Depth=1
	s_or_b32 exec_lo, exec_lo, s11
	s_waitcnt lgkmcnt(0)
	s_barrier
	buffer_gl0_inv
	s_and_saveexec_b32 s11, s2
	s_cbranch_execz .LBB23_94
; %bb.93:                               ;   in Loop: Header=BB23_5 Depth=1
	ds_read2st64_b64 v[8:11], v29 offset1:1
	s_waitcnt lgkmcnt(0)
	v_cmp_lt_f64_e32 vcc_lo, v[8:9], v[10:11]
	v_cndmask_b32_e32 v2, v9, v11, vcc_lo
	v_cndmask_b32_e32 v1, v8, v10, vcc_lo
	ds_write_b64 v29, v[1:2]
.LBB23_94:                              ;   in Loop: Header=BB23_5 Depth=1
	s_or_b32 exec_lo, exec_lo, s11
	s_waitcnt lgkmcnt(0)
	s_barrier
	buffer_gl0_inv
	s_and_saveexec_b32 s11, s3
	s_cbranch_execz .LBB23_96
; %bb.95:                               ;   in Loop: Header=BB23_5 Depth=1
	ds_read2_b64 v[8:11], v29 offset1:32
	s_waitcnt lgkmcnt(0)
	v_cmp_lt_f64_e32 vcc_lo, v[8:9], v[10:11]
	v_cndmask_b32_e32 v2, v9, v11, vcc_lo
	v_cndmask_b32_e32 v1, v8, v10, vcc_lo
	ds_write_b64 v29, v[1:2]
.LBB23_96:                              ;   in Loop: Header=BB23_5 Depth=1
	s_or_b32 exec_lo, exec_lo, s11
	s_waitcnt lgkmcnt(0)
	s_barrier
	buffer_gl0_inv
	s_and_saveexec_b32 s11, s4
	s_cbranch_execz .LBB23_98
; %bb.97:                               ;   in Loop: Header=BB23_5 Depth=1
	ds_read2_b64 v[8:11], v29 offset1:16
	s_waitcnt lgkmcnt(0)
	v_cmp_lt_f64_e32 vcc_lo, v[8:9], v[10:11]
	v_cndmask_b32_e32 v2, v9, v11, vcc_lo
	v_cndmask_b32_e32 v1, v8, v10, vcc_lo
	ds_write_b64 v29, v[1:2]
.LBB23_98:                              ;   in Loop: Header=BB23_5 Depth=1
	s_or_b32 exec_lo, exec_lo, s11
	s_waitcnt lgkmcnt(0)
	s_barrier
	buffer_gl0_inv
	s_and_saveexec_b32 s11, s5
	s_cbranch_execz .LBB23_100
; %bb.99:                               ;   in Loop: Header=BB23_5 Depth=1
	ds_read2_b64 v[8:11], v29 offset1:8
	s_waitcnt lgkmcnt(0)
	v_cmp_lt_f64_e32 vcc_lo, v[8:9], v[10:11]
	v_cndmask_b32_e32 v2, v9, v11, vcc_lo
	v_cndmask_b32_e32 v1, v8, v10, vcc_lo
	ds_write_b64 v29, v[1:2]
.LBB23_100:                             ;   in Loop: Header=BB23_5 Depth=1
	s_or_b32 exec_lo, exec_lo, s11
	s_waitcnt lgkmcnt(0)
	s_barrier
	buffer_gl0_inv
	s_and_saveexec_b32 s11, s6
	s_cbranch_execz .LBB23_102
; %bb.101:                              ;   in Loop: Header=BB23_5 Depth=1
	ds_read2_b64 v[8:11], v29 offset1:4
	s_waitcnt lgkmcnt(0)
	v_cmp_lt_f64_e32 vcc_lo, v[8:9], v[10:11]
	v_cndmask_b32_e32 v2, v9, v11, vcc_lo
	v_cndmask_b32_e32 v1, v8, v10, vcc_lo
	ds_write_b64 v29, v[1:2]
.LBB23_102:                             ;   in Loop: Header=BB23_5 Depth=1
	s_or_b32 exec_lo, exec_lo, s11
	s_waitcnt lgkmcnt(0)
	s_barrier
	buffer_gl0_inv
	s_and_saveexec_b32 s11, s8
	s_cbranch_execz .LBB23_104
; %bb.103:                              ;   in Loop: Header=BB23_5 Depth=1
	ds_read2_b64 v[8:11], v29 offset1:2
	s_waitcnt lgkmcnt(0)
	v_cmp_lt_f64_e32 vcc_lo, v[8:9], v[10:11]
	v_cndmask_b32_e32 v2, v9, v11, vcc_lo
	v_cndmask_b32_e32 v1, v8, v10, vcc_lo
	ds_write_b64 v29, v[1:2]
.LBB23_104:                             ;   in Loop: Header=BB23_5 Depth=1
	s_or_b32 exec_lo, exec_lo, s11
	s_waitcnt lgkmcnt(0)
	s_barrier
	buffer_gl0_inv
	s_and_saveexec_b32 s11, s9
	s_cbranch_execz .LBB23_106
; %bb.105:                              ;   in Loop: Header=BB23_5 Depth=1
	ds_read_b128 v[8:11], v7
	s_waitcnt lgkmcnt(0)
	v_cmp_lt_f64_e32 vcc_lo, v[8:9], v[10:11]
	v_cndmask_b32_e32 v2, v9, v11, vcc_lo
	v_cndmask_b32_e32 v1, v8, v10, vcc_lo
	ds_write_b64 v7, v[1:2]
.LBB23_106:                             ;   in Loop: Header=BB23_5 Depth=1
	s_or_b32 exec_lo, exec_lo, s11
	s_waitcnt lgkmcnt(0)
	s_barrier
	buffer_gl0_inv
	ds_read_b64 v[1:2], v7
	s_load_dwordx2 s[70:71], s[56:57], 0x0
	s_waitcnt lgkmcnt(0)
	v_div_scale_f64 v[8:9], null, s[70:71], s[70:71], v[1:2]
	v_rcp_f64_e32 v[10:11], v[8:9]
	v_fma_f64 v[12:13], -v[8:9], v[10:11], 1.0
	v_fma_f64 v[10:11], v[10:11], v[12:13], v[10:11]
	v_fma_f64 v[12:13], -v[8:9], v[10:11], 1.0
	v_fma_f64 v[10:11], v[10:11], v[12:13], v[10:11]
	v_div_scale_f64 v[12:13], vcc_lo, v[1:2], s[70:71], v[1:2]
	v_mul_f64 v[14:15], v[12:13], v[10:11]
	v_fma_f64 v[8:9], -v[8:9], v[14:15], v[12:13]
	v_div_fmas_f64 v[8:9], v[8:9], v[10:11], v[14:15]
	v_div_fixup_f64 v[1:2], v[8:9], s[70:71], v[1:2]
	s_andn2_b32 vcc_lo, exec_lo, s33
	s_cbranch_vccnz .LBB23_87
.LBB23_107:                             ;   in Loop: Header=BB23_5 Depth=1
	v_cmp_gt_i32_e32 vcc_lo, 32, v6
	v_cmp_gt_i32_e64 s11, 32, v3
	v_cndmask_b32_e32 v6, v28, v6, vcc_lo
	v_cndmask_b32_e64 v3, v28, v3, s11
	v_lshlrev_b32_e32 v6, 2, v6
	v_lshlrev_b32_e32 v3, 2, v3
	ds_bpermute_b32 v8, v6, v4
	ds_bpermute_b32 v9, v6, v5
	s_waitcnt lgkmcnt(0)
	v_cmp_lt_f64_e32 vcc_lo, v[4:5], v[8:9]
	v_cndmask_b32_e32 v5, v5, v9, vcc_lo
	v_cndmask_b32_e32 v4, v4, v8, vcc_lo
	ds_bpermute_b32 v8, v3, v4
	ds_bpermute_b32 v3, v3, v5
	s_and_saveexec_b32 s11, s0
	s_cbranch_execz .LBB23_109
; %bb.108:                              ;   in Loop: Header=BB23_5 Depth=1
	s_waitcnt lgkmcnt(0)
	v_mov_b32_e32 v9, v3
	v_cmp_lt_f64_e32 vcc_lo, v[4:5], v[8:9]
	v_cndmask_b32_e32 v5, v5, v3, vcc_lo
	v_cndmask_b32_e32 v4, v4, v8, vcc_lo
	ds_write_b64 v31, v[4:5]
.LBB23_109:                             ;   in Loop: Header=BB23_5 Depth=1
	s_or_b32 exec_lo, exec_lo, s11
	s_waitcnt lgkmcnt(0)
	s_waitcnt_vscnt null, 0x0
	s_barrier
	buffer_gl0_inv
	s_and_saveexec_b32 s11, s1
	s_cbranch_execz .LBB23_111
; %bb.110:                              ;   in Loop: Header=BB23_5 Depth=1
	ds_read2st64_b64 v[3:6], v29 offset1:2
	s_waitcnt lgkmcnt(0)
	v_cmp_lt_f64_e32 vcc_lo, v[3:4], v[5:6]
	v_cndmask_b32_e32 v4, v4, v6, vcc_lo
	v_cndmask_b32_e32 v3, v3, v5, vcc_lo
	ds_write_b64 v29, v[3:4]
.LBB23_111:                             ;   in Loop: Header=BB23_5 Depth=1
	s_or_b32 exec_lo, exec_lo, s11
	s_waitcnt lgkmcnt(0)
	s_barrier
	buffer_gl0_inv
	s_and_saveexec_b32 s11, s2
	s_cbranch_execz .LBB23_113
; %bb.112:                              ;   in Loop: Header=BB23_5 Depth=1
	ds_read2st64_b64 v[3:6], v29 offset1:1
	s_waitcnt lgkmcnt(0)
	v_cmp_lt_f64_e32 vcc_lo, v[3:4], v[5:6]
	v_cndmask_b32_e32 v4, v4, v6, vcc_lo
	v_cndmask_b32_e32 v3, v3, v5, vcc_lo
	ds_write_b64 v29, v[3:4]
.LBB23_113:                             ;   in Loop: Header=BB23_5 Depth=1
	s_or_b32 exec_lo, exec_lo, s11
	s_waitcnt lgkmcnt(0)
	s_barrier
	buffer_gl0_inv
	s_and_saveexec_b32 s11, s3
	s_cbranch_execz .LBB23_115
; %bb.114:                              ;   in Loop: Header=BB23_5 Depth=1
	ds_read2_b64 v[3:6], v29 offset1:32
	s_waitcnt lgkmcnt(0)
	v_cmp_lt_f64_e32 vcc_lo, v[3:4], v[5:6]
	v_cndmask_b32_e32 v4, v4, v6, vcc_lo
	v_cndmask_b32_e32 v3, v3, v5, vcc_lo
	ds_write_b64 v29, v[3:4]
.LBB23_115:                             ;   in Loop: Header=BB23_5 Depth=1
	s_or_b32 exec_lo, exec_lo, s11
	s_waitcnt lgkmcnt(0)
	s_barrier
	buffer_gl0_inv
	s_and_saveexec_b32 s11, s4
	s_cbranch_execz .LBB23_117
; %bb.116:                              ;   in Loop: Header=BB23_5 Depth=1
	ds_read2_b64 v[3:6], v29 offset1:16
	s_waitcnt lgkmcnt(0)
	v_cmp_lt_f64_e32 vcc_lo, v[3:4], v[5:6]
	v_cndmask_b32_e32 v4, v4, v6, vcc_lo
	v_cndmask_b32_e32 v3, v3, v5, vcc_lo
	ds_write_b64 v29, v[3:4]
.LBB23_117:                             ;   in Loop: Header=BB23_5 Depth=1
	;; [unrolled: 14-line block ×5, first 2 shown]
	s_or_b32 exec_lo, exec_lo, s11
	s_waitcnt lgkmcnt(0)
	s_barrier
	buffer_gl0_inv
	s_and_saveexec_b32 s11, s9
	s_cbranch_execz .LBB23_125
; %bb.124:                              ;   in Loop: Header=BB23_5 Depth=1
	ds_read_b128 v[3:6], v7
	s_waitcnt lgkmcnt(0)
	v_cmp_lt_f64_e32 vcc_lo, v[3:4], v[5:6]
	v_cndmask_b32_e32 v4, v4, v6, vcc_lo
	v_cndmask_b32_e32 v3, v3, v5, vcc_lo
	ds_write_b64 v7, v[3:4]
.LBB23_125:                             ;   in Loop: Header=BB23_5 Depth=1
	s_or_b32 exec_lo, exec_lo, s11
	s_waitcnt lgkmcnt(0)
	s_barrier
	buffer_gl0_inv
	ds_read_b64 v[3:4], v7
	s_load_dwordx2 s[70:71], s[56:57], 0x0
	s_waitcnt lgkmcnt(0)
	v_div_scale_f64 v[5:6], null, s[70:71], s[70:71], v[3:4]
	v_rcp_f64_e32 v[8:9], v[5:6]
	v_fma_f64 v[10:11], -v[5:6], v[8:9], 1.0
	v_fma_f64 v[8:9], v[8:9], v[10:11], v[8:9]
	v_fma_f64 v[10:11], -v[5:6], v[8:9], 1.0
	v_fma_f64 v[8:9], v[8:9], v[10:11], v[8:9]
	v_div_scale_f64 v[10:11], vcc_lo, v[3:4], s[70:71], v[3:4]
	v_mul_f64 v[12:13], v[10:11], v[8:9]
	v_fma_f64 v[5:6], -v[5:6], v[12:13], v[10:11]
	v_div_fmas_f64 v[5:6], v[5:6], v[8:9], v[12:13]
	v_div_fixup_f64 v[4:5], v[5:6], s[70:71], v[3:4]
	s_and_saveexec_b32 s12, s7
	s_cbranch_execz .LBB23_137
.LBB23_126:                             ;   in Loop: Header=BB23_5 Depth=1
	v_mov_b32_e32 v8, v30
	s_mov_b32 s70, 0
	s_branch .LBB23_128
.LBB23_127:                             ;   in Loop: Header=BB23_128 Depth=2
	s_or_b32 exec_lo, exec_lo, s71
	v_add_nc_u32_e32 v8, 0x100, v8
	v_cmp_le_u32_e32 vcc_lo, s66, v8
	s_or_b32 s70, vcc_lo, s70
	s_andn2_b32 exec_lo, exec_lo, s70
	s_cbranch_execz .LBB23_137
.LBB23_128:                             ;   Parent Loop BB23_5 Depth=1
                                        ; =>  This Loop Header: Depth=2
                                        ;       Child Loop BB23_131 Depth 3
                                        ;       Child Loop BB23_134 Depth 3
	s_mov_b32 s71, exec_lo
	v_cmpx_gt_i32_e64 s59, v8
	s_cbranch_execz .LBB23_127
; %bb.129:                              ;   in Loop: Header=BB23_128 Depth=2
	v_ashrrev_i32_e32 v9, 31, v8
	s_mov_b32 s72, exec_lo
	v_lshlrev_b64 v[10:11], 2, v[8:9]
	v_add_co_u32 v12, vcc_lo, s24, v10
	v_add_co_ci_u32_e64 v13, null, s25, v11, vcc_lo
	v_add_co_u32 v14, vcc_lo, s26, v10
	v_add_co_ci_u32_e64 v15, null, s27, v11, vcc_lo
	global_load_dword v3, v[12:13], off
	global_load_dword v6, v[14:15], off
	s_waitcnt vmcnt(1)
	v_add_nc_u32_e32 v12, v33, v3
	s_waitcnt vmcnt(0)
	v_subrev_nc_u32_e32 v3, s64, v6
	v_cmpx_lt_i32_e64 v12, v3
	s_cbranch_execz .LBB23_132
; %bb.130:                              ;   in Loop: Header=BB23_128 Depth=2
	v_ashrrev_i32_e32 v13, 31, v12
	s_mov_b32 s73, 0
	v_lshlrev_b64 v[15:16], 3, v[12:13]
	v_add_co_u32 v13, vcc_lo, s14, v15
	v_add_co_ci_u32_e64 v14, null, s15, v16, vcc_lo
	v_add_co_u32 v15, vcc_lo, s30, v15
	v_add_co_ci_u32_e64 v16, null, s31, v16, vcc_lo
	.p2align	6
.LBB23_131:                             ;   Parent Loop BB23_5 Depth=1
                                        ;     Parent Loop BB23_128 Depth=2
                                        ; =>    This Inner Loop Header: Depth=3
	global_load_dwordx2 v[17:18], v[13:14], off
	v_add_nc_u32_e32 v12, 4, v12
	v_add_co_u32 v13, vcc_lo, v13, 32
	v_add_co_ci_u32_e64 v14, null, 0, v14, vcc_lo
	v_cmp_ge_i32_e32 vcc_lo, v12, v3
	s_or_b32 s73, vcc_lo, s73
	s_waitcnt vmcnt(0)
	global_store_dwordx2 v[15:16], v[17:18], off
	v_add_co_u32 v15, s11, v15, 32
	v_add_co_ci_u32_e64 v16, null, 0, v16, s11
	s_andn2_b32 exec_lo, exec_lo, s73
	s_cbranch_execnz .LBB23_131
.LBB23_132:                             ;   in Loop: Header=BB23_128 Depth=2
	s_or_b32 exec_lo, exec_lo, s72
	v_add_co_u32 v12, vcc_lo, s16, v10
	v_add_co_ci_u32_e64 v13, null, s17, v11, vcc_lo
	v_add_co_u32 v10, vcc_lo, s18, v10
	v_add_co_ci_u32_e64 v11, null, s19, v11, vcc_lo
	global_load_dword v3, v[12:13], off
	global_load_dword v6, v[10:11], off
	s_mov_b32 s72, exec_lo
	s_waitcnt vmcnt(1)
	v_add_nc_u32_e32 v10, v34, v3
	s_waitcnt vmcnt(0)
	v_subrev_nc_u32_e32 v3, s65, v6
	v_cmpx_lt_i32_e64 v10, v3
	s_cbranch_execz .LBB23_135
; %bb.133:                              ;   in Loop: Header=BB23_128 Depth=2
	v_ashrrev_i32_e32 v11, 31, v10
	s_mov_b32 s73, 0
	v_lshlrev_b64 v[13:14], 3, v[10:11]
	v_add_co_u32 v11, vcc_lo, s34, v13
	v_add_co_ci_u32_e64 v12, null, s35, v14, vcc_lo
	v_add_co_u32 v13, vcc_lo, s22, v13
	v_add_co_ci_u32_e64 v14, null, s23, v14, vcc_lo
	.p2align	6
.LBB23_134:                             ;   Parent Loop BB23_5 Depth=1
                                        ;     Parent Loop BB23_128 Depth=2
                                        ; =>    This Inner Loop Header: Depth=3
	global_load_dwordx2 v[15:16], v[11:12], off
	v_add_nc_u32_e32 v10, 4, v10
	v_add_co_u32 v11, vcc_lo, v11, 32
	v_add_co_ci_u32_e64 v12, null, 0, v12, vcc_lo
	v_cmp_ge_i32_e32 vcc_lo, v10, v3
	s_or_b32 s73, vcc_lo, s73
	s_waitcnt vmcnt(0)
	global_store_dwordx2 v[13:14], v[15:16], off
	v_add_co_u32 v13, s11, v13, 32
	v_add_co_ci_u32_e64 v14, null, 0, v14, s11
	s_andn2_b32 exec_lo, exec_lo, s73
	s_cbranch_execnz .LBB23_134
.LBB23_135:                             ;   in Loop: Header=BB23_128 Depth=2
	s_or_b32 exec_lo, exec_lo, s72
	s_and_b32 exec_lo, exec_lo, s10
	s_cbranch_execz .LBB23_127
; %bb.136:                              ;   in Loop: Header=BB23_128 Depth=2
	v_lshlrev_b64 v[9:10], 3, v[8:9]
	v_add_co_u32 v11, vcc_lo, s54, v9
	v_add_co_ci_u32_e64 v12, null, s55, v10, vcc_lo
	v_add_co_u32 v9, vcc_lo, s52, v9
	v_add_co_ci_u32_e64 v10, null, s53, v10, vcc_lo
	global_load_dwordx2 v[11:12], v[11:12], off
	s_waitcnt vmcnt(0)
	global_store_dwordx2 v[9:10], v[11:12], off
	s_branch .LBB23_127
.LBB23_137:                             ;   in Loop: Header=BB23_5 Depth=1
	s_or_b32 exec_lo, exec_lo, s12
	s_mov_b32 s12, -1
	s_and_b32 vcc_lo, exec_lo, s60
	s_mov_b32 s70, -1
	s_cbranch_vccz .LBB23_147
; %bb.138:                              ;   in Loop: Header=BB23_5 Depth=1
	s_and_b32 vcc_lo, exec_lo, s68
	s_mov_b32 s11, -1
                                        ; implicit-def: $sgpr70
	s_cbranch_vccz .LBB23_144
; %bb.139:                              ;   in Loop: Header=BB23_5 Depth=1
	s_and_b32 vcc_lo, exec_lo, s67
                                        ; implicit-def: $sgpr70
	s_cbranch_vccz .LBB23_141
; %bb.140:                              ;   in Loop: Header=BB23_5 Depth=1
	v_cmp_ge_f64_e64 s70, s[50:51], v[4:5]
	s_mov_b32 s11, 0
.LBB23_141:                             ;   in Loop: Header=BB23_5 Depth=1
	s_andn2_b32 vcc_lo, exec_lo, s11
	s_cbranch_vccnz .LBB23_143
; %bb.142:                              ;   in Loop: Header=BB23_5 Depth=1
	v_cmp_ge_f64_e32 vcc_lo, s[50:51], v[1:2]
	s_andn2_b32 s11, s70, exec_lo
	s_and_b32 s70, vcc_lo, exec_lo
	s_or_b32 s70, s11, s70
.LBB23_143:                             ;   in Loop: Header=BB23_5 Depth=1
	s_mov_b32 s11, 0
.LBB23_144:                             ;   in Loop: Header=BB23_5 Depth=1
	s_andn2_b32 vcc_lo, exec_lo, s11
	s_cbranch_vccnz .LBB23_146
; %bb.145:                              ;   in Loop: Header=BB23_5 Depth=1
	v_cmp_ge_f64_e32 vcc_lo, s[50:51], v[1:2]
	v_cmp_ge_f64_e64 s11, s[50:51], v[4:5]
	s_andn2_b32 s70, s70, exec_lo
	s_and_b32 s11, vcc_lo, s11
	s_and_b32 s11, s11, exec_lo
	s_or_b32 s70, s70, s11
.LBB23_146:                             ;   in Loop: Header=BB23_5 Depth=1
	s_xor_b32 s70, s70, -1
.LBB23_147:                             ;   in Loop: Header=BB23_5 Depth=1
	v_mov_b32_e32 v3, s69
	s_and_saveexec_b32 s11, s70
	s_cbranch_execz .LBB23_4
; %bb.148:                              ;   in Loop: Header=BB23_5 Depth=1
	s_add_i32 s69, s69, 1
	v_mov_b32_e32 v3, s13
	s_cmp_eq_u32 s69, s13
	s_cselect_b32 s12, -1, 0
	s_orn2_b32 s12, s12, exec_lo
	s_branch .LBB23_4
.LBB23_149:
	s_or_b32 exec_lo, exec_lo, s61
	s_or_b32 exec_lo, exec_lo, s62
	s_andn2_b32 vcc_lo, exec_lo, s60
	s_cbranch_vccnz .LBB23_2
.LBB23_150:
	v_xor_b32_e32 v6, 2, v28
	v_xor_b32_e32 v7, 1, v28
	s_mov_b32 s0, exec_lo
	v_cmp_gt_i32_e32 vcc_lo, 32, v6
	v_cndmask_b32_e32 v6, v28, v6, vcc_lo
	v_cmp_gt_i32_e32 vcc_lo, 32, v7
	v_lshlrev_b32_e32 v6, 2, v6
	v_cndmask_b32_e32 v7, v28, v7, vcc_lo
	ds_bpermute_b32 v6, v6, v3
	s_waitcnt lgkmcnt(0)
	v_max_i32_e32 v3, v3, v6
	v_lshlrev_b32_e32 v6, 2, v7
	ds_bpermute_b32 v6, v6, v3
	v_cmpx_eq_u32_e32 3, v27
	s_cbranch_execz .LBB23_152
; %bb.151:
	v_lshlrev_b32_e32 v7, 2, v26
	s_waitcnt lgkmcnt(0)
	v_max_i32_e32 v3, v3, v6
	ds_write_b32 v7, v3 offset:2048
.LBB23_152:
	s_or_b32 exec_lo, exec_lo, s0
	v_lshlrev_b32_e32 v3, 2, v0
	s_mov_b32 s0, exec_lo
	s_waitcnt lgkmcnt(0)
	s_waitcnt_vscnt null, 0x0
	s_barrier
	buffer_gl0_inv
	v_cmpx_gt_u32_e32 0x80, v0
	s_cbranch_execz .LBB23_154
; %bb.153:
	ds_read2st64_b32 v[6:7], v3 offset0:8 offset1:10
	s_waitcnt lgkmcnt(0)
	v_max_i32_e32 v6, v6, v7
	ds_write_b32 v3, v6 offset:2048
.LBB23_154:
	s_or_b32 exec_lo, exec_lo, s0
	s_mov_b32 s0, exec_lo
	s_waitcnt lgkmcnt(0)
	s_barrier
	buffer_gl0_inv
	v_cmpx_gt_u32_e32 64, v0
	s_cbranch_execz .LBB23_156
; %bb.155:
	ds_read2st64_b32 v[6:7], v3 offset0:8 offset1:9
	s_waitcnt lgkmcnt(0)
	v_max_i32_e32 v6, v6, v7
	ds_write_b32 v3, v6 offset:2048
.LBB23_156:
	s_or_b32 exec_lo, exec_lo, s0
	s_mov_b32 s0, exec_lo
	s_waitcnt lgkmcnt(0)
	s_barrier
	buffer_gl0_inv
	v_cmpx_gt_u32_e32 32, v0
	s_cbranch_execz .LBB23_158
; %bb.157:
	v_add_nc_u32_e32 v6, 0x800, v3
	ds_read2_b32 v[6:7], v6 offset1:32
	s_waitcnt lgkmcnt(0)
	v_max_i32_e32 v6, v6, v7
	ds_write_b32 v3, v6 offset:2048
.LBB23_158:
	s_or_b32 exec_lo, exec_lo, s0
	s_mov_b32 s0, exec_lo
	s_waitcnt lgkmcnt(0)
	s_barrier
	buffer_gl0_inv
	v_cmpx_gt_u32_e32 16, v0
	s_cbranch_execz .LBB23_160
; %bb.159:
	v_add_nc_u32_e32 v6, 0x800, v3
	ds_read2_b32 v[6:7], v6 offset1:16
	s_waitcnt lgkmcnt(0)
	v_max_i32_e32 v6, v6, v7
	ds_write_b32 v3, v6 offset:2048
.LBB23_160:
	;; [unrolled: 14-line block ×5, first 2 shown]
	s_or_b32 exec_lo, exec_lo, s0
	v_cmp_eq_u32_e32 vcc_lo, 0, v0
	s_waitcnt lgkmcnt(0)
	s_barrier
	buffer_gl0_inv
	s_and_saveexec_b32 s0, vcc_lo
	s_cbranch_execz .LBB23_168
; %bb.167:
	v_mov_b32_e32 v3, 0
	ds_read_b64 v[6:7], v3 offset:2048
	s_waitcnt lgkmcnt(0)
	v_max_i32_e32 v6, v6, v7
	ds_write_b32 v3, v6 offset:2048
.LBB23_168:
	s_or_b32 exec_lo, exec_lo, s0
	s_waitcnt lgkmcnt(0)
	s_barrier
	buffer_gl0_inv
	s_and_saveexec_b32 s0, vcc_lo
	s_cbranch_execz .LBB23_171
; %bb.169:
	v_mbcnt_lo_u32_b32 v3, exec_lo, 0
	v_cmp_eq_u32_e32 vcc_lo, 0, v3
	s_and_b32 exec_lo, exec_lo, vcc_lo
	s_cbranch_execz .LBB23_171
; %bb.170:
	v_mov_b32_e32 v3, 0
	ds_read_b32 v6, v3 offset:2048
	s_waitcnt lgkmcnt(0)
	v_add_nc_u32_e32 v6, 1, v6
	global_atomic_smax v3, v6, s[48:49]
.LBB23_171:
	s_or_b32 exec_lo, exec_lo, s0
	v_cmp_eq_u32_e32 vcc_lo, 0, v0
	s_and_b32 s0, vcc_lo, s58
	s_and_saveexec_b32 s1, s0
	s_cbranch_execz .LBB23_178
.LBB23_172:
	v_mov_b32_e32 v6, 0
	v_mov_b32_e32 v7, 0x7ff80000
	s_mov_b32 s0, exec_lo
.LBB23_173:                             ; =>This Inner Loop Header: Depth=1
	s_ff1_i32_b32 s4, s0
	v_max_f64 v[6:7], v[6:7], v[6:7]
	v_readlane_b32 s3, v2, s4
	v_readlane_b32 s2, v1, s4
	v_max_f64 v[8:9], s[2:3], s[2:3]
	s_lshl_b32 s2, 1, s4
	s_andn2_b32 s0, s0, s2
	s_cmp_lg_u32 s0, 0
	v_max_f64 v[6:7], v[6:7], v[8:9]
	s_cbranch_scc1 .LBB23_173
; %bb.174:
	v_mbcnt_lo_u32_b32 v0, exec_lo, 0
	s_mov_b32 s2, 0
	s_mov_b32 s3, exec_lo
	v_cmpx_eq_u32_e32 0, v0
	s_xor_b32 s3, exec_lo, s3
	s_cbranch_execz .LBB23_178
; %bb.175:
	v_mov_b32_e32 v8, 0
	v_max_f64 v[6:7], v[6:7], v[6:7]
	global_load_dwordx2 v[2:3], v8, s[44:45]
.LBB23_176:                             ; =>This Inner Loop Header: Depth=1
	s_waitcnt vmcnt(0)
	v_max_f64 v[0:1], v[2:3], v[2:3]
	v_max_f64 v[0:1], v[0:1], v[6:7]
	global_atomic_cmpswap_x2 v[0:1], v8, v[0:3], s[44:45] glc
	s_waitcnt vmcnt(0)
	v_cmp_eq_u64_e64 s0, v[0:1], v[2:3]
	v_mov_b32_e32 v3, v1
	v_mov_b32_e32 v2, v0
	s_or_b32 s2, s0, s2
	s_andn2_b32 exec_lo, exec_lo, s2
	s_cbranch_execnz .LBB23_176
; %bb.177:
	s_or_b32 exec_lo, exec_lo, s2
.LBB23_178:
	s_or_b32 exec_lo, exec_lo, s1
	s_and_b32 s0, vcc_lo, s33
	s_and_saveexec_b32 s1, s0
	s_cbranch_execz .LBB23_184
; %bb.179:
	v_mov_b32_e32 v0, 0
	v_mov_b32_e32 v1, 0x7ff80000
	s_mov_b32 s0, exec_lo
.LBB23_180:                             ; =>This Inner Loop Header: Depth=1
	s_ff1_i32_b32 s1, s0
	v_max_f64 v[0:1], v[0:1], v[0:1]
	v_readlane_b32 s3, v5, s1
	v_readlane_b32 s2, v4, s1
	s_lshl_b32 s1, 1, s1
	s_andn2_b32 s0, s0, s1
	v_max_f64 v[2:3], s[2:3], s[2:3]
	s_cmp_lg_u32 s0, 0
	v_max_f64 v[0:1], v[0:1], v[2:3]
	s_cbranch_scc1 .LBB23_180
; %bb.181:
	v_mbcnt_lo_u32_b32 v2, exec_lo, 0
	s_mov_b32 s0, 0
	s_mov_b32 s1, exec_lo
	v_cmpx_eq_u32_e32 0, v2
	s_xor_b32 s1, exec_lo, s1
	s_cbranch_execz .LBB23_184
; %bb.182:
	v_mov_b32_e32 v6, 0
	v_max_f64 v[4:5], v[0:1], v[0:1]
	global_load_dwordx2 v[2:3], v6, s[46:47]
.LBB23_183:                             ; =>This Inner Loop Header: Depth=1
	s_waitcnt vmcnt(0)
	v_max_f64 v[0:1], v[2:3], v[2:3]
	v_max_f64 v[0:1], v[0:1], v[4:5]
	global_atomic_cmpswap_x2 v[0:1], v6, v[0:3], s[46:47] glc
	s_waitcnt vmcnt(0)
	v_cmp_eq_u64_e32 vcc_lo, v[0:1], v[2:3]
	v_mov_b32_e32 v3, v1
	v_mov_b32_e32 v2, v0
	s_or_b32 s0, vcc_lo, s0
	s_andn2_b32 exec_lo, exec_lo, s0
	s_cbranch_execnz .LBB23_183
.LBB23_184:
	s_endpgm
	.section	.rodata,"a",@progbits
	.p2align	6, 0x0
	.amdhsa_kernel _ZN9rocsparseL6kernelILi1024ELi4EdiiEEvbbbT3_PS1_NS_15floating_traitsIT1_E6data_tES1_T2_PKS7_S9_PKS1_PKS4_21rocsparse_index_base_S9_S9_SB_PS4_SF_SE_S9_S9_SB_SF_SF_SE_SF_SF_PS6_SG_PKS6_
		.amdhsa_group_segment_fixed_size 3072
		.amdhsa_private_segment_fixed_size 0
		.amdhsa_kernarg_size 208
		.amdhsa_user_sgpr_count 6
		.amdhsa_user_sgpr_private_segment_buffer 1
		.amdhsa_user_sgpr_dispatch_ptr 0
		.amdhsa_user_sgpr_queue_ptr 0
		.amdhsa_user_sgpr_kernarg_segment_ptr 1
		.amdhsa_user_sgpr_dispatch_id 0
		.amdhsa_user_sgpr_flat_scratch_init 0
		.amdhsa_user_sgpr_private_segment_size 0
		.amdhsa_wavefront_size32 1
		.amdhsa_uses_dynamic_stack 0
		.amdhsa_system_sgpr_private_segment_wavefront_offset 0
		.amdhsa_system_sgpr_workgroup_id_x 1
		.amdhsa_system_sgpr_workgroup_id_y 0
		.amdhsa_system_sgpr_workgroup_id_z 0
		.amdhsa_system_sgpr_workgroup_info 0
		.amdhsa_system_vgpr_workitem_id 0
		.amdhsa_next_free_vgpr 47
		.amdhsa_next_free_sgpr 84
		.amdhsa_reserve_vcc 1
		.amdhsa_reserve_flat_scratch 0
		.amdhsa_float_round_mode_32 0
		.amdhsa_float_round_mode_16_64 0
		.amdhsa_float_denorm_mode_32 3
		.amdhsa_float_denorm_mode_16_64 3
		.amdhsa_dx10_clamp 1
		.amdhsa_ieee_mode 1
		.amdhsa_fp16_overflow 0
		.amdhsa_workgroup_processor_mode 1
		.amdhsa_memory_ordered 1
		.amdhsa_forward_progress 1
		.amdhsa_shared_vgpr_count 0
		.amdhsa_exception_fp_ieee_invalid_op 0
		.amdhsa_exception_fp_denorm_src 0
		.amdhsa_exception_fp_ieee_div_zero 0
		.amdhsa_exception_fp_ieee_overflow 0
		.amdhsa_exception_fp_ieee_underflow 0
		.amdhsa_exception_fp_ieee_inexact 0
		.amdhsa_exception_int_div_zero 0
	.end_amdhsa_kernel
	.section	.text._ZN9rocsparseL6kernelILi1024ELi4EdiiEEvbbbT3_PS1_NS_15floating_traitsIT1_E6data_tES1_T2_PKS7_S9_PKS1_PKS4_21rocsparse_index_base_S9_S9_SB_PS4_SF_SE_S9_S9_SB_SF_SF_SE_SF_SF_PS6_SG_PKS6_,"axG",@progbits,_ZN9rocsparseL6kernelILi1024ELi4EdiiEEvbbbT3_PS1_NS_15floating_traitsIT1_E6data_tES1_T2_PKS7_S9_PKS1_PKS4_21rocsparse_index_base_S9_S9_SB_PS4_SF_SE_S9_S9_SB_SF_SF_SE_SF_SF_PS6_SG_PKS6_,comdat
.Lfunc_end23:
	.size	_ZN9rocsparseL6kernelILi1024ELi4EdiiEEvbbbT3_PS1_NS_15floating_traitsIT1_E6data_tES1_T2_PKS7_S9_PKS1_PKS4_21rocsparse_index_base_S9_S9_SB_PS4_SF_SE_S9_S9_SB_SF_SF_SE_SF_SF_PS6_SG_PKS6_, .Lfunc_end23-_ZN9rocsparseL6kernelILi1024ELi4EdiiEEvbbbT3_PS1_NS_15floating_traitsIT1_E6data_tES1_T2_PKS7_S9_PKS1_PKS4_21rocsparse_index_base_S9_S9_SB_PS4_SF_SE_S9_S9_SB_SF_SF_SE_SF_SF_PS6_SG_PKS6_
                                        ; -- End function
	.set _ZN9rocsparseL6kernelILi1024ELi4EdiiEEvbbbT3_PS1_NS_15floating_traitsIT1_E6data_tES1_T2_PKS7_S9_PKS1_PKS4_21rocsparse_index_base_S9_S9_SB_PS4_SF_SE_S9_S9_SB_SF_SF_SE_SF_SF_PS6_SG_PKS6_.num_vgpr, 47
	.set _ZN9rocsparseL6kernelILi1024ELi4EdiiEEvbbbT3_PS1_NS_15floating_traitsIT1_E6data_tES1_T2_PKS7_S9_PKS1_PKS4_21rocsparse_index_base_S9_S9_SB_PS4_SF_SE_S9_S9_SB_SF_SF_SE_SF_SF_PS6_SG_PKS6_.num_agpr, 0
	.set _ZN9rocsparseL6kernelILi1024ELi4EdiiEEvbbbT3_PS1_NS_15floating_traitsIT1_E6data_tES1_T2_PKS7_S9_PKS1_PKS4_21rocsparse_index_base_S9_S9_SB_PS4_SF_SE_S9_S9_SB_SF_SF_SE_SF_SF_PS6_SG_PKS6_.numbered_sgpr, 84
	.set _ZN9rocsparseL6kernelILi1024ELi4EdiiEEvbbbT3_PS1_NS_15floating_traitsIT1_E6data_tES1_T2_PKS7_S9_PKS1_PKS4_21rocsparse_index_base_S9_S9_SB_PS4_SF_SE_S9_S9_SB_SF_SF_SE_SF_SF_PS6_SG_PKS6_.num_named_barrier, 0
	.set _ZN9rocsparseL6kernelILi1024ELi4EdiiEEvbbbT3_PS1_NS_15floating_traitsIT1_E6data_tES1_T2_PKS7_S9_PKS1_PKS4_21rocsparse_index_base_S9_S9_SB_PS4_SF_SE_S9_S9_SB_SF_SF_SE_SF_SF_PS6_SG_PKS6_.private_seg_size, 0
	.set _ZN9rocsparseL6kernelILi1024ELi4EdiiEEvbbbT3_PS1_NS_15floating_traitsIT1_E6data_tES1_T2_PKS7_S9_PKS1_PKS4_21rocsparse_index_base_S9_S9_SB_PS4_SF_SE_S9_S9_SB_SF_SF_SE_SF_SF_PS6_SG_PKS6_.uses_vcc, 1
	.set _ZN9rocsparseL6kernelILi1024ELi4EdiiEEvbbbT3_PS1_NS_15floating_traitsIT1_E6data_tES1_T2_PKS7_S9_PKS1_PKS4_21rocsparse_index_base_S9_S9_SB_PS4_SF_SE_S9_S9_SB_SF_SF_SE_SF_SF_PS6_SG_PKS6_.uses_flat_scratch, 0
	.set _ZN9rocsparseL6kernelILi1024ELi4EdiiEEvbbbT3_PS1_NS_15floating_traitsIT1_E6data_tES1_T2_PKS7_S9_PKS1_PKS4_21rocsparse_index_base_S9_S9_SB_PS4_SF_SE_S9_S9_SB_SF_SF_SE_SF_SF_PS6_SG_PKS6_.has_dyn_sized_stack, 0
	.set _ZN9rocsparseL6kernelILi1024ELi4EdiiEEvbbbT3_PS1_NS_15floating_traitsIT1_E6data_tES1_T2_PKS7_S9_PKS1_PKS4_21rocsparse_index_base_S9_S9_SB_PS4_SF_SE_S9_S9_SB_SF_SF_SE_SF_SF_PS6_SG_PKS6_.has_recursion, 0
	.set _ZN9rocsparseL6kernelILi1024ELi4EdiiEEvbbbT3_PS1_NS_15floating_traitsIT1_E6data_tES1_T2_PKS7_S9_PKS1_PKS4_21rocsparse_index_base_S9_S9_SB_PS4_SF_SE_S9_S9_SB_SF_SF_SE_SF_SF_PS6_SG_PKS6_.has_indirect_call, 0
	.section	.AMDGPU.csdata,"",@progbits
; Kernel info:
; codeLenInByte = 6516
; TotalNumSgprs: 86
; NumVgprs: 47
; ScratchSize: 0
; MemoryBound: 1
; FloatMode: 240
; IeeeMode: 1
; LDSByteSize: 3072 bytes/workgroup (compile time only)
; SGPRBlocks: 0
; VGPRBlocks: 5
; NumSGPRsForWavesPerEU: 86
; NumVGPRsForWavesPerEU: 47
; Occupancy: 16
; WaveLimiterHint : 1
; COMPUTE_PGM_RSRC2:SCRATCH_EN: 0
; COMPUTE_PGM_RSRC2:USER_SGPR: 6
; COMPUTE_PGM_RSRC2:TRAP_HANDLER: 0
; COMPUTE_PGM_RSRC2:TGID_X_EN: 1
; COMPUTE_PGM_RSRC2:TGID_Y_EN: 0
; COMPUTE_PGM_RSRC2:TGID_Z_EN: 0
; COMPUTE_PGM_RSRC2:TIDIG_COMP_CNT: 0
	.section	.text._ZN9rocsparseL6kernelILi1024ELi8EdiiEEvbbbT3_PS1_NS_15floating_traitsIT1_E6data_tES1_T2_PKS7_S9_PKS1_PKS4_21rocsparse_index_base_S9_S9_SB_PS4_SF_SE_S9_S9_SB_SF_SF_SE_SF_SF_PS6_SG_PKS6_,"axG",@progbits,_ZN9rocsparseL6kernelILi1024ELi8EdiiEEvbbbT3_PS1_NS_15floating_traitsIT1_E6data_tES1_T2_PKS7_S9_PKS1_PKS4_21rocsparse_index_base_S9_S9_SB_PS4_SF_SE_S9_S9_SB_SF_SF_SE_SF_SF_PS6_SG_PKS6_,comdat
	.globl	_ZN9rocsparseL6kernelILi1024ELi8EdiiEEvbbbT3_PS1_NS_15floating_traitsIT1_E6data_tES1_T2_PKS7_S9_PKS1_PKS4_21rocsparse_index_base_S9_S9_SB_PS4_SF_SE_S9_S9_SB_SF_SF_SE_SF_SF_PS6_SG_PKS6_ ; -- Begin function _ZN9rocsparseL6kernelILi1024ELi8EdiiEEvbbbT3_PS1_NS_15floating_traitsIT1_E6data_tES1_T2_PKS7_S9_PKS1_PKS4_21rocsparse_index_base_S9_S9_SB_PS4_SF_SE_S9_S9_SB_SF_SF_SE_SF_SF_PS6_SG_PKS6_
	.p2align	8
	.type	_ZN9rocsparseL6kernelILi1024ELi8EdiiEEvbbbT3_PS1_NS_15floating_traitsIT1_E6data_tES1_T2_PKS7_S9_PKS1_PKS4_21rocsparse_index_base_S9_S9_SB_PS4_SF_SE_S9_S9_SB_SF_SF_SE_SF_SF_PS6_SG_PKS6_,@function
_ZN9rocsparseL6kernelILi1024ELi8EdiiEEvbbbT3_PS1_NS_15floating_traitsIT1_E6data_tES1_T2_PKS7_S9_PKS1_PKS4_21rocsparse_index_base_S9_S9_SB_PS4_SF_SE_S9_S9_SB_SF_SF_SE_SF_SF_PS6_SG_PKS6_: ; @_ZN9rocsparseL6kernelILi1024ELi8EdiiEEvbbbT3_PS1_NS_15floating_traitsIT1_E6data_tES1_T2_PKS7_S9_PKS1_PKS4_21rocsparse_index_base_S9_S9_SB_PS4_SF_SE_S9_S9_SB_SF_SF_SE_SF_SF_PS6_SG_PKS6_
; %bb.0:
	s_clause 0x4
	s_load_dword s0, s[4:5], 0x0
	s_load_dwordx2 s[34:35], s[4:5], 0x0
	s_load_dword s59, s[4:5], 0x18
	s_load_dwordx4 s[44:47], s[4:5], 0x8
	s_load_dwordx4 s[28:31], s[4:5], 0xb8
	v_lshrrev_b32_e32 v26, 3, v0
	v_mov_b32_e32 v3, 0
	v_lshlrev_b32_e32 v29, 3, v0
	v_mov_b32_e32 v1, 0
	v_and_b32_e32 v27, 7, v0
	v_mov_b32_e32 v2, 0
	v_mov_b32_e32 v4, v3
	v_mbcnt_lo_u32_b32 v28, -1, 0
	ds_write_b64 v29, v[3:4]
	v_mov_b32_e32 v4, 0
	v_mov_b32_e32 v5, 0
	s_waitcnt lgkmcnt(0)
	s_bitcmp1_b32 s0, 0
	s_barrier
	s_cselect_b32 s60, -1, 0
	s_bitcmp1_b32 s0, 8
	buffer_gl0_inv
	s_cselect_b32 s58, -1, 0
	s_bitcmp1_b32 s34, 16
	s_mov_b32 s34, 0
	s_cselect_b32 s33, -1, 0
	s_lshl_b32 s65, s6, 10
	s_cmp_gt_i32 s35, 0
	v_or_b32_e32 v30, s65, v26
	s_cselect_b32 s0, -1, 0
	v_cmp_gt_i32_e32 vcc_lo, s59, v30
	s_and_b32 s0, s0, vcc_lo
	s_and_saveexec_b32 s61, s0
	s_cbranch_execnz .LBB24_3
; %bb.1:
	s_or_b32 exec_lo, exec_lo, s61
	s_andn2_b32 vcc_lo, exec_lo, s60
	s_cbranch_vccz .LBB24_146
.LBB24_2:
	v_cmp_eq_u32_e32 vcc_lo, 0, v0
	s_and_b32 s0, vcc_lo, s58
	s_and_saveexec_b32 s1, s0
	s_cbranch_execnz .LBB24_166
	s_branch .LBB24_172
.LBB24_3:
	s_clause 0x9
	s_load_dword s62, s[4:5], 0x40
	s_load_dword s63, s[4:5], 0x70
	s_load_dwordx2 s[52:53], s[4:5], 0x98
	s_load_dword s64, s[4:5], 0xa0
	s_load_dwordx2 s[54:55], s[4:5], 0x68
	s_load_dwordx2 s[56:57], s[4:5], 0xc8
	s_load_dwordx4 s[48:51], s[4:5], 0xa8
	s_load_dwordx8 s[12:19], s[4:5], 0x78
	s_load_dwordx8 s[20:27], s[4:5], 0x48
	;; [unrolled: 1-line block ×3, first 2 shown]
	s_addk_i32 s65, 0x400
	v_mov_b32_e32 v1, 0
	v_mov_b32_e32 v4, 0
	v_cmp_eq_u32_e64 s0, 7, v27
	v_lshlrev_b32_e32 v31, 3, v26
	v_cmp_gt_u32_e64 s1, 64, v0
	v_cmp_gt_u32_e64 s2, 32, v0
	;; [unrolled: 1-line block ×7, first 2 shown]
	s_waitcnt lgkmcnt(0)
	v_subrev_nc_u32_e32 v32, s62, v27
	v_cmp_eq_u32_e64 s8, 0, v0
	v_subrev_nc_u32_e32 v33, s63, v27
	v_subrev_nc_u32_e32 v34, s64, v27
	v_cmp_eq_u32_e64 s9, 0, v27
	v_mov_b32_e32 v2, 0
	v_mov_b32_e32 v5, 0
	;; [unrolled: 1-line block ×3, first 2 shown]
	s_and_b32 s10, s58, s33
	s_xor_b32 s66, s58, -1
	s_xor_b32 s67, s10, -1
	s_mov_b32 s68, 0
	s_branch .LBB24_5
.LBB24_4:                               ;   in Loop: Header=BB24_5 Depth=1
	s_or_b32 exec_lo, exec_lo, s10
	s_and_b32 s10, exec_lo, s11
	s_or_b32 s34, s10, s34
	s_andn2_b32 exec_lo, exec_lo, s34
	s_cbranch_execz .LBB24_145
.LBB24_5:                               ; =>This Loop Header: Depth=1
                                        ;     Child Loop BB24_9 Depth 2
                                        ;       Child Loop BB24_14 Depth 3
                                        ;         Child Loop BB24_18 Depth 4
                                        ;         Child Loop BB24_39 Depth 4
	;; [unrolled: 1-line block ×5, first 2 shown]
                                        ;     Child Loop BB24_124 Depth 2
                                        ;       Child Loop BB24_127 Depth 3
                                        ;       Child Loop BB24_130 Depth 3
	v_cndmask_b32_e64 v2, v2, 0, s58
	v_cndmask_b32_e64 v1, v1, 0, s58
	;; [unrolled: 1-line block ×4, first 2 shown]
	s_mov_b32 s69, 0
	s_branch .LBB24_9
.LBB24_6:                               ;   in Loop: Header=BB24_9 Depth=2
	s_or_b32 exec_lo, exec_lo, s72
.LBB24_7:                               ;   in Loop: Header=BB24_9 Depth=2
	s_or_b32 exec_lo, exec_lo, s71
.LBB24_8:                               ;   in Loop: Header=BB24_9 Depth=2
	s_or_b32 exec_lo, exec_lo, s70
	s_add_i32 s69, s69, 1
	s_cmp_eq_u32 s69, 8
	s_cbranch_scc1 .LBB24_85
.LBB24_9:                               ;   Parent Loop BB24_5 Depth=1
                                        ; =>  This Loop Header: Depth=2
                                        ;       Child Loop BB24_14 Depth 3
                                        ;         Child Loop BB24_18 Depth 4
                                        ;         Child Loop BB24_39 Depth 4
	;; [unrolled: 1-line block ×5, first 2 shown]
	v_lshl_add_u32 v8, s69, 7, v30
	s_mov_b32 s70, exec_lo
	v_cmpx_gt_i32_e64 s59, v8
	s_cbranch_execz .LBB24_8
; %bb.10:                               ;   in Loop: Header=BB24_9 Depth=2
	v_ashrrev_i32_e32 v9, 31, v8
	s_mov_b32 s71, exec_lo
	v_lshlrev_b64 v[10:11], 2, v[8:9]
	v_add_co_u32 v12, vcc_lo, s36, v10
	v_add_co_ci_u32_e64 v13, null, s37, v11, vcc_lo
	v_add_co_u32 v14, vcc_lo, s38, v10
	v_add_co_ci_u32_e64 v15, null, s39, v11, vcc_lo
	global_load_dword v3, v[12:13], off
	global_load_dword v6, v[14:15], off
	s_waitcnt vmcnt(1)
	v_add_nc_u32_e32 v9, v32, v3
	s_waitcnt vmcnt(0)
	v_subrev_nc_u32_e32 v3, s62, v6
	v_cmpx_lt_i32_e64 v9, v3
	s_cbranch_execz .LBB24_7
; %bb.11:                               ;   in Loop: Header=BB24_9 Depth=2
	v_add_co_u32 v12, vcc_lo, s20, v10
	v_add_co_ci_u32_e64 v13, null, s21, v11, vcc_lo
	v_add_co_u32 v10, vcc_lo, s22, v10
	v_add_co_ci_u32_e64 v11, null, s23, v11, vcc_lo
	global_load_dword v6, v[12:13], off
	s_mov_b32 s72, 0
	global_load_dword v10, v[10:11], off
	s_waitcnt vmcnt(1)
	v_subrev_nc_u32_e32 v11, s63, v6
	s_waitcnt vmcnt(0)
	v_sub_nc_u32_e32 v35, v10, v6
	v_ashrrev_i32_e32 v12, 31, v11
	v_cmp_lt_i32_e64 s10, 0, v35
	v_lshlrev_b64 v[13:14], 2, v[11:12]
	v_lshlrev_b64 v[15:16], 3, v[11:12]
	v_add_co_u32 v36, vcc_lo, s24, v13
	v_add_co_ci_u32_e64 v37, null, s25, v14, vcc_lo
	v_add_co_u32 v38, vcc_lo, s26, v15
	v_add_co_ci_u32_e64 v39, null, s27, v16, vcc_lo
	s_branch .LBB24_14
.LBB24_12:                              ;   in Loop: Header=BB24_14 Depth=3
	s_or_b32 exec_lo, exec_lo, s73
.LBB24_13:                              ;   in Loop: Header=BB24_14 Depth=3
	s_or_b32 exec_lo, exec_lo, s11
	v_add_nc_u32_e32 v9, 8, v9
	v_cmp_ge_i32_e32 vcc_lo, v9, v3
	s_or_b32 s72, vcc_lo, s72
	s_andn2_b32 exec_lo, exec_lo, s72
	s_cbranch_execz .LBB24_6
.LBB24_14:                              ;   Parent Loop BB24_5 Depth=1
                                        ;     Parent Loop BB24_9 Depth=2
                                        ; =>    This Loop Header: Depth=3
                                        ;         Child Loop BB24_18 Depth 4
                                        ;         Child Loop BB24_39 Depth 4
	;; [unrolled: 1-line block ×5, first 2 shown]
	v_ashrrev_i32_e32 v10, 31, v9
	v_mov_b32_e32 v19, 0
	v_lshlrev_b64 v[12:13], 2, v[9:10]
	v_add_co_u32 v12, vcc_lo, s40, v12
	v_add_co_ci_u32_e64 v13, null, s41, v13, vcc_lo
	global_load_dword v6, v[12:13], off
	s_waitcnt vmcnt(0)
	v_subrev_nc_u32_e32 v12, s62, v6
	v_ashrrev_i32_e32 v13, 31, v12
	v_lshlrev_b64 v[14:15], 2, v[12:13]
	v_add_co_u32 v16, vcc_lo, s12, v14
	v_add_co_ci_u32_e64 v17, null, s13, v15, vcc_lo
	v_add_co_u32 v14, vcc_lo, s14, v14
	v_add_co_ci_u32_e64 v15, null, s15, v15, vcc_lo
	global_load_dword v6, v[16:17], off
	global_load_dword v16, v[14:15], off
	v_mov_b32_e32 v14, 0
	v_mov_b32_e32 v15, 0
	s_waitcnt vmcnt(1)
	v_subrev_nc_u32_e32 v18, s64, v6
	s_waitcnt vmcnt(0)
	v_sub_nc_u32_e32 v40, v16, v6
	v_mov_b32_e32 v6, v19
	s_and_saveexec_b32 s73, s10
	s_cbranch_execz .LBB24_22
; %bb.15:                               ;   in Loop: Header=BB24_14 Depth=3
	v_ashrrev_i32_e32 v19, 31, v18
	v_mov_b32_e32 v14, 0
	v_mov_b32_e32 v15, 0
	;; [unrolled: 1-line block ×3, first 2 shown]
	s_mov_b32 s74, 0
	v_lshlrev_b64 v[16:17], 2, v[18:19]
	v_lshlrev_b64 v[19:20], 3, v[18:19]
                                        ; implicit-def: $sgpr75
	v_add_co_u32 v16, vcc_lo, s16, v16
	v_add_co_ci_u32_e64 v17, null, s17, v17, vcc_lo
	v_add_co_u32 v21, vcc_lo, s18, v19
	v_add_co_ci_u32_e64 v22, null, s19, v20, vcc_lo
	v_mov_b32_e32 v19, 0
	s_branch .LBB24_18
.LBB24_16:                              ;   in Loop: Header=BB24_18 Depth=4
	s_or_b32 exec_lo, exec_lo, s11
	v_cmp_le_i32_e32 vcc_lo, v23, v24
	v_cmp_ge_i32_e64 s11, v23, v24
	v_add_co_ci_u32_e64 v6, null, 0, v6, vcc_lo
	v_add_co_ci_u32_e64 v19, null, 0, v19, s11
	s_andn2_b32 s11, s75, exec_lo
	v_cmp_ge_i32_e32 vcc_lo, v6, v35
	s_and_b32 s75, vcc_lo, exec_lo
	s_or_b32 s75, s11, s75
.LBB24_17:                              ;   in Loop: Header=BB24_18 Depth=4
	s_or_b32 exec_lo, exec_lo, s76
	s_and_b32 s11, exec_lo, s75
	s_or_b32 s74, s11, s74
	s_andn2_b32 exec_lo, exec_lo, s74
	s_cbranch_execz .LBB24_21
.LBB24_18:                              ;   Parent Loop BB24_5 Depth=1
                                        ;     Parent Loop BB24_9 Depth=2
                                        ;       Parent Loop BB24_14 Depth=3
                                        ; =>      This Inner Loop Header: Depth=4
	s_or_b32 s75, s75, exec_lo
	s_mov_b32 s76, exec_lo
	v_cmpx_lt_i32_e64 v19, v40
	s_cbranch_execz .LBB24_17
; %bb.19:                               ;   in Loop: Header=BB24_18 Depth=4
	v_mov_b32_e32 v20, v7
	v_lshlrev_b64 v[23:24], 2, v[6:7]
	s_mov_b32 s11, exec_lo
	v_lshlrev_b64 v[41:42], 2, v[19:20]
	v_add_co_u32 v23, vcc_lo, v36, v23
	v_add_co_ci_u32_e64 v24, null, v37, v24, vcc_lo
	v_add_co_u32 v41, vcc_lo, v16, v41
	v_add_co_ci_u32_e64 v42, null, v17, v42, vcc_lo
	global_load_dword v23, v[23:24], off
	global_load_dword v24, v[41:42], off
	s_waitcnt vmcnt(1)
	v_subrev_nc_u32_e32 v23, s63, v23
	s_waitcnt vmcnt(0)
	v_subrev_nc_u32_e32 v24, s64, v24
	v_cmpx_eq_u32_e64 v23, v24
	s_cbranch_execz .LBB24_16
; %bb.20:                               ;   in Loop: Header=BB24_18 Depth=4
	v_lshlrev_b64 v[41:42], 3, v[6:7]
	v_lshlrev_b64 v[43:44], 3, v[19:20]
	v_add_co_u32 v41, vcc_lo, v38, v41
	v_add_co_ci_u32_e64 v42, null, v39, v42, vcc_lo
	v_add_co_u32 v43, vcc_lo, v21, v43
	v_add_co_ci_u32_e64 v44, null, v22, v44, vcc_lo
	global_load_dwordx2 v[41:42], v[41:42], off
	global_load_dwordx2 v[43:44], v[43:44], off
	s_waitcnt vmcnt(0)
	v_fma_f64 v[14:15], v[41:42], v[43:44], v[14:15]
	s_branch .LBB24_16
.LBB24_21:                              ;   in Loop: Header=BB24_14 Depth=3
	s_or_b32 exec_lo, exec_lo, s74
.LBB24_22:                              ;   in Loop: Header=BB24_14 Depth=3
	s_or_b32 exec_lo, exec_lo, s73
	v_lshlrev_b64 v[16:17], 3, v[9:10]
	v_cmp_le_i32_e64 s11, v8, v12
	s_mov_b32 s73, exec_lo
	v_add_co_u32 v16, vcc_lo, s42, v16
	v_add_co_ci_u32_e64 v17, null, s43, v17, vcc_lo
	global_load_dwordx2 v[16:17], v[16:17], off
	s_waitcnt vmcnt(0)
	v_add_f64 v[20:21], v[16:17], -v[14:15]
	v_cmpx_gt_i32_e64 v8, v12
	s_cbranch_execnz .LBB24_25
; %bb.23:                               ;   in Loop: Header=BB24_14 Depth=3
	s_or_b32 exec_lo, exec_lo, s73
	v_cmp_class_f64_e64 s73, v[20:21], 0x1f8
	s_and_saveexec_b32 s74, s73
	s_cbranch_execnz .LBB24_28
.LBB24_24:                              ;   in Loop: Header=BB24_14 Depth=3
	s_or_b32 exec_lo, exec_lo, s74
	s_and_b32 s73, s33, s73
	s_and_saveexec_b32 s11, s73
	s_cbranch_execz .LBB24_13
	s_branch .LBB24_63
.LBB24_25:                              ;   in Loop: Header=BB24_14 Depth=3
	v_lshlrev_b64 v[22:23], 3, v[12:13]
	v_mov_b32_e32 v24, 0
	v_mov_b32_e32 v25, 0
	s_mov_b32 s74, exec_lo
	v_add_co_u32 v22, vcc_lo, s48, v22
	v_add_co_ci_u32_e64 v23, null, s49, v23, vcc_lo
	global_load_dwordx2 v[22:23], v[22:23], off
	s_waitcnt vmcnt(0)
	v_cmpx_lg_f64_e32 0, v[22:23]
	s_cbranch_execz .LBB24_27
; %bb.26:                               ;   in Loop: Header=BB24_14 Depth=3
	v_div_scale_f64 v[24:25], null, v[22:23], v[22:23], v[20:21]
	v_rcp_f64_e32 v[41:42], v[24:25]
	v_fma_f64 v[43:44], -v[24:25], v[41:42], 1.0
	v_fma_f64 v[41:42], v[41:42], v[43:44], v[41:42]
	v_fma_f64 v[43:44], -v[24:25], v[41:42], 1.0
	v_fma_f64 v[41:42], v[41:42], v[43:44], v[41:42]
	v_div_scale_f64 v[43:44], vcc_lo, v[20:21], v[22:23], v[20:21]
	v_mul_f64 v[45:46], v[43:44], v[41:42]
	v_fma_f64 v[24:25], -v[24:25], v[45:46], v[43:44]
	v_div_fmas_f64 v[24:25], v[24:25], v[41:42], v[45:46]
	v_div_fixup_f64 v[24:25], v[24:25], v[22:23], v[20:21]
.LBB24_27:                              ;   in Loop: Header=BB24_14 Depth=3
	s_or_b32 exec_lo, exec_lo, s74
	v_mov_b32_e32 v20, v24
	v_mov_b32_e32 v21, v25
	s_or_b32 exec_lo, exec_lo, s73
	v_cmp_class_f64_e64 s73, v[20:21], 0x1f8
	s_and_saveexec_b32 s74, s73
	s_cbranch_execz .LBB24_24
.LBB24_28:                              ;   in Loop: Header=BB24_14 Depth=3
	s_and_saveexec_b32 s75, s11
	s_xor_b32 s11, exec_lo, s75
	s_cbranch_execz .LBB24_49
; %bb.29:                               ;   in Loop: Header=BB24_14 Depth=3
	s_mov_b32 s75, exec_lo
	v_cmpx_ge_i32_e64 v8, v12
	s_xor_b32 s75, exec_lo, s75
	s_cbranch_execz .LBB24_35
; %bb.30:                               ;   in Loop: Header=BB24_14 Depth=3
	v_lshlrev_b64 v[22:23], 3, v[12:13]
	v_add_co_u32 v24, vcc_lo, s50, v22
	v_add_co_ci_u32_e64 v25, null, s51, v23, vcc_lo
	s_andn2_b32 vcc_lo, exec_lo, s58
	global_store_dwordx2 v[24:25], v[20:21], off
	s_cbranch_vccnz .LBB24_34
; %bb.31:                               ;   in Loop: Header=BB24_14 Depth=3
	v_add_co_u32 v22, vcc_lo, s48, v22
	v_add_co_ci_u32_e64 v23, null, s49, v23, vcc_lo
	global_load_dwordx2 v[22:23], v[22:23], off
	s_waitcnt vmcnt(0)
	v_add_f64 v[20:21], v[22:23], -v[20:21]
	v_cmp_class_f64_e64 s77, v[20:21], 0x1f8
	s_and_saveexec_b32 s76, s77
	s_cbranch_execz .LBB24_33
; %bb.32:                               ;   in Loop: Header=BB24_14 Depth=3
	v_cmp_lt_f64_e64 vcc_lo, v[1:2], |v[20:21]|
	v_and_b32_e32 v10, 0x7fffffff, v21
	v_cndmask_b32_e32 v2, v2, v10, vcc_lo
	v_cndmask_b32_e32 v1, v1, v20, vcc_lo
.LBB24_33:                              ;   in Loop: Header=BB24_14 Depth=3
	s_or_b32 exec_lo, exec_lo, s76
.LBB24_34:                              ;   in Loop: Header=BB24_14 Depth=3
                                        ; implicit-def: $vgpr20_vgpr21
.LBB24_35:                              ;   in Loop: Header=BB24_14 Depth=3
	s_andn2_saveexec_b32 s75, s75
	s_cbranch_execz .LBB24_48
; %bb.36:                               ;   in Loop: Header=BB24_14 Depth=3
	s_mov_b32 s76, exec_lo
	v_cmpx_lt_i32_e64 v19, v40
	s_cbranch_execz .LBB24_47
; %bb.37:                               ;   in Loop: Header=BB24_14 Depth=3
	v_mov_b32_e32 v10, v19
	s_mov_b32 s77, 0
                                        ; implicit-def: $sgpr78
                                        ; implicit-def: $sgpr80
                                        ; implicit-def: $sgpr79
	s_inst_prefetch 0x1
	s_branch .LBB24_39
	.p2align	6
.LBB24_38:                              ;   in Loop: Header=BB24_39 Depth=4
	s_or_b32 exec_lo, exec_lo, s81
	s_and_b32 s81, exec_lo, s80
	s_or_b32 s77, s81, s77
	s_andn2_b32 s78, s78, exec_lo
	s_and_b32 s81, s79, exec_lo
	s_or_b32 s78, s78, s81
	s_andn2_b32 exec_lo, exec_lo, s77
	s_cbranch_execz .LBB24_41
.LBB24_39:                              ;   Parent Loop BB24_5 Depth=1
                                        ;     Parent Loop BB24_9 Depth=2
                                        ;       Parent Loop BB24_14 Depth=3
                                        ; =>      This Inner Loop Header: Depth=4
	v_add_nc_u32_e32 v22, v18, v10
	s_or_b32 s79, s79, exec_lo
	s_or_b32 s80, s80, exec_lo
	s_mov_b32 s81, exec_lo
	v_ashrrev_i32_e32 v23, 31, v22
	v_lshlrev_b64 v[24:25], 2, v[22:23]
	v_add_co_u32 v24, vcc_lo, s16, v24
	v_add_co_ci_u32_e64 v25, null, s17, v25, vcc_lo
	global_load_dword v24, v[24:25], off
	s_waitcnt vmcnt(0)
	v_subrev_nc_u32_e32 v24, s64, v24
	v_cmpx_ne_u32_e64 v24, v8
	s_cbranch_execz .LBB24_38
; %bb.40:                               ;   in Loop: Header=BB24_39 Depth=4
	v_add_nc_u32_e32 v10, 1, v10
	s_andn2_b32 s80, s80, exec_lo
	s_andn2_b32 s79, s79, exec_lo
	v_cmp_ge_i32_e32 vcc_lo, v10, v40
	s_and_b32 s82, vcc_lo, exec_lo
	s_or_b32 s80, s80, s82
	s_branch .LBB24_38
.LBB24_41:                              ;   in Loop: Header=BB24_14 Depth=3
	s_inst_prefetch 0x2
	s_or_b32 exec_lo, exec_lo, s77
	s_and_saveexec_b32 s77, s78
	s_xor_b32 s77, exec_lo, s77
	s_cbranch_execz .LBB24_46
; %bb.42:                               ;   in Loop: Header=BB24_14 Depth=3
	v_lshlrev_b64 v[22:23], 3, v[22:23]
	v_add_co_u32 v24, vcc_lo, s52, v22
	v_add_co_ci_u32_e64 v25, null, s53, v23, vcc_lo
	s_andn2_b32 vcc_lo, exec_lo, s58
	global_store_dwordx2 v[24:25], v[20:21], off
	s_cbranch_vccnz .LBB24_46
; %bb.43:                               ;   in Loop: Header=BB24_14 Depth=3
	v_add_co_u32 v22, vcc_lo, s18, v22
	v_add_co_ci_u32_e64 v23, null, s19, v23, vcc_lo
	global_load_dwordx2 v[22:23], v[22:23], off
	s_waitcnt vmcnt(0)
	v_add_f64 v[20:21], v[22:23], -v[20:21]
	v_cmp_class_f64_e64 s79, v[20:21], 0x1f8
	s_and_saveexec_b32 s78, s79
	s_cbranch_execz .LBB24_45
; %bb.44:                               ;   in Loop: Header=BB24_14 Depth=3
	v_cmp_lt_f64_e64 vcc_lo, v[1:2], |v[20:21]|
	v_and_b32_e32 v10, 0x7fffffff, v21
	v_cndmask_b32_e32 v2, v2, v10, vcc_lo
	v_cndmask_b32_e32 v1, v1, v20, vcc_lo
.LBB24_45:                              ;   in Loop: Header=BB24_14 Depth=3
	s_or_b32 exec_lo, exec_lo, s78
.LBB24_46:                              ;   in Loop: Header=BB24_14 Depth=3
	s_or_b32 exec_lo, exec_lo, s77
.LBB24_47:                              ;   in Loop: Header=BB24_14 Depth=3
	s_or_b32 exec_lo, exec_lo, s76
.LBB24_48:                              ;   in Loop: Header=BB24_14 Depth=3
	s_or_b32 exec_lo, exec_lo, s75
                                        ; implicit-def: $vgpr20_vgpr21
.LBB24_49:                              ;   in Loop: Header=BB24_14 Depth=3
	s_andn2_saveexec_b32 s11, s11
	s_cbranch_execz .LBB24_62
; %bb.50:                               ;   in Loop: Header=BB24_14 Depth=3
	s_mov_b32 s75, exec_lo
	v_cmpx_lt_i32_e64 v6, v35
	s_cbranch_execz .LBB24_61
; %bb.51:                               ;   in Loop: Header=BB24_14 Depth=3
	v_mov_b32_e32 v10, v6
	s_mov_b32 s76, 0
                                        ; implicit-def: $sgpr77
                                        ; implicit-def: $sgpr79
                                        ; implicit-def: $sgpr78
	s_inst_prefetch 0x1
	s_branch .LBB24_53
	.p2align	6
.LBB24_52:                              ;   in Loop: Header=BB24_53 Depth=4
	s_or_b32 exec_lo, exec_lo, s80
	s_and_b32 s80, exec_lo, s79
	s_or_b32 s76, s80, s76
	s_andn2_b32 s77, s77, exec_lo
	s_and_b32 s80, s78, exec_lo
	s_or_b32 s77, s77, s80
	s_andn2_b32 exec_lo, exec_lo, s76
	s_cbranch_execz .LBB24_55
.LBB24_53:                              ;   Parent Loop BB24_5 Depth=1
                                        ;     Parent Loop BB24_9 Depth=2
                                        ;       Parent Loop BB24_14 Depth=3
                                        ; =>      This Inner Loop Header: Depth=4
	v_add_nc_u32_e32 v22, v11, v10
	s_or_b32 s78, s78, exec_lo
	s_or_b32 s79, s79, exec_lo
	s_mov_b32 s80, exec_lo
	v_ashrrev_i32_e32 v23, 31, v22
	v_lshlrev_b64 v[24:25], 2, v[22:23]
	v_add_co_u32 v24, vcc_lo, s24, v24
	v_add_co_ci_u32_e64 v25, null, s25, v25, vcc_lo
	global_load_dword v24, v[24:25], off
	s_waitcnt vmcnt(0)
	v_subrev_nc_u32_e32 v24, s63, v24
	v_cmpx_ne_u32_e64 v24, v12
	s_cbranch_execz .LBB24_52
; %bb.54:                               ;   in Loop: Header=BB24_53 Depth=4
	v_add_nc_u32_e32 v10, 1, v10
	s_andn2_b32 s79, s79, exec_lo
	s_andn2_b32 s78, s78, exec_lo
	v_cmp_ge_i32_e32 vcc_lo, v10, v35
	s_and_b32 s81, vcc_lo, exec_lo
	s_or_b32 s79, s79, s81
	s_branch .LBB24_52
.LBB24_55:                              ;   in Loop: Header=BB24_14 Depth=3
	s_inst_prefetch 0x2
	s_or_b32 exec_lo, exec_lo, s76
	s_and_saveexec_b32 s76, s77
	s_xor_b32 s76, exec_lo, s76
	s_cbranch_execz .LBB24_60
; %bb.56:                               ;   in Loop: Header=BB24_14 Depth=3
	v_lshlrev_b64 v[22:23], 3, v[22:23]
	v_add_co_u32 v24, vcc_lo, s54, v22
	v_add_co_ci_u32_e64 v25, null, s55, v23, vcc_lo
	s_andn2_b32 vcc_lo, exec_lo, s58
	global_store_dwordx2 v[24:25], v[20:21], off
	s_cbranch_vccnz .LBB24_60
; %bb.57:                               ;   in Loop: Header=BB24_14 Depth=3
	v_add_co_u32 v22, vcc_lo, s26, v22
	v_add_co_ci_u32_e64 v23, null, s27, v23, vcc_lo
	global_load_dwordx2 v[22:23], v[22:23], off
	s_waitcnt vmcnt(0)
	v_add_f64 v[20:21], v[22:23], -v[20:21]
	v_cmp_class_f64_e64 s78, v[20:21], 0x1f8
	s_and_saveexec_b32 s77, s78
	s_cbranch_execz .LBB24_59
; %bb.58:                               ;   in Loop: Header=BB24_14 Depth=3
	v_cmp_lt_f64_e64 vcc_lo, v[1:2], |v[20:21]|
	v_and_b32_e32 v10, 0x7fffffff, v21
	v_cndmask_b32_e32 v2, v2, v10, vcc_lo
	v_cndmask_b32_e32 v1, v1, v20, vcc_lo
.LBB24_59:                              ;   in Loop: Header=BB24_14 Depth=3
	s_or_b32 exec_lo, exec_lo, s77
.LBB24_60:                              ;   in Loop: Header=BB24_14 Depth=3
	s_or_b32 exec_lo, exec_lo, s76
.LBB24_61:                              ;   in Loop: Header=BB24_14 Depth=3
	s_or_b32 exec_lo, exec_lo, s75
.LBB24_62:                              ;   in Loop: Header=BB24_14 Depth=3
	s_or_b32 exec_lo, exec_lo, s11
	s_or_b32 exec_lo, exec_lo, s74
	s_and_b32 s73, s33, s73
	s_and_saveexec_b32 s11, s73
	s_cbranch_execz .LBB24_13
.LBB24_63:                              ;   in Loop: Header=BB24_14 Depth=3
	s_mov_b32 s73, exec_lo
	v_cmpx_ge_i32_e64 v19, v40
	s_xor_b32 s73, exec_lo, s73
	s_cbranch_execnz .LBB24_69
; %bb.64:                               ;   in Loop: Header=BB24_14 Depth=3
	s_andn2_saveexec_b32 s73, s73
	s_cbranch_execnz .LBB24_78
.LBB24_65:                              ;   in Loop: Header=BB24_14 Depth=3
	s_or_b32 exec_lo, exec_lo, s73
	s_mov_b32 s73, exec_lo
	v_cmpx_eq_u32_e64 v8, v12
	s_cbranch_execz .LBB24_67
.LBB24_66:                              ;   in Loop: Header=BB24_14 Depth=3
	v_lshlrev_b64 v[12:13], 3, v[12:13]
	v_add_co_u32 v12, vcc_lo, s48, v12
	v_add_co_ci_u32_e64 v13, null, s49, v13, vcc_lo
	global_load_dwordx2 v[12:13], v[12:13], off
	s_waitcnt vmcnt(0)
	v_add_f64 v[14:15], v[14:15], v[12:13]
.LBB24_67:                              ;   in Loop: Header=BB24_14 Depth=3
	s_or_b32 exec_lo, exec_lo, s73
	v_add_f64 v[12:13], v[16:17], -v[14:15]
	v_cmp_class_f64_e64 s74, v[12:13], 0x1f8
	s_and_saveexec_b32 s73, s74
	s_cbranch_execz .LBB24_12
; %bb.68:                               ;   in Loop: Header=BB24_14 Depth=3
	v_cmp_lt_f64_e64 vcc_lo, v[4:5], |v[12:13]|
	v_and_b32_e32 v6, 0x7fffffff, v13
	v_cndmask_b32_e32 v5, v5, v6, vcc_lo
	v_cndmask_b32_e32 v4, v4, v12, vcc_lo
	s_branch .LBB24_12
.LBB24_69:                              ;   in Loop: Header=BB24_14 Depth=3
	s_mov_b32 s74, exec_lo
	v_cmpx_lt_i32_e64 v6, v35
	s_cbranch_execz .LBB24_77
; %bb.70:                               ;   in Loop: Header=BB24_14 Depth=3
	s_mov_b32 s75, 0
                                        ; implicit-def: $sgpr76
                                        ; implicit-def: $sgpr78
                                        ; implicit-def: $sgpr77
	s_inst_prefetch 0x1
	s_branch .LBB24_72
	.p2align	6
.LBB24_71:                              ;   in Loop: Header=BB24_72 Depth=4
	s_or_b32 exec_lo, exec_lo, s79
	s_and_b32 s79, exec_lo, s78
	s_or_b32 s75, s79, s75
	s_andn2_b32 s76, s76, exec_lo
	s_and_b32 s79, s77, exec_lo
	s_or_b32 s76, s76, s79
	s_andn2_b32 exec_lo, exec_lo, s75
	s_cbranch_execz .LBB24_74
.LBB24_72:                              ;   Parent Loop BB24_5 Depth=1
                                        ;     Parent Loop BB24_9 Depth=2
                                        ;       Parent Loop BB24_14 Depth=3
                                        ; =>      This Inner Loop Header: Depth=4
	v_add_nc_u32_e32 v18, v11, v6
	s_or_b32 s77, s77, exec_lo
	s_or_b32 s78, s78, exec_lo
	s_mov_b32 s79, exec_lo
	v_ashrrev_i32_e32 v19, 31, v18
	v_lshlrev_b64 v[20:21], 2, v[18:19]
	v_add_co_u32 v20, vcc_lo, s24, v20
	v_add_co_ci_u32_e64 v21, null, s25, v21, vcc_lo
	global_load_dword v10, v[20:21], off
	s_waitcnt vmcnt(0)
	v_subrev_nc_u32_e32 v10, s63, v10
	v_cmpx_ne_u32_e64 v10, v12
	s_cbranch_execz .LBB24_71
; %bb.73:                               ;   in Loop: Header=BB24_72 Depth=4
	v_add_nc_u32_e32 v6, 1, v6
	s_andn2_b32 s78, s78, exec_lo
	s_andn2_b32 s77, s77, exec_lo
	v_cmp_ge_i32_e32 vcc_lo, v6, v35
	s_and_b32 s80, vcc_lo, exec_lo
	s_or_b32 s78, s78, s80
	s_branch .LBB24_71
.LBB24_74:                              ;   in Loop: Header=BB24_14 Depth=3
	s_inst_prefetch 0x2
	s_or_b32 exec_lo, exec_lo, s75
	s_and_saveexec_b32 s75, s76
	s_xor_b32 s75, exec_lo, s75
	s_cbranch_execz .LBB24_76
; %bb.75:                               ;   in Loop: Header=BB24_14 Depth=3
	v_lshlrev_b64 v[18:19], 3, v[18:19]
	v_lshlrev_b64 v[20:21], 3, v[12:13]
	v_add_co_u32 v18, vcc_lo, s26, v18
	v_add_co_ci_u32_e64 v19, null, s27, v19, vcc_lo
	v_add_co_u32 v20, vcc_lo, s48, v20
	v_add_co_ci_u32_e64 v21, null, s49, v21, vcc_lo
	global_load_dwordx2 v[18:19], v[18:19], off
	global_load_dwordx2 v[20:21], v[20:21], off
	s_waitcnt vmcnt(0)
	v_fma_f64 v[14:15], v[18:19], v[20:21], v[14:15]
.LBB24_76:                              ;   in Loop: Header=BB24_14 Depth=3
	s_or_b32 exec_lo, exec_lo, s75
.LBB24_77:                              ;   in Loop: Header=BB24_14 Depth=3
	s_or_b32 exec_lo, exec_lo, s74
                                        ; implicit-def: $vgpr19
                                        ; implicit-def: $vgpr18
                                        ; implicit-def: $vgpr40
	s_andn2_saveexec_b32 s73, s73
	s_cbranch_execz .LBB24_65
.LBB24_78:                              ;   in Loop: Header=BB24_14 Depth=3
	s_mov_b32 s74, 0
                                        ; implicit-def: $sgpr75
                                        ; implicit-def: $sgpr77
                                        ; implicit-def: $sgpr76
	s_inst_prefetch 0x1
	s_branch .LBB24_80
	.p2align	6
.LBB24_79:                              ;   in Loop: Header=BB24_80 Depth=4
	s_or_b32 exec_lo, exec_lo, s78
	s_and_b32 s78, exec_lo, s77
	s_or_b32 s74, s78, s74
	s_andn2_b32 s75, s75, exec_lo
	s_and_b32 s78, s76, exec_lo
	s_or_b32 s75, s75, s78
	s_andn2_b32 exec_lo, exec_lo, s74
	s_cbranch_execz .LBB24_82
.LBB24_80:                              ;   Parent Loop BB24_5 Depth=1
                                        ;     Parent Loop BB24_9 Depth=2
                                        ;       Parent Loop BB24_14 Depth=3
                                        ; =>      This Inner Loop Header: Depth=4
	v_add_nc_u32_e32 v20, v18, v19
	s_or_b32 s76, s76, exec_lo
	s_or_b32 s77, s77, exec_lo
	s_mov_b32 s78, exec_lo
	v_ashrrev_i32_e32 v21, 31, v20
	v_lshlrev_b64 v[22:23], 2, v[20:21]
	v_add_co_u32 v22, vcc_lo, s16, v22
	v_add_co_ci_u32_e64 v23, null, s17, v23, vcc_lo
	global_load_dword v6, v[22:23], off
	s_waitcnt vmcnt(0)
	v_subrev_nc_u32_e32 v6, s64, v6
	v_cmpx_ne_u32_e64 v6, v8
	s_cbranch_execz .LBB24_79
; %bb.81:                               ;   in Loop: Header=BB24_80 Depth=4
	v_add_nc_u32_e32 v19, 1, v19
	s_andn2_b32 s77, s77, exec_lo
	s_andn2_b32 s76, s76, exec_lo
	v_cmp_ge_i32_e32 vcc_lo, v19, v40
	s_and_b32 s79, vcc_lo, exec_lo
	s_or_b32 s77, s77, s79
	s_branch .LBB24_79
.LBB24_82:                              ;   in Loop: Header=BB24_14 Depth=3
	s_inst_prefetch 0x2
	s_or_b32 exec_lo, exec_lo, s74
	s_and_saveexec_b32 s74, s75
	s_xor_b32 s74, exec_lo, s74
	s_cbranch_execz .LBB24_84
; %bb.83:                               ;   in Loop: Header=BB24_14 Depth=3
	v_lshlrev_b64 v[18:19], 3, v[20:21]
	v_add_co_u32 v18, vcc_lo, s18, v18
	v_add_co_ci_u32_e64 v19, null, s19, v19, vcc_lo
	global_load_dwordx2 v[18:19], v[18:19], off
	s_waitcnt vmcnt(0)
	v_add_f64 v[14:15], v[14:15], v[18:19]
.LBB24_84:                              ;   in Loop: Header=BB24_14 Depth=3
	s_or_b32 exec_lo, exec_lo, s74
	s_or_b32 exec_lo, exec_lo, s73
	s_mov_b32 s73, exec_lo
	v_cmpx_eq_u32_e64 v8, v12
	s_cbranch_execnz .LBB24_66
	s_branch .LBB24_67
.LBB24_85:                              ;   in Loop: Header=BB24_5 Depth=1
	v_xor_b32_e32 v10, 4, v28
	v_xor_b32_e32 v6, 2, v28
	;; [unrolled: 1-line block ×3, first 2 shown]
	s_and_b32 vcc_lo, exec_lo, s58
	s_cbranch_vccnz .LBB24_88
; %bb.86:                               ;   in Loop: Header=BB24_5 Depth=1
	s_andn2_b32 vcc_lo, exec_lo, s33
	s_cbranch_vccz .LBB24_105
.LBB24_87:                              ;   in Loop: Header=BB24_5 Depth=1
	s_and_saveexec_b32 s11, s7
	s_cbranch_execnz .LBB24_122
	s_branch .LBB24_133
.LBB24_88:                              ;   in Loop: Header=BB24_5 Depth=1
	v_cmp_gt_i32_e32 vcc_lo, 32, v10
	v_cmp_gt_i32_e64 s10, 32, v6
	v_cndmask_b32_e32 v8, v28, v10, vcc_lo
	v_cndmask_b32_e64 v11, v28, v6, s10
	v_cmp_gt_i32_e64 s10, 32, v3
	v_lshlrev_b32_e32 v9, 2, v8
	v_lshlrev_b32_e32 v11, 2, v11
	ds_bpermute_b32 v8, v9, v1
	ds_bpermute_b32 v9, v9, v2
	s_waitcnt lgkmcnt(0)
	v_cmp_lt_f64_e32 vcc_lo, v[1:2], v[8:9]
	v_cndmask_b32_e32 v2, v2, v9, vcc_lo
	v_cndmask_b32_e32 v1, v1, v8, vcc_lo
	ds_bpermute_b32 v9, v11, v2
	ds_bpermute_b32 v8, v11, v1
	v_cndmask_b32_e64 v11, v28, v3, s10
	v_lshlrev_b32_e32 v11, 2, v11
	s_waitcnt lgkmcnt(0)
	v_cmp_lt_f64_e32 vcc_lo, v[1:2], v[8:9]
	v_cndmask_b32_e32 v2, v2, v9, vcc_lo
	v_cndmask_b32_e32 v1, v1, v8, vcc_lo
	ds_bpermute_b32 v8, v11, v1
	ds_bpermute_b32 v11, v11, v2
	s_and_saveexec_b32 s10, s0
	s_cbranch_execz .LBB24_90
; %bb.89:                               ;   in Loop: Header=BB24_5 Depth=1
	s_waitcnt lgkmcnt(0)
	v_mov_b32_e32 v9, v11
	v_cmp_lt_f64_e32 vcc_lo, v[1:2], v[8:9]
	v_cndmask_b32_e32 v2, v2, v11, vcc_lo
	v_cndmask_b32_e32 v1, v1, v8, vcc_lo
	ds_write_b64 v31, v[1:2]
.LBB24_90:                              ;   in Loop: Header=BB24_5 Depth=1
	s_or_b32 exec_lo, exec_lo, s10
	s_waitcnt lgkmcnt(0)
	s_waitcnt_vscnt null, 0x0
	s_barrier
	buffer_gl0_inv
	s_and_saveexec_b32 s10, s1
	s_cbranch_execz .LBB24_92
; %bb.91:                               ;   in Loop: Header=BB24_5 Depth=1
	ds_read2st64_b64 v[11:14], v29 offset1:1
	s_waitcnt lgkmcnt(0)
	v_cmp_lt_f64_e32 vcc_lo, v[11:12], v[13:14]
	v_cndmask_b32_e32 v2, v12, v14, vcc_lo
	v_cndmask_b32_e32 v1, v11, v13, vcc_lo
	ds_write_b64 v29, v[1:2]
.LBB24_92:                              ;   in Loop: Header=BB24_5 Depth=1
	s_or_b32 exec_lo, exec_lo, s10
	s_waitcnt lgkmcnt(0)
	s_barrier
	buffer_gl0_inv
	s_and_saveexec_b32 s10, s2
	s_cbranch_execz .LBB24_94
; %bb.93:                               ;   in Loop: Header=BB24_5 Depth=1
	ds_read2_b64 v[11:14], v29 offset1:32
	s_waitcnt lgkmcnt(0)
	v_cmp_lt_f64_e32 vcc_lo, v[11:12], v[13:14]
	v_cndmask_b32_e32 v2, v12, v14, vcc_lo
	v_cndmask_b32_e32 v1, v11, v13, vcc_lo
	ds_write_b64 v29, v[1:2]
.LBB24_94:                              ;   in Loop: Header=BB24_5 Depth=1
	s_or_b32 exec_lo, exec_lo, s10
	s_waitcnt lgkmcnt(0)
	s_barrier
	buffer_gl0_inv
	s_and_saveexec_b32 s10, s3
	s_cbranch_execz .LBB24_96
; %bb.95:                               ;   in Loop: Header=BB24_5 Depth=1
	ds_read2_b64 v[11:14], v29 offset1:16
	s_waitcnt lgkmcnt(0)
	v_cmp_lt_f64_e32 vcc_lo, v[11:12], v[13:14]
	v_cndmask_b32_e32 v2, v12, v14, vcc_lo
	v_cndmask_b32_e32 v1, v11, v13, vcc_lo
	ds_write_b64 v29, v[1:2]
.LBB24_96:                              ;   in Loop: Header=BB24_5 Depth=1
	;; [unrolled: 14-line block ×3, first 2 shown]
	s_or_b32 exec_lo, exec_lo, s10
	s_waitcnt lgkmcnt(0)
	s_barrier
	buffer_gl0_inv
	s_and_saveexec_b32 s10, s5
	s_cbranch_execz .LBB24_100
; %bb.99:                               ;   in Loop: Header=BB24_5 Depth=1
	ds_read2_b64 v[11:14], v29 offset1:4
	s_waitcnt lgkmcnt(0)
	v_cmp_lt_f64_e32 vcc_lo, v[11:12], v[13:14]
	v_cndmask_b32_e32 v2, v12, v14, vcc_lo
	v_cndmask_b32_e32 v1, v11, v13, vcc_lo
	ds_write_b64 v29, v[1:2]
.LBB24_100:                             ;   in Loop: Header=BB24_5 Depth=1
	s_or_b32 exec_lo, exec_lo, s10
	s_waitcnt lgkmcnt(0)
	s_barrier
	buffer_gl0_inv
	s_and_saveexec_b32 s10, s6
	s_cbranch_execz .LBB24_102
; %bb.101:                              ;   in Loop: Header=BB24_5 Depth=1
	ds_read2_b64 v[11:14], v29 offset1:2
	s_waitcnt lgkmcnt(0)
	v_cmp_lt_f64_e32 vcc_lo, v[11:12], v[13:14]
	v_cndmask_b32_e32 v2, v12, v14, vcc_lo
	v_cndmask_b32_e32 v1, v11, v13, vcc_lo
	ds_write_b64 v29, v[1:2]
.LBB24_102:                             ;   in Loop: Header=BB24_5 Depth=1
	s_or_b32 exec_lo, exec_lo, s10
	s_waitcnt lgkmcnt(0)
	s_barrier
	buffer_gl0_inv
	s_and_saveexec_b32 s10, s8
	s_cbranch_execz .LBB24_104
; %bb.103:                              ;   in Loop: Header=BB24_5 Depth=1
	ds_read_b128 v[11:14], v7
	s_waitcnt lgkmcnt(0)
	v_cmp_lt_f64_e32 vcc_lo, v[11:12], v[13:14]
	v_cndmask_b32_e32 v2, v12, v14, vcc_lo
	v_cndmask_b32_e32 v1, v11, v13, vcc_lo
	ds_write_b64 v7, v[1:2]
.LBB24_104:                             ;   in Loop: Header=BB24_5 Depth=1
	s_or_b32 exec_lo, exec_lo, s10
	s_waitcnt lgkmcnt(0)
	s_barrier
	buffer_gl0_inv
	ds_read_b64 v[1:2], v7
	s_load_dwordx2 s[10:11], s[56:57], 0x0
	s_waitcnt lgkmcnt(0)
	v_div_scale_f64 v[8:9], null, s[10:11], s[10:11], v[1:2]
	v_rcp_f64_e32 v[11:12], v[8:9]
	v_fma_f64 v[13:14], -v[8:9], v[11:12], 1.0
	v_fma_f64 v[11:12], v[11:12], v[13:14], v[11:12]
	v_fma_f64 v[13:14], -v[8:9], v[11:12], 1.0
	v_fma_f64 v[11:12], v[11:12], v[13:14], v[11:12]
	v_div_scale_f64 v[13:14], vcc_lo, v[1:2], s[10:11], v[1:2]
	v_mul_f64 v[15:16], v[13:14], v[11:12]
	v_fma_f64 v[8:9], -v[8:9], v[15:16], v[13:14]
	v_div_fmas_f64 v[8:9], v[8:9], v[11:12], v[15:16]
	v_div_fixup_f64 v[1:2], v[8:9], s[10:11], v[1:2]
	s_andn2_b32 vcc_lo, exec_lo, s33
	s_cbranch_vccnz .LBB24_87
.LBB24_105:                             ;   in Loop: Header=BB24_5 Depth=1
	v_cmp_gt_i32_e32 vcc_lo, 32, v10
	v_cmp_gt_i32_e64 s10, 32, v6
	v_cndmask_b32_e32 v8, v28, v10, vcc_lo
	v_cndmask_b32_e64 v6, v28, v6, s10
	v_cmp_gt_i32_e64 s10, 32, v3
	v_lshlrev_b32_e32 v9, 2, v8
	v_lshlrev_b32_e32 v10, 2, v6
	v_cndmask_b32_e64 v3, v28, v3, s10
	ds_bpermute_b32 v8, v9, v4
	ds_bpermute_b32 v9, v9, v5
	s_waitcnt lgkmcnt(0)
	v_cmp_lt_f64_e32 vcc_lo, v[4:5], v[8:9]
	v_cndmask_b32_e32 v6, v5, v9, vcc_lo
	v_cndmask_b32_e32 v5, v4, v8, vcc_lo
	ds_bpermute_b32 v9, v10, v6
	ds_bpermute_b32 v8, v10, v5
	v_lshlrev_b32_e32 v10, 2, v3
	s_waitcnt lgkmcnt(0)
	v_cmp_lt_f64_e32 vcc_lo, v[5:6], v[8:9]
	v_cndmask_b32_e32 v4, v6, v9, vcc_lo
	v_cndmask_b32_e32 v3, v5, v8, vcc_lo
	ds_bpermute_b32 v8, v10, v4
	ds_bpermute_b32 v5, v10, v3
	s_and_saveexec_b32 s10, s0
	s_cbranch_execz .LBB24_107
; %bb.106:                              ;   in Loop: Header=BB24_5 Depth=1
	s_waitcnt lgkmcnt(1)
	v_mov_b32_e32 v6, v8
	s_waitcnt lgkmcnt(0)
	v_cmp_lt_f64_e32 vcc_lo, v[3:4], v[5:6]
	v_cndmask_b32_e32 v4, v4, v8, vcc_lo
	v_cndmask_b32_e32 v3, v3, v5, vcc_lo
	ds_write_b64 v31, v[3:4]
.LBB24_107:                             ;   in Loop: Header=BB24_5 Depth=1
	s_or_b32 exec_lo, exec_lo, s10
	s_waitcnt lgkmcnt(0)
	s_waitcnt_vscnt null, 0x0
	s_barrier
	buffer_gl0_inv
	s_and_saveexec_b32 s10, s1
	s_cbranch_execz .LBB24_109
; %bb.108:                              ;   in Loop: Header=BB24_5 Depth=1
	ds_read2st64_b64 v[3:6], v29 offset1:1
	s_waitcnt lgkmcnt(0)
	v_cmp_lt_f64_e32 vcc_lo, v[3:4], v[5:6]
	v_cndmask_b32_e32 v4, v4, v6, vcc_lo
	v_cndmask_b32_e32 v3, v3, v5, vcc_lo
	ds_write_b64 v29, v[3:4]
.LBB24_109:                             ;   in Loop: Header=BB24_5 Depth=1
	s_or_b32 exec_lo, exec_lo, s10
	s_waitcnt lgkmcnt(0)
	s_barrier
	buffer_gl0_inv
	s_and_saveexec_b32 s10, s2
	s_cbranch_execz .LBB24_111
; %bb.110:                              ;   in Loop: Header=BB24_5 Depth=1
	ds_read2_b64 v[3:6], v29 offset1:32
	s_waitcnt lgkmcnt(0)
	v_cmp_lt_f64_e32 vcc_lo, v[3:4], v[5:6]
	v_cndmask_b32_e32 v4, v4, v6, vcc_lo
	v_cndmask_b32_e32 v3, v3, v5, vcc_lo
	ds_write_b64 v29, v[3:4]
.LBB24_111:                             ;   in Loop: Header=BB24_5 Depth=1
	s_or_b32 exec_lo, exec_lo, s10
	s_waitcnt lgkmcnt(0)
	s_barrier
	buffer_gl0_inv
	s_and_saveexec_b32 s10, s3
	s_cbranch_execz .LBB24_113
; %bb.112:                              ;   in Loop: Header=BB24_5 Depth=1
	ds_read2_b64 v[3:6], v29 offset1:16
	s_waitcnt lgkmcnt(0)
	v_cmp_lt_f64_e32 vcc_lo, v[3:4], v[5:6]
	v_cndmask_b32_e32 v4, v4, v6, vcc_lo
	v_cndmask_b32_e32 v3, v3, v5, vcc_lo
	ds_write_b64 v29, v[3:4]
.LBB24_113:                             ;   in Loop: Header=BB24_5 Depth=1
	;; [unrolled: 14-line block ×5, first 2 shown]
	s_or_b32 exec_lo, exec_lo, s10
	s_waitcnt lgkmcnt(0)
	s_barrier
	buffer_gl0_inv
	s_and_saveexec_b32 s10, s8
	s_cbranch_execz .LBB24_121
; %bb.120:                              ;   in Loop: Header=BB24_5 Depth=1
	ds_read_b128 v[3:6], v7
	s_waitcnt lgkmcnt(0)
	v_cmp_lt_f64_e32 vcc_lo, v[3:4], v[5:6]
	v_cndmask_b32_e32 v4, v4, v6, vcc_lo
	v_cndmask_b32_e32 v3, v3, v5, vcc_lo
	ds_write_b64 v7, v[3:4]
.LBB24_121:                             ;   in Loop: Header=BB24_5 Depth=1
	s_or_b32 exec_lo, exec_lo, s10
	s_waitcnt lgkmcnt(0)
	s_barrier
	buffer_gl0_inv
	ds_read_b64 v[3:4], v7
	s_load_dwordx2 s[10:11], s[56:57], 0x0
	s_waitcnt lgkmcnt(0)
	v_div_scale_f64 v[5:6], null, s[10:11], s[10:11], v[3:4]
	v_rcp_f64_e32 v[8:9], v[5:6]
	v_fma_f64 v[10:11], -v[5:6], v[8:9], 1.0
	v_fma_f64 v[8:9], v[8:9], v[10:11], v[8:9]
	v_fma_f64 v[10:11], -v[5:6], v[8:9], 1.0
	v_fma_f64 v[8:9], v[8:9], v[10:11], v[8:9]
	v_div_scale_f64 v[10:11], vcc_lo, v[3:4], s[10:11], v[3:4]
	v_mul_f64 v[12:13], v[10:11], v[8:9]
	v_fma_f64 v[5:6], -v[5:6], v[12:13], v[10:11]
	v_div_fmas_f64 v[5:6], v[5:6], v[8:9], v[12:13]
	v_div_fixup_f64 v[4:5], v[5:6], s[10:11], v[3:4]
	s_and_saveexec_b32 s11, s7
	s_cbranch_execz .LBB24_133
.LBB24_122:                             ;   in Loop: Header=BB24_5 Depth=1
	v_mov_b32_e32 v8, v30
	s_mov_b32 s69, 0
	s_branch .LBB24_124
.LBB24_123:                             ;   in Loop: Header=BB24_124 Depth=2
	s_or_b32 exec_lo, exec_lo, s70
	v_add_nc_u32_e32 v8, 0x80, v8
	v_cmp_le_u32_e32 vcc_lo, s65, v8
	s_or_b32 s69, vcc_lo, s69
	s_andn2_b32 exec_lo, exec_lo, s69
	s_cbranch_execz .LBB24_133
.LBB24_124:                             ;   Parent Loop BB24_5 Depth=1
                                        ; =>  This Loop Header: Depth=2
                                        ;       Child Loop BB24_127 Depth 3
                                        ;       Child Loop BB24_130 Depth 3
	s_mov_b32 s70, exec_lo
	v_cmpx_gt_i32_e64 s59, v8
	s_cbranch_execz .LBB24_123
; %bb.125:                              ;   in Loop: Header=BB24_124 Depth=2
	v_ashrrev_i32_e32 v9, 31, v8
	s_mov_b32 s71, exec_lo
	v_lshlrev_b64 v[10:11], 2, v[8:9]
	v_add_co_u32 v12, vcc_lo, s20, v10
	v_add_co_ci_u32_e64 v13, null, s21, v11, vcc_lo
	v_add_co_u32 v14, vcc_lo, s22, v10
	v_add_co_ci_u32_e64 v15, null, s23, v11, vcc_lo
	global_load_dword v3, v[12:13], off
	global_load_dword v6, v[14:15], off
	s_waitcnt vmcnt(1)
	v_add_nc_u32_e32 v12, v33, v3
	s_waitcnt vmcnt(0)
	v_subrev_nc_u32_e32 v3, s63, v6
	v_cmpx_lt_i32_e64 v12, v3
	s_cbranch_execz .LBB24_128
; %bb.126:                              ;   in Loop: Header=BB24_124 Depth=2
	v_ashrrev_i32_e32 v13, 31, v12
	s_mov_b32 s72, 0
	v_lshlrev_b64 v[15:16], 3, v[12:13]
	v_add_co_u32 v13, vcc_lo, s54, v15
	v_add_co_ci_u32_e64 v14, null, s55, v16, vcc_lo
	v_add_co_u32 v15, vcc_lo, s26, v15
	v_add_co_ci_u32_e64 v16, null, s27, v16, vcc_lo
	.p2align	6
.LBB24_127:                             ;   Parent Loop BB24_5 Depth=1
                                        ;     Parent Loop BB24_124 Depth=2
                                        ; =>    This Inner Loop Header: Depth=3
	global_load_dwordx2 v[17:18], v[13:14], off
	v_add_nc_u32_e32 v12, 8, v12
	v_add_co_u32 v13, vcc_lo, v13, 64
	v_add_co_ci_u32_e64 v14, null, 0, v14, vcc_lo
	v_cmp_ge_i32_e32 vcc_lo, v12, v3
	s_or_b32 s72, vcc_lo, s72
	s_waitcnt vmcnt(0)
	global_store_dwordx2 v[15:16], v[17:18], off
	v_add_co_u32 v15, s10, v15, 64
	v_add_co_ci_u32_e64 v16, null, 0, v16, s10
	s_andn2_b32 exec_lo, exec_lo, s72
	s_cbranch_execnz .LBB24_127
.LBB24_128:                             ;   in Loop: Header=BB24_124 Depth=2
	s_or_b32 exec_lo, exec_lo, s71
	v_add_co_u32 v12, vcc_lo, s12, v10
	v_add_co_ci_u32_e64 v13, null, s13, v11, vcc_lo
	v_add_co_u32 v10, vcc_lo, s14, v10
	v_add_co_ci_u32_e64 v11, null, s15, v11, vcc_lo
	global_load_dword v3, v[12:13], off
	global_load_dword v6, v[10:11], off
	s_mov_b32 s71, exec_lo
	s_waitcnt vmcnt(1)
	v_add_nc_u32_e32 v10, v34, v3
	s_waitcnt vmcnt(0)
	v_subrev_nc_u32_e32 v3, s64, v6
	v_cmpx_lt_i32_e64 v10, v3
	s_cbranch_execz .LBB24_131
; %bb.129:                              ;   in Loop: Header=BB24_124 Depth=2
	v_ashrrev_i32_e32 v11, 31, v10
	s_mov_b32 s72, 0
	v_lshlrev_b64 v[13:14], 3, v[10:11]
	v_add_co_u32 v11, vcc_lo, s52, v13
	v_add_co_ci_u32_e64 v12, null, s53, v14, vcc_lo
	v_add_co_u32 v13, vcc_lo, s18, v13
	v_add_co_ci_u32_e64 v14, null, s19, v14, vcc_lo
	.p2align	6
.LBB24_130:                             ;   Parent Loop BB24_5 Depth=1
                                        ;     Parent Loop BB24_124 Depth=2
                                        ; =>    This Inner Loop Header: Depth=3
	global_load_dwordx2 v[15:16], v[11:12], off
	v_add_nc_u32_e32 v10, 8, v10
	v_add_co_u32 v11, vcc_lo, v11, 64
	v_add_co_ci_u32_e64 v12, null, 0, v12, vcc_lo
	v_cmp_ge_i32_e32 vcc_lo, v10, v3
	s_or_b32 s72, vcc_lo, s72
	s_waitcnt vmcnt(0)
	global_store_dwordx2 v[13:14], v[15:16], off
	v_add_co_u32 v13, s10, v13, 64
	v_add_co_ci_u32_e64 v14, null, 0, v14, s10
	s_andn2_b32 exec_lo, exec_lo, s72
	s_cbranch_execnz .LBB24_130
.LBB24_131:                             ;   in Loop: Header=BB24_124 Depth=2
	s_or_b32 exec_lo, exec_lo, s71
	s_and_b32 exec_lo, exec_lo, s9
	s_cbranch_execz .LBB24_123
; %bb.132:                              ;   in Loop: Header=BB24_124 Depth=2
	v_lshlrev_b64 v[9:10], 3, v[8:9]
	v_add_co_u32 v11, vcc_lo, s50, v9
	v_add_co_ci_u32_e64 v12, null, s51, v10, vcc_lo
	v_add_co_u32 v9, vcc_lo, s48, v9
	v_add_co_ci_u32_e64 v10, null, s49, v10, vcc_lo
	global_load_dwordx2 v[11:12], v[11:12], off
	s_waitcnt vmcnt(0)
	global_store_dwordx2 v[9:10], v[11:12], off
	s_branch .LBB24_123
.LBB24_133:                             ;   in Loop: Header=BB24_5 Depth=1
	s_or_b32 exec_lo, exec_lo, s11
	s_mov_b32 s11, -1
	s_and_b32 vcc_lo, exec_lo, s60
	s_mov_b32 s69, -1
	s_cbranch_vccz .LBB24_143
; %bb.134:                              ;   in Loop: Header=BB24_5 Depth=1
	s_and_b32 vcc_lo, exec_lo, s67
	s_mov_b32 s10, -1
                                        ; implicit-def: $sgpr69
	s_cbranch_vccz .LBB24_140
; %bb.135:                              ;   in Loop: Header=BB24_5 Depth=1
	s_and_b32 vcc_lo, exec_lo, s66
                                        ; implicit-def: $sgpr69
	s_cbranch_vccz .LBB24_137
; %bb.136:                              ;   in Loop: Header=BB24_5 Depth=1
	v_cmp_ge_f64_e64 s69, s[46:47], v[4:5]
	s_mov_b32 s10, 0
.LBB24_137:                             ;   in Loop: Header=BB24_5 Depth=1
	s_andn2_b32 vcc_lo, exec_lo, s10
	s_cbranch_vccnz .LBB24_139
; %bb.138:                              ;   in Loop: Header=BB24_5 Depth=1
	v_cmp_ge_f64_e32 vcc_lo, s[46:47], v[1:2]
	s_andn2_b32 s10, s69, exec_lo
	s_and_b32 s69, vcc_lo, exec_lo
	s_or_b32 s69, s10, s69
.LBB24_139:                             ;   in Loop: Header=BB24_5 Depth=1
	s_mov_b32 s10, 0
.LBB24_140:                             ;   in Loop: Header=BB24_5 Depth=1
	s_andn2_b32 vcc_lo, exec_lo, s10
	s_cbranch_vccnz .LBB24_142
; %bb.141:                              ;   in Loop: Header=BB24_5 Depth=1
	v_cmp_ge_f64_e32 vcc_lo, s[46:47], v[1:2]
	v_cmp_ge_f64_e64 s10, s[46:47], v[4:5]
	s_andn2_b32 s69, s69, exec_lo
	s_and_b32 s10, vcc_lo, s10
	s_and_b32 s10, s10, exec_lo
	s_or_b32 s69, s69, s10
.LBB24_142:                             ;   in Loop: Header=BB24_5 Depth=1
	s_xor_b32 s69, s69, -1
.LBB24_143:                             ;   in Loop: Header=BB24_5 Depth=1
	v_mov_b32_e32 v3, s68
	s_and_saveexec_b32 s10, s69
	s_cbranch_execz .LBB24_4
; %bb.144:                              ;   in Loop: Header=BB24_5 Depth=1
	s_add_i32 s68, s68, 1
	v_mov_b32_e32 v3, s35
	s_cmp_eq_u32 s68, s35
	s_cselect_b32 s11, -1, 0
	s_orn2_b32 s11, s11, exec_lo
	s_branch .LBB24_4
.LBB24_145:
	s_or_b32 exec_lo, exec_lo, s34
	s_or_b32 exec_lo, exec_lo, s61
	s_andn2_b32 vcc_lo, exec_lo, s60
	s_cbranch_vccnz .LBB24_2
.LBB24_146:
	v_xor_b32_e32 v6, 4, v28
	v_xor_b32_e32 v7, 2, v28
	s_mov_b32 s0, exec_lo
	v_cmp_gt_i32_e32 vcc_lo, 32, v6
	v_cndmask_b32_e32 v6, v28, v6, vcc_lo
	v_cmp_gt_i32_e32 vcc_lo, 32, v7
	v_lshlrev_b32_e32 v6, 2, v6
	v_cndmask_b32_e32 v7, v28, v7, vcc_lo
	ds_bpermute_b32 v6, v6, v3
	v_lshlrev_b32_e32 v7, 2, v7
	s_waitcnt lgkmcnt(0)
	v_max_i32_e32 v3, v3, v6
	ds_bpermute_b32 v6, v7, v3
	v_xor_b32_e32 v7, 1, v28
	v_cmp_gt_i32_e32 vcc_lo, 32, v7
	v_cndmask_b32_e32 v7, v28, v7, vcc_lo
	s_waitcnt lgkmcnt(0)
	v_max_i32_e32 v3, v3, v6
	v_lshlrev_b32_e32 v6, 2, v7
	ds_bpermute_b32 v6, v6, v3
	v_cmpx_eq_u32_e32 7, v27
	s_cbranch_execz .LBB24_148
; %bb.147:
	v_lshlrev_b32_e32 v7, 2, v26
	s_waitcnt lgkmcnt(0)
	v_max_i32_e32 v3, v3, v6
	ds_write_b32 v7, v3 offset:1024
.LBB24_148:
	s_or_b32 exec_lo, exec_lo, s0
	v_lshlrev_b32_e32 v3, 2, v0
	s_mov_b32 s0, exec_lo
	s_waitcnt lgkmcnt(0)
	s_waitcnt_vscnt null, 0x0
	s_barrier
	buffer_gl0_inv
	v_cmpx_gt_u32_e32 64, v0
	s_cbranch_execz .LBB24_150
; %bb.149:
	ds_read2st64_b32 v[6:7], v3 offset0:4 offset1:5
	s_waitcnt lgkmcnt(0)
	v_max_i32_e32 v6, v6, v7
	ds_write_b32 v3, v6 offset:1024
.LBB24_150:
	s_or_b32 exec_lo, exec_lo, s0
	s_mov_b32 s0, exec_lo
	s_waitcnt lgkmcnt(0)
	s_barrier
	buffer_gl0_inv
	v_cmpx_gt_u32_e32 32, v0
	s_cbranch_execz .LBB24_152
; %bb.151:
	v_add_nc_u32_e32 v6, 0x400, v3
	ds_read2_b32 v[6:7], v6 offset1:32
	s_waitcnt lgkmcnt(0)
	v_max_i32_e32 v6, v6, v7
	ds_write_b32 v3, v6 offset:1024
.LBB24_152:
	s_or_b32 exec_lo, exec_lo, s0
	s_mov_b32 s0, exec_lo
	s_waitcnt lgkmcnt(0)
	s_barrier
	buffer_gl0_inv
	v_cmpx_gt_u32_e32 16, v0
	s_cbranch_execz .LBB24_154
; %bb.153:
	v_add_nc_u32_e32 v6, 0x400, v3
	ds_read2_b32 v[6:7], v6 offset1:16
	s_waitcnt lgkmcnt(0)
	v_max_i32_e32 v6, v6, v7
	ds_write_b32 v3, v6 offset:1024
.LBB24_154:
	;; [unrolled: 14-line block ×5, first 2 shown]
	s_or_b32 exec_lo, exec_lo, s0
	v_cmp_eq_u32_e32 vcc_lo, 0, v0
	s_waitcnt lgkmcnt(0)
	s_barrier
	buffer_gl0_inv
	s_and_saveexec_b32 s0, vcc_lo
	s_cbranch_execz .LBB24_162
; %bb.161:
	v_mov_b32_e32 v3, 0
	ds_read_b64 v[6:7], v3 offset:1024
	s_waitcnt lgkmcnt(0)
	v_max_i32_e32 v6, v6, v7
	ds_write_b32 v3, v6 offset:1024
.LBB24_162:
	s_or_b32 exec_lo, exec_lo, s0
	s_waitcnt lgkmcnt(0)
	s_barrier
	buffer_gl0_inv
	s_and_saveexec_b32 s0, vcc_lo
	s_cbranch_execz .LBB24_165
; %bb.163:
	v_mbcnt_lo_u32_b32 v3, exec_lo, 0
	v_cmp_eq_u32_e32 vcc_lo, 0, v3
	s_and_b32 exec_lo, exec_lo, vcc_lo
	s_cbranch_execz .LBB24_165
; %bb.164:
	v_mov_b32_e32 v3, 0
	ds_read_b32 v6, v3 offset:1024
	s_waitcnt lgkmcnt(0)
	v_add_nc_u32_e32 v6, 1, v6
	global_atomic_smax v3, v6, s[44:45]
.LBB24_165:
	s_or_b32 exec_lo, exec_lo, s0
	v_cmp_eq_u32_e32 vcc_lo, 0, v0
	s_and_b32 s0, vcc_lo, s58
	s_and_saveexec_b32 s1, s0
	s_cbranch_execz .LBB24_172
.LBB24_166:
	v_mov_b32_e32 v6, 0
	v_mov_b32_e32 v7, 0x7ff80000
	s_mov_b32 s0, exec_lo
.LBB24_167:                             ; =>This Inner Loop Header: Depth=1
	s_ff1_i32_b32 s4, s0
	v_max_f64 v[6:7], v[6:7], v[6:7]
	v_readlane_b32 s3, v2, s4
	v_readlane_b32 s2, v1, s4
	v_max_f64 v[8:9], s[2:3], s[2:3]
	s_lshl_b32 s2, 1, s4
	s_andn2_b32 s0, s0, s2
	s_cmp_lg_u32 s0, 0
	v_max_f64 v[6:7], v[6:7], v[8:9]
	s_cbranch_scc1 .LBB24_167
; %bb.168:
	v_mbcnt_lo_u32_b32 v0, exec_lo, 0
	s_mov_b32 s2, 0
	s_mov_b32 s3, exec_lo
	v_cmpx_eq_u32_e32 0, v0
	s_xor_b32 s3, exec_lo, s3
	s_cbranch_execz .LBB24_172
; %bb.169:
	v_mov_b32_e32 v8, 0
	v_max_f64 v[6:7], v[6:7], v[6:7]
	global_load_dwordx2 v[2:3], v8, s[28:29]
.LBB24_170:                             ; =>This Inner Loop Header: Depth=1
	s_waitcnt vmcnt(0)
	v_max_f64 v[0:1], v[2:3], v[2:3]
	v_max_f64 v[0:1], v[0:1], v[6:7]
	global_atomic_cmpswap_x2 v[0:1], v8, v[0:3], s[28:29] glc
	s_waitcnt vmcnt(0)
	v_cmp_eq_u64_e64 s0, v[0:1], v[2:3]
	v_mov_b32_e32 v3, v1
	v_mov_b32_e32 v2, v0
	s_or_b32 s2, s0, s2
	s_andn2_b32 exec_lo, exec_lo, s2
	s_cbranch_execnz .LBB24_170
; %bb.171:
	s_or_b32 exec_lo, exec_lo, s2
.LBB24_172:
	s_or_b32 exec_lo, exec_lo, s1
	s_and_b32 s0, vcc_lo, s33
	s_and_saveexec_b32 s1, s0
	s_cbranch_execz .LBB24_178
; %bb.173:
	v_mov_b32_e32 v0, 0
	v_mov_b32_e32 v1, 0x7ff80000
	s_mov_b32 s0, exec_lo
.LBB24_174:                             ; =>This Inner Loop Header: Depth=1
	s_ff1_i32_b32 s1, s0
	v_max_f64 v[0:1], v[0:1], v[0:1]
	v_readlane_b32 s3, v5, s1
	v_readlane_b32 s2, v4, s1
	s_lshl_b32 s1, 1, s1
	s_andn2_b32 s0, s0, s1
	v_max_f64 v[2:3], s[2:3], s[2:3]
	s_cmp_lg_u32 s0, 0
	v_max_f64 v[0:1], v[0:1], v[2:3]
	s_cbranch_scc1 .LBB24_174
; %bb.175:
	v_mbcnt_lo_u32_b32 v2, exec_lo, 0
	s_mov_b32 s0, 0
	s_mov_b32 s1, exec_lo
	v_cmpx_eq_u32_e32 0, v2
	s_xor_b32 s1, exec_lo, s1
	s_cbranch_execz .LBB24_178
; %bb.176:
	v_mov_b32_e32 v6, 0
	v_max_f64 v[4:5], v[0:1], v[0:1]
	global_load_dwordx2 v[2:3], v6, s[30:31]
.LBB24_177:                             ; =>This Inner Loop Header: Depth=1
	s_waitcnt vmcnt(0)
	v_max_f64 v[0:1], v[2:3], v[2:3]
	v_max_f64 v[0:1], v[0:1], v[4:5]
	global_atomic_cmpswap_x2 v[0:1], v6, v[0:3], s[30:31] glc
	s_waitcnt vmcnt(0)
	v_cmp_eq_u64_e32 vcc_lo, v[0:1], v[2:3]
	v_mov_b32_e32 v3, v1
	v_mov_b32_e32 v2, v0
	s_or_b32 s0, vcc_lo, s0
	s_andn2_b32 exec_lo, exec_lo, s0
	s_cbranch_execnz .LBB24_177
.LBB24_178:
	s_endpgm
	.section	.rodata,"a",@progbits
	.p2align	6, 0x0
	.amdhsa_kernel _ZN9rocsparseL6kernelILi1024ELi8EdiiEEvbbbT3_PS1_NS_15floating_traitsIT1_E6data_tES1_T2_PKS7_S9_PKS1_PKS4_21rocsparse_index_base_S9_S9_SB_PS4_SF_SE_S9_S9_SB_SF_SF_SE_SF_SF_PS6_SG_PKS6_
		.amdhsa_group_segment_fixed_size 1536
		.amdhsa_private_segment_fixed_size 0
		.amdhsa_kernarg_size 208
		.amdhsa_user_sgpr_count 6
		.amdhsa_user_sgpr_private_segment_buffer 1
		.amdhsa_user_sgpr_dispatch_ptr 0
		.amdhsa_user_sgpr_queue_ptr 0
		.amdhsa_user_sgpr_kernarg_segment_ptr 1
		.amdhsa_user_sgpr_dispatch_id 0
		.amdhsa_user_sgpr_flat_scratch_init 0
		.amdhsa_user_sgpr_private_segment_size 0
		.amdhsa_wavefront_size32 1
		.amdhsa_uses_dynamic_stack 0
		.amdhsa_system_sgpr_private_segment_wavefront_offset 0
		.amdhsa_system_sgpr_workgroup_id_x 1
		.amdhsa_system_sgpr_workgroup_id_y 0
		.amdhsa_system_sgpr_workgroup_id_z 0
		.amdhsa_system_sgpr_workgroup_info 0
		.amdhsa_system_vgpr_workitem_id 0
		.amdhsa_next_free_vgpr 47
		.amdhsa_next_free_sgpr 83
		.amdhsa_reserve_vcc 1
		.amdhsa_reserve_flat_scratch 0
		.amdhsa_float_round_mode_32 0
		.amdhsa_float_round_mode_16_64 0
		.amdhsa_float_denorm_mode_32 3
		.amdhsa_float_denorm_mode_16_64 3
		.amdhsa_dx10_clamp 1
		.amdhsa_ieee_mode 1
		.amdhsa_fp16_overflow 0
		.amdhsa_workgroup_processor_mode 1
		.amdhsa_memory_ordered 1
		.amdhsa_forward_progress 1
		.amdhsa_shared_vgpr_count 0
		.amdhsa_exception_fp_ieee_invalid_op 0
		.amdhsa_exception_fp_denorm_src 0
		.amdhsa_exception_fp_ieee_div_zero 0
		.amdhsa_exception_fp_ieee_overflow 0
		.amdhsa_exception_fp_ieee_underflow 0
		.amdhsa_exception_fp_ieee_inexact 0
		.amdhsa_exception_int_div_zero 0
	.end_amdhsa_kernel
	.section	.text._ZN9rocsparseL6kernelILi1024ELi8EdiiEEvbbbT3_PS1_NS_15floating_traitsIT1_E6data_tES1_T2_PKS7_S9_PKS1_PKS4_21rocsparse_index_base_S9_S9_SB_PS4_SF_SE_S9_S9_SB_SF_SF_SE_SF_SF_PS6_SG_PKS6_,"axG",@progbits,_ZN9rocsparseL6kernelILi1024ELi8EdiiEEvbbbT3_PS1_NS_15floating_traitsIT1_E6data_tES1_T2_PKS7_S9_PKS1_PKS4_21rocsparse_index_base_S9_S9_SB_PS4_SF_SE_S9_S9_SB_SF_SF_SE_SF_SF_PS6_SG_PKS6_,comdat
.Lfunc_end24:
	.size	_ZN9rocsparseL6kernelILi1024ELi8EdiiEEvbbbT3_PS1_NS_15floating_traitsIT1_E6data_tES1_T2_PKS7_S9_PKS1_PKS4_21rocsparse_index_base_S9_S9_SB_PS4_SF_SE_S9_S9_SB_SF_SF_SE_SF_SF_PS6_SG_PKS6_, .Lfunc_end24-_ZN9rocsparseL6kernelILi1024ELi8EdiiEEvbbbT3_PS1_NS_15floating_traitsIT1_E6data_tES1_T2_PKS7_S9_PKS1_PKS4_21rocsparse_index_base_S9_S9_SB_PS4_SF_SE_S9_S9_SB_SF_SF_SE_SF_SF_PS6_SG_PKS6_
                                        ; -- End function
	.set _ZN9rocsparseL6kernelILi1024ELi8EdiiEEvbbbT3_PS1_NS_15floating_traitsIT1_E6data_tES1_T2_PKS7_S9_PKS1_PKS4_21rocsparse_index_base_S9_S9_SB_PS4_SF_SE_S9_S9_SB_SF_SF_SE_SF_SF_PS6_SG_PKS6_.num_vgpr, 47
	.set _ZN9rocsparseL6kernelILi1024ELi8EdiiEEvbbbT3_PS1_NS_15floating_traitsIT1_E6data_tES1_T2_PKS7_S9_PKS1_PKS4_21rocsparse_index_base_S9_S9_SB_PS4_SF_SE_S9_S9_SB_SF_SF_SE_SF_SF_PS6_SG_PKS6_.num_agpr, 0
	.set _ZN9rocsparseL6kernelILi1024ELi8EdiiEEvbbbT3_PS1_NS_15floating_traitsIT1_E6data_tES1_T2_PKS7_S9_PKS1_PKS4_21rocsparse_index_base_S9_S9_SB_PS4_SF_SE_S9_S9_SB_SF_SF_SE_SF_SF_PS6_SG_PKS6_.numbered_sgpr, 83
	.set _ZN9rocsparseL6kernelILi1024ELi8EdiiEEvbbbT3_PS1_NS_15floating_traitsIT1_E6data_tES1_T2_PKS7_S9_PKS1_PKS4_21rocsparse_index_base_S9_S9_SB_PS4_SF_SE_S9_S9_SB_SF_SF_SE_SF_SF_PS6_SG_PKS6_.num_named_barrier, 0
	.set _ZN9rocsparseL6kernelILi1024ELi8EdiiEEvbbbT3_PS1_NS_15floating_traitsIT1_E6data_tES1_T2_PKS7_S9_PKS1_PKS4_21rocsparse_index_base_S9_S9_SB_PS4_SF_SE_S9_S9_SB_SF_SF_SE_SF_SF_PS6_SG_PKS6_.private_seg_size, 0
	.set _ZN9rocsparseL6kernelILi1024ELi8EdiiEEvbbbT3_PS1_NS_15floating_traitsIT1_E6data_tES1_T2_PKS7_S9_PKS1_PKS4_21rocsparse_index_base_S9_S9_SB_PS4_SF_SE_S9_S9_SB_SF_SF_SE_SF_SF_PS6_SG_PKS6_.uses_vcc, 1
	.set _ZN9rocsparseL6kernelILi1024ELi8EdiiEEvbbbT3_PS1_NS_15floating_traitsIT1_E6data_tES1_T2_PKS7_S9_PKS1_PKS4_21rocsparse_index_base_S9_S9_SB_PS4_SF_SE_S9_S9_SB_SF_SF_SE_SF_SF_PS6_SG_PKS6_.uses_flat_scratch, 0
	.set _ZN9rocsparseL6kernelILi1024ELi8EdiiEEvbbbT3_PS1_NS_15floating_traitsIT1_E6data_tES1_T2_PKS7_S9_PKS1_PKS4_21rocsparse_index_base_S9_S9_SB_PS4_SF_SE_S9_S9_SB_SF_SF_SE_SF_SF_PS6_SG_PKS6_.has_dyn_sized_stack, 0
	.set _ZN9rocsparseL6kernelILi1024ELi8EdiiEEvbbbT3_PS1_NS_15floating_traitsIT1_E6data_tES1_T2_PKS7_S9_PKS1_PKS4_21rocsparse_index_base_S9_S9_SB_PS4_SF_SE_S9_S9_SB_SF_SF_SE_SF_SF_PS6_SG_PKS6_.has_recursion, 0
	.set _ZN9rocsparseL6kernelILi1024ELi8EdiiEEvbbbT3_PS1_NS_15floating_traitsIT1_E6data_tES1_T2_PKS7_S9_PKS1_PKS4_21rocsparse_index_base_S9_S9_SB_PS4_SF_SE_S9_S9_SB_SF_SF_SE_SF_SF_PS6_SG_PKS6_.has_indirect_call, 0
	.section	.AMDGPU.csdata,"",@progbits
; Kernel info:
; codeLenInByte = 6488
; TotalNumSgprs: 85
; NumVgprs: 47
; ScratchSize: 0
; MemoryBound: 1
; FloatMode: 240
; IeeeMode: 1
; LDSByteSize: 1536 bytes/workgroup (compile time only)
; SGPRBlocks: 0
; VGPRBlocks: 5
; NumSGPRsForWavesPerEU: 85
; NumVGPRsForWavesPerEU: 47
; Occupancy: 16
; WaveLimiterHint : 1
; COMPUTE_PGM_RSRC2:SCRATCH_EN: 0
; COMPUTE_PGM_RSRC2:USER_SGPR: 6
; COMPUTE_PGM_RSRC2:TRAP_HANDLER: 0
; COMPUTE_PGM_RSRC2:TGID_X_EN: 1
; COMPUTE_PGM_RSRC2:TGID_Y_EN: 0
; COMPUTE_PGM_RSRC2:TGID_Z_EN: 0
; COMPUTE_PGM_RSRC2:TIDIG_COMP_CNT: 0
	.section	.text._ZN9rocsparseL6kernelILi1024ELi16EdiiEEvbbbT3_PS1_NS_15floating_traitsIT1_E6data_tES1_T2_PKS7_S9_PKS1_PKS4_21rocsparse_index_base_S9_S9_SB_PS4_SF_SE_S9_S9_SB_SF_SF_SE_SF_SF_PS6_SG_PKS6_,"axG",@progbits,_ZN9rocsparseL6kernelILi1024ELi16EdiiEEvbbbT3_PS1_NS_15floating_traitsIT1_E6data_tES1_T2_PKS7_S9_PKS1_PKS4_21rocsparse_index_base_S9_S9_SB_PS4_SF_SE_S9_S9_SB_SF_SF_SE_SF_SF_PS6_SG_PKS6_,comdat
	.globl	_ZN9rocsparseL6kernelILi1024ELi16EdiiEEvbbbT3_PS1_NS_15floating_traitsIT1_E6data_tES1_T2_PKS7_S9_PKS1_PKS4_21rocsparse_index_base_S9_S9_SB_PS4_SF_SE_S9_S9_SB_SF_SF_SE_SF_SF_PS6_SG_PKS6_ ; -- Begin function _ZN9rocsparseL6kernelILi1024ELi16EdiiEEvbbbT3_PS1_NS_15floating_traitsIT1_E6data_tES1_T2_PKS7_S9_PKS1_PKS4_21rocsparse_index_base_S9_S9_SB_PS4_SF_SE_S9_S9_SB_SF_SF_SE_SF_SF_PS6_SG_PKS6_
	.p2align	8
	.type	_ZN9rocsparseL6kernelILi1024ELi16EdiiEEvbbbT3_PS1_NS_15floating_traitsIT1_E6data_tES1_T2_PKS7_S9_PKS1_PKS4_21rocsparse_index_base_S9_S9_SB_PS4_SF_SE_S9_S9_SB_SF_SF_SE_SF_SF_PS6_SG_PKS6_,@function
_ZN9rocsparseL6kernelILi1024ELi16EdiiEEvbbbT3_PS1_NS_15floating_traitsIT1_E6data_tES1_T2_PKS7_S9_PKS1_PKS4_21rocsparse_index_base_S9_S9_SB_PS4_SF_SE_S9_S9_SB_SF_SF_SE_SF_SF_PS6_SG_PKS6_: ; @_ZN9rocsparseL6kernelILi1024ELi16EdiiEEvbbbT3_PS1_NS_15floating_traitsIT1_E6data_tES1_T2_PKS7_S9_PKS1_PKS4_21rocsparse_index_base_S9_S9_SB_PS4_SF_SE_S9_S9_SB_SF_SF_SE_SF_SF_PS6_SG_PKS6_
; %bb.0:
	s_clause 0x4
	s_load_dword s0, s[4:5], 0x0
	s_load_dwordx2 s[10:11], s[4:5], 0x0
	s_load_dword s57, s[4:5], 0x18
	s_load_dwordx4 s[44:47], s[4:5], 0x8
	s_load_dwordx4 s[28:31], s[4:5], 0xb8
	v_lshrrev_b32_e32 v26, 4, v0
	v_mov_b32_e32 v3, 0
	v_lshlrev_b32_e32 v29, 3, v0
	v_mov_b32_e32 v1, 0
	v_and_b32_e32 v27, 15, v0
	v_mov_b32_e32 v2, 0
	v_mov_b32_e32 v4, v3
	v_mbcnt_lo_u32_b32 v28, -1, 0
	s_mov_b32 s59, 0
	ds_write_b64 v29, v[3:4]
	v_mov_b32_e32 v4, 0
	v_mov_b32_e32 v5, 0
	s_waitcnt lgkmcnt(0)
	s_bitcmp1_b32 s0, 0
	s_barrier
	s_cselect_b32 s58, -1, 0
	s_bitcmp1_b32 s0, 8
	buffer_gl0_inv
	s_cselect_b32 s56, -1, 0
	s_bitcmp1_b32 s10, 16
	s_cselect_b32 s33, -1, 0
	s_lshl_b32 s64, s6, 10
	s_cmp_gt_i32 s11, 0
	v_or_b32_e32 v30, s64, v26
	s_cselect_b32 s0, -1, 0
	v_cmp_gt_i32_e32 vcc_lo, s57, v30
	s_and_b32 s0, s0, vcc_lo
	s_and_saveexec_b32 s60, s0
	s_cbranch_execnz .LBB25_3
; %bb.1:
	s_or_b32 exec_lo, exec_lo, s60
	s_andn2_b32 vcc_lo, exec_lo, s58
	s_cbranch_vccz .LBB25_142
.LBB25_2:
	v_cmp_eq_u32_e32 vcc_lo, 0, v0
	s_and_b32 s0, vcc_lo, s56
	s_and_saveexec_b32 s1, s0
	s_cbranch_execnz .LBB25_160
	s_branch .LBB25_166
.LBB25_3:
	s_clause 0x9
	s_load_dword s61, s[4:5], 0x40
	s_load_dword s62, s[4:5], 0x70
	;; [unrolled: 1-line block ×3, first 2 shown]
	s_load_dwordx2 s[34:35], s[4:5], 0x98
	s_load_dwordx2 s[52:53], s[4:5], 0x68
	;; [unrolled: 1-line block ×3, first 2 shown]
	s_load_dwordx4 s[48:51], s[4:5], 0xa8
	s_load_dwordx8 s[12:19], s[4:5], 0x78
	s_load_dwordx8 s[20:27], s[4:5], 0x48
	s_load_dwordx8 s[36:43], s[4:5], 0x20
	s_addk_i32 s64, 0x400
	v_mov_b32_e32 v1, 0
	v_mov_b32_e32 v4, 0
	v_cmp_eq_u32_e64 s0, 15, v27
	v_lshlrev_b32_e32 v31, 3, v26
	v_cmp_gt_u32_e64 s1, 32, v0
	v_cmp_gt_u32_e64 s2, 16, v0
	;; [unrolled: 1-line block ×5, first 2 shown]
	v_cmp_eq_u32_e64 s6, 0, v0
	v_cmp_gt_u32_e64 s7, s64, v30
	s_waitcnt lgkmcnt(0)
	v_subrev_nc_u32_e32 v32, s61, v27
	v_subrev_nc_u32_e32 v33, s62, v27
	v_subrev_nc_u32_e32 v34, s63, v27
	v_cmp_eq_u32_e64 s8, 0, v27
	v_mov_b32_e32 v2, 0
	v_mov_b32_e32 v5, 0
	;; [unrolled: 1-line block ×3, first 2 shown]
	s_and_b32 s9, s56, s33
	s_xor_b32 s65, s56, -1
	s_xor_b32 s66, s9, -1
	s_mov_b32 s67, 0
	s_branch .LBB25_5
.LBB25_4:                               ;   in Loop: Header=BB25_5 Depth=1
	s_or_b32 exec_lo, exec_lo, s9
	s_and_b32 s9, exec_lo, s10
	s_or_b32 s59, s9, s59
	s_andn2_b32 exec_lo, exec_lo, s59
	s_cbranch_execz .LBB25_141
.LBB25_5:                               ; =>This Loop Header: Depth=1
                                        ;     Child Loop BB25_9 Depth 2
                                        ;       Child Loop BB25_14 Depth 3
                                        ;         Child Loop BB25_18 Depth 4
                                        ;         Child Loop BB25_39 Depth 4
	;; [unrolled: 1-line block ×5, first 2 shown]
                                        ;     Child Loop BB25_120 Depth 2
                                        ;       Child Loop BB25_123 Depth 3
                                        ;       Child Loop BB25_126 Depth 3
	v_cndmask_b32_e64 v2, v2, 0, s56
	v_cndmask_b32_e64 v1, v1, 0, s56
	;; [unrolled: 1-line block ×4, first 2 shown]
	s_mov_b32 s68, 0
	s_branch .LBB25_9
.LBB25_6:                               ;   in Loop: Header=BB25_9 Depth=2
	s_or_b32 exec_lo, exec_lo, s71
.LBB25_7:                               ;   in Loop: Header=BB25_9 Depth=2
	s_or_b32 exec_lo, exec_lo, s70
.LBB25_8:                               ;   in Loop: Header=BB25_9 Depth=2
	s_or_b32 exec_lo, exec_lo, s69
	s_add_i32 s68, s68, 1
	s_cmp_eq_u32 s68, 16
	s_cbranch_scc1 .LBB25_85
.LBB25_9:                               ;   Parent Loop BB25_5 Depth=1
                                        ; =>  This Loop Header: Depth=2
                                        ;       Child Loop BB25_14 Depth 3
                                        ;         Child Loop BB25_18 Depth 4
                                        ;         Child Loop BB25_39 Depth 4
	;; [unrolled: 1-line block ×5, first 2 shown]
	v_lshl_add_u32 v8, s68, 6, v30
	s_mov_b32 s69, exec_lo
	v_cmpx_gt_i32_e64 s57, v8
	s_cbranch_execz .LBB25_8
; %bb.10:                               ;   in Loop: Header=BB25_9 Depth=2
	v_ashrrev_i32_e32 v9, 31, v8
	s_mov_b32 s70, exec_lo
	v_lshlrev_b64 v[10:11], 2, v[8:9]
	v_add_co_u32 v12, vcc_lo, s36, v10
	v_add_co_ci_u32_e64 v13, null, s37, v11, vcc_lo
	v_add_co_u32 v14, vcc_lo, s38, v10
	v_add_co_ci_u32_e64 v15, null, s39, v11, vcc_lo
	global_load_dword v3, v[12:13], off
	global_load_dword v6, v[14:15], off
	s_waitcnt vmcnt(1)
	v_add_nc_u32_e32 v9, v32, v3
	s_waitcnt vmcnt(0)
	v_subrev_nc_u32_e32 v3, s61, v6
	v_cmpx_lt_i32_e64 v9, v3
	s_cbranch_execz .LBB25_7
; %bb.11:                               ;   in Loop: Header=BB25_9 Depth=2
	v_add_co_u32 v12, vcc_lo, s20, v10
	v_add_co_ci_u32_e64 v13, null, s21, v11, vcc_lo
	v_add_co_u32 v10, vcc_lo, s22, v10
	v_add_co_ci_u32_e64 v11, null, s23, v11, vcc_lo
	global_load_dword v6, v[12:13], off
	s_mov_b32 s71, 0
	global_load_dword v10, v[10:11], off
	s_waitcnt vmcnt(1)
	v_subrev_nc_u32_e32 v11, s62, v6
	s_waitcnt vmcnt(0)
	v_sub_nc_u32_e32 v35, v10, v6
	v_ashrrev_i32_e32 v12, 31, v11
	v_cmp_lt_i32_e64 s9, 0, v35
	v_lshlrev_b64 v[13:14], 2, v[11:12]
	v_lshlrev_b64 v[15:16], 3, v[11:12]
	v_add_co_u32 v36, vcc_lo, s24, v13
	v_add_co_ci_u32_e64 v37, null, s25, v14, vcc_lo
	v_add_co_u32 v38, vcc_lo, s26, v15
	v_add_co_ci_u32_e64 v39, null, s27, v16, vcc_lo
	s_branch .LBB25_14
.LBB25_12:                              ;   in Loop: Header=BB25_14 Depth=3
	s_or_b32 exec_lo, exec_lo, s72
.LBB25_13:                              ;   in Loop: Header=BB25_14 Depth=3
	s_or_b32 exec_lo, exec_lo, s10
	v_add_nc_u32_e32 v9, 16, v9
	v_cmp_ge_i32_e32 vcc_lo, v9, v3
	s_or_b32 s71, vcc_lo, s71
	s_andn2_b32 exec_lo, exec_lo, s71
	s_cbranch_execz .LBB25_6
.LBB25_14:                              ;   Parent Loop BB25_5 Depth=1
                                        ;     Parent Loop BB25_9 Depth=2
                                        ; =>    This Loop Header: Depth=3
                                        ;         Child Loop BB25_18 Depth 4
                                        ;         Child Loop BB25_39 Depth 4
	;; [unrolled: 1-line block ×5, first 2 shown]
	v_ashrrev_i32_e32 v10, 31, v9
	v_mov_b32_e32 v19, 0
	v_lshlrev_b64 v[12:13], 2, v[9:10]
	v_add_co_u32 v12, vcc_lo, s40, v12
	v_add_co_ci_u32_e64 v13, null, s41, v13, vcc_lo
	global_load_dword v6, v[12:13], off
	s_waitcnt vmcnt(0)
	v_subrev_nc_u32_e32 v12, s61, v6
	v_ashrrev_i32_e32 v13, 31, v12
	v_lshlrev_b64 v[14:15], 2, v[12:13]
	v_add_co_u32 v16, vcc_lo, s12, v14
	v_add_co_ci_u32_e64 v17, null, s13, v15, vcc_lo
	v_add_co_u32 v14, vcc_lo, s14, v14
	v_add_co_ci_u32_e64 v15, null, s15, v15, vcc_lo
	global_load_dword v6, v[16:17], off
	global_load_dword v16, v[14:15], off
	v_mov_b32_e32 v14, 0
	v_mov_b32_e32 v15, 0
	s_waitcnt vmcnt(1)
	v_subrev_nc_u32_e32 v18, s63, v6
	s_waitcnt vmcnt(0)
	v_sub_nc_u32_e32 v40, v16, v6
	v_mov_b32_e32 v6, v19
	s_and_saveexec_b32 s72, s9
	s_cbranch_execz .LBB25_22
; %bb.15:                               ;   in Loop: Header=BB25_14 Depth=3
	v_ashrrev_i32_e32 v19, 31, v18
	v_mov_b32_e32 v14, 0
	v_mov_b32_e32 v15, 0
	;; [unrolled: 1-line block ×3, first 2 shown]
	s_mov_b32 s73, 0
	v_lshlrev_b64 v[16:17], 2, v[18:19]
	v_lshlrev_b64 v[19:20], 3, v[18:19]
                                        ; implicit-def: $sgpr74
	v_add_co_u32 v16, vcc_lo, s16, v16
	v_add_co_ci_u32_e64 v17, null, s17, v17, vcc_lo
	v_add_co_u32 v21, vcc_lo, s18, v19
	v_add_co_ci_u32_e64 v22, null, s19, v20, vcc_lo
	v_mov_b32_e32 v19, 0
	s_branch .LBB25_18
.LBB25_16:                              ;   in Loop: Header=BB25_18 Depth=4
	s_or_b32 exec_lo, exec_lo, s10
	v_cmp_le_i32_e32 vcc_lo, v23, v24
	v_cmp_ge_i32_e64 s10, v23, v24
	v_add_co_ci_u32_e64 v6, null, 0, v6, vcc_lo
	v_add_co_ci_u32_e64 v19, null, 0, v19, s10
	s_andn2_b32 s10, s74, exec_lo
	v_cmp_ge_i32_e32 vcc_lo, v6, v35
	s_and_b32 s74, vcc_lo, exec_lo
	s_or_b32 s74, s10, s74
.LBB25_17:                              ;   in Loop: Header=BB25_18 Depth=4
	s_or_b32 exec_lo, exec_lo, s75
	s_and_b32 s10, exec_lo, s74
	s_or_b32 s73, s10, s73
	s_andn2_b32 exec_lo, exec_lo, s73
	s_cbranch_execz .LBB25_21
.LBB25_18:                              ;   Parent Loop BB25_5 Depth=1
                                        ;     Parent Loop BB25_9 Depth=2
                                        ;       Parent Loop BB25_14 Depth=3
                                        ; =>      This Inner Loop Header: Depth=4
	s_or_b32 s74, s74, exec_lo
	s_mov_b32 s75, exec_lo
	v_cmpx_lt_i32_e64 v19, v40
	s_cbranch_execz .LBB25_17
; %bb.19:                               ;   in Loop: Header=BB25_18 Depth=4
	v_mov_b32_e32 v20, v7
	v_lshlrev_b64 v[23:24], 2, v[6:7]
	s_mov_b32 s10, exec_lo
	v_lshlrev_b64 v[41:42], 2, v[19:20]
	v_add_co_u32 v23, vcc_lo, v36, v23
	v_add_co_ci_u32_e64 v24, null, v37, v24, vcc_lo
	v_add_co_u32 v41, vcc_lo, v16, v41
	v_add_co_ci_u32_e64 v42, null, v17, v42, vcc_lo
	global_load_dword v23, v[23:24], off
	global_load_dword v24, v[41:42], off
	s_waitcnt vmcnt(1)
	v_subrev_nc_u32_e32 v23, s62, v23
	s_waitcnt vmcnt(0)
	v_subrev_nc_u32_e32 v24, s63, v24
	v_cmpx_eq_u32_e64 v23, v24
	s_cbranch_execz .LBB25_16
; %bb.20:                               ;   in Loop: Header=BB25_18 Depth=4
	v_lshlrev_b64 v[41:42], 3, v[6:7]
	v_lshlrev_b64 v[43:44], 3, v[19:20]
	v_add_co_u32 v41, vcc_lo, v38, v41
	v_add_co_ci_u32_e64 v42, null, v39, v42, vcc_lo
	v_add_co_u32 v43, vcc_lo, v21, v43
	v_add_co_ci_u32_e64 v44, null, v22, v44, vcc_lo
	global_load_dwordx2 v[41:42], v[41:42], off
	global_load_dwordx2 v[43:44], v[43:44], off
	s_waitcnt vmcnt(0)
	v_fma_f64 v[14:15], v[41:42], v[43:44], v[14:15]
	s_branch .LBB25_16
.LBB25_21:                              ;   in Loop: Header=BB25_14 Depth=3
	s_or_b32 exec_lo, exec_lo, s73
.LBB25_22:                              ;   in Loop: Header=BB25_14 Depth=3
	s_or_b32 exec_lo, exec_lo, s72
	v_lshlrev_b64 v[16:17], 3, v[9:10]
	v_cmp_le_i32_e64 s10, v8, v12
	s_mov_b32 s72, exec_lo
	v_add_co_u32 v16, vcc_lo, s42, v16
	v_add_co_ci_u32_e64 v17, null, s43, v17, vcc_lo
	global_load_dwordx2 v[16:17], v[16:17], off
	s_waitcnt vmcnt(0)
	v_add_f64 v[20:21], v[16:17], -v[14:15]
	v_cmpx_gt_i32_e64 v8, v12
	s_cbranch_execnz .LBB25_25
; %bb.23:                               ;   in Loop: Header=BB25_14 Depth=3
	s_or_b32 exec_lo, exec_lo, s72
	v_cmp_class_f64_e64 s72, v[20:21], 0x1f8
	s_and_saveexec_b32 s73, s72
	s_cbranch_execnz .LBB25_28
.LBB25_24:                              ;   in Loop: Header=BB25_14 Depth=3
	s_or_b32 exec_lo, exec_lo, s73
	s_and_b32 s72, s33, s72
	s_and_saveexec_b32 s10, s72
	s_cbranch_execz .LBB25_13
	s_branch .LBB25_63
.LBB25_25:                              ;   in Loop: Header=BB25_14 Depth=3
	v_lshlrev_b64 v[22:23], 3, v[12:13]
	v_mov_b32_e32 v24, 0
	v_mov_b32_e32 v25, 0
	s_mov_b32 s73, exec_lo
	v_add_co_u32 v22, vcc_lo, s48, v22
	v_add_co_ci_u32_e64 v23, null, s49, v23, vcc_lo
	global_load_dwordx2 v[22:23], v[22:23], off
	s_waitcnt vmcnt(0)
	v_cmpx_lg_f64_e32 0, v[22:23]
	s_cbranch_execz .LBB25_27
; %bb.26:                               ;   in Loop: Header=BB25_14 Depth=3
	v_div_scale_f64 v[24:25], null, v[22:23], v[22:23], v[20:21]
	v_rcp_f64_e32 v[41:42], v[24:25]
	v_fma_f64 v[43:44], -v[24:25], v[41:42], 1.0
	v_fma_f64 v[41:42], v[41:42], v[43:44], v[41:42]
	v_fma_f64 v[43:44], -v[24:25], v[41:42], 1.0
	v_fma_f64 v[41:42], v[41:42], v[43:44], v[41:42]
	v_div_scale_f64 v[43:44], vcc_lo, v[20:21], v[22:23], v[20:21]
	v_mul_f64 v[45:46], v[43:44], v[41:42]
	v_fma_f64 v[24:25], -v[24:25], v[45:46], v[43:44]
	v_div_fmas_f64 v[24:25], v[24:25], v[41:42], v[45:46]
	v_div_fixup_f64 v[24:25], v[24:25], v[22:23], v[20:21]
.LBB25_27:                              ;   in Loop: Header=BB25_14 Depth=3
	s_or_b32 exec_lo, exec_lo, s73
	v_mov_b32_e32 v20, v24
	v_mov_b32_e32 v21, v25
	s_or_b32 exec_lo, exec_lo, s72
	v_cmp_class_f64_e64 s72, v[20:21], 0x1f8
	s_and_saveexec_b32 s73, s72
	s_cbranch_execz .LBB25_24
.LBB25_28:                              ;   in Loop: Header=BB25_14 Depth=3
	s_and_saveexec_b32 s74, s10
	s_xor_b32 s10, exec_lo, s74
	s_cbranch_execz .LBB25_49
; %bb.29:                               ;   in Loop: Header=BB25_14 Depth=3
	s_mov_b32 s74, exec_lo
	v_cmpx_ge_i32_e64 v8, v12
	s_xor_b32 s74, exec_lo, s74
	s_cbranch_execz .LBB25_35
; %bb.30:                               ;   in Loop: Header=BB25_14 Depth=3
	v_lshlrev_b64 v[22:23], 3, v[12:13]
	v_add_co_u32 v24, vcc_lo, s50, v22
	v_add_co_ci_u32_e64 v25, null, s51, v23, vcc_lo
	s_andn2_b32 vcc_lo, exec_lo, s56
	global_store_dwordx2 v[24:25], v[20:21], off
	s_cbranch_vccnz .LBB25_34
; %bb.31:                               ;   in Loop: Header=BB25_14 Depth=3
	v_add_co_u32 v22, vcc_lo, s48, v22
	v_add_co_ci_u32_e64 v23, null, s49, v23, vcc_lo
	global_load_dwordx2 v[22:23], v[22:23], off
	s_waitcnt vmcnt(0)
	v_add_f64 v[20:21], v[22:23], -v[20:21]
	v_cmp_class_f64_e64 s76, v[20:21], 0x1f8
	s_and_saveexec_b32 s75, s76
	s_cbranch_execz .LBB25_33
; %bb.32:                               ;   in Loop: Header=BB25_14 Depth=3
	v_cmp_lt_f64_e64 vcc_lo, v[1:2], |v[20:21]|
	v_and_b32_e32 v10, 0x7fffffff, v21
	v_cndmask_b32_e32 v2, v2, v10, vcc_lo
	v_cndmask_b32_e32 v1, v1, v20, vcc_lo
.LBB25_33:                              ;   in Loop: Header=BB25_14 Depth=3
	s_or_b32 exec_lo, exec_lo, s75
.LBB25_34:                              ;   in Loop: Header=BB25_14 Depth=3
                                        ; implicit-def: $vgpr20_vgpr21
.LBB25_35:                              ;   in Loop: Header=BB25_14 Depth=3
	s_andn2_saveexec_b32 s74, s74
	s_cbranch_execz .LBB25_48
; %bb.36:                               ;   in Loop: Header=BB25_14 Depth=3
	s_mov_b32 s75, exec_lo
	v_cmpx_lt_i32_e64 v19, v40
	s_cbranch_execz .LBB25_47
; %bb.37:                               ;   in Loop: Header=BB25_14 Depth=3
	v_mov_b32_e32 v10, v19
	s_mov_b32 s76, 0
                                        ; implicit-def: $sgpr77
                                        ; implicit-def: $sgpr79
                                        ; implicit-def: $sgpr78
	s_inst_prefetch 0x1
	s_branch .LBB25_39
	.p2align	6
.LBB25_38:                              ;   in Loop: Header=BB25_39 Depth=4
	s_or_b32 exec_lo, exec_lo, s80
	s_and_b32 s80, exec_lo, s79
	s_or_b32 s76, s80, s76
	s_andn2_b32 s77, s77, exec_lo
	s_and_b32 s80, s78, exec_lo
	s_or_b32 s77, s77, s80
	s_andn2_b32 exec_lo, exec_lo, s76
	s_cbranch_execz .LBB25_41
.LBB25_39:                              ;   Parent Loop BB25_5 Depth=1
                                        ;     Parent Loop BB25_9 Depth=2
                                        ;       Parent Loop BB25_14 Depth=3
                                        ; =>      This Inner Loop Header: Depth=4
	v_add_nc_u32_e32 v22, v18, v10
	s_or_b32 s78, s78, exec_lo
	s_or_b32 s79, s79, exec_lo
	s_mov_b32 s80, exec_lo
	v_ashrrev_i32_e32 v23, 31, v22
	v_lshlrev_b64 v[24:25], 2, v[22:23]
	v_add_co_u32 v24, vcc_lo, s16, v24
	v_add_co_ci_u32_e64 v25, null, s17, v25, vcc_lo
	global_load_dword v24, v[24:25], off
	s_waitcnt vmcnt(0)
	v_subrev_nc_u32_e32 v24, s63, v24
	v_cmpx_ne_u32_e64 v24, v8
	s_cbranch_execz .LBB25_38
; %bb.40:                               ;   in Loop: Header=BB25_39 Depth=4
	v_add_nc_u32_e32 v10, 1, v10
	s_andn2_b32 s79, s79, exec_lo
	s_andn2_b32 s78, s78, exec_lo
	v_cmp_ge_i32_e32 vcc_lo, v10, v40
	s_and_b32 s81, vcc_lo, exec_lo
	s_or_b32 s79, s79, s81
	s_branch .LBB25_38
.LBB25_41:                              ;   in Loop: Header=BB25_14 Depth=3
	s_inst_prefetch 0x2
	s_or_b32 exec_lo, exec_lo, s76
	s_and_saveexec_b32 s76, s77
	s_xor_b32 s76, exec_lo, s76
	s_cbranch_execz .LBB25_46
; %bb.42:                               ;   in Loop: Header=BB25_14 Depth=3
	v_lshlrev_b64 v[22:23], 3, v[22:23]
	v_add_co_u32 v24, vcc_lo, s34, v22
	v_add_co_ci_u32_e64 v25, null, s35, v23, vcc_lo
	s_andn2_b32 vcc_lo, exec_lo, s56
	global_store_dwordx2 v[24:25], v[20:21], off
	s_cbranch_vccnz .LBB25_46
; %bb.43:                               ;   in Loop: Header=BB25_14 Depth=3
	v_add_co_u32 v22, vcc_lo, s18, v22
	v_add_co_ci_u32_e64 v23, null, s19, v23, vcc_lo
	global_load_dwordx2 v[22:23], v[22:23], off
	s_waitcnt vmcnt(0)
	v_add_f64 v[20:21], v[22:23], -v[20:21]
	v_cmp_class_f64_e64 s78, v[20:21], 0x1f8
	s_and_saveexec_b32 s77, s78
	s_cbranch_execz .LBB25_45
; %bb.44:                               ;   in Loop: Header=BB25_14 Depth=3
	v_cmp_lt_f64_e64 vcc_lo, v[1:2], |v[20:21]|
	v_and_b32_e32 v10, 0x7fffffff, v21
	v_cndmask_b32_e32 v2, v2, v10, vcc_lo
	v_cndmask_b32_e32 v1, v1, v20, vcc_lo
.LBB25_45:                              ;   in Loop: Header=BB25_14 Depth=3
	s_or_b32 exec_lo, exec_lo, s77
.LBB25_46:                              ;   in Loop: Header=BB25_14 Depth=3
	s_or_b32 exec_lo, exec_lo, s76
.LBB25_47:                              ;   in Loop: Header=BB25_14 Depth=3
	s_or_b32 exec_lo, exec_lo, s75
.LBB25_48:                              ;   in Loop: Header=BB25_14 Depth=3
	s_or_b32 exec_lo, exec_lo, s74
                                        ; implicit-def: $vgpr20_vgpr21
.LBB25_49:                              ;   in Loop: Header=BB25_14 Depth=3
	s_andn2_saveexec_b32 s10, s10
	s_cbranch_execz .LBB25_62
; %bb.50:                               ;   in Loop: Header=BB25_14 Depth=3
	s_mov_b32 s74, exec_lo
	v_cmpx_lt_i32_e64 v6, v35
	s_cbranch_execz .LBB25_61
; %bb.51:                               ;   in Loop: Header=BB25_14 Depth=3
	v_mov_b32_e32 v10, v6
	s_mov_b32 s75, 0
                                        ; implicit-def: $sgpr76
                                        ; implicit-def: $sgpr78
                                        ; implicit-def: $sgpr77
	s_inst_prefetch 0x1
	s_branch .LBB25_53
	.p2align	6
.LBB25_52:                              ;   in Loop: Header=BB25_53 Depth=4
	s_or_b32 exec_lo, exec_lo, s79
	s_and_b32 s79, exec_lo, s78
	s_or_b32 s75, s79, s75
	s_andn2_b32 s76, s76, exec_lo
	s_and_b32 s79, s77, exec_lo
	s_or_b32 s76, s76, s79
	s_andn2_b32 exec_lo, exec_lo, s75
	s_cbranch_execz .LBB25_55
.LBB25_53:                              ;   Parent Loop BB25_5 Depth=1
                                        ;     Parent Loop BB25_9 Depth=2
                                        ;       Parent Loop BB25_14 Depth=3
                                        ; =>      This Inner Loop Header: Depth=4
	v_add_nc_u32_e32 v22, v11, v10
	s_or_b32 s77, s77, exec_lo
	s_or_b32 s78, s78, exec_lo
	s_mov_b32 s79, exec_lo
	v_ashrrev_i32_e32 v23, 31, v22
	v_lshlrev_b64 v[24:25], 2, v[22:23]
	v_add_co_u32 v24, vcc_lo, s24, v24
	v_add_co_ci_u32_e64 v25, null, s25, v25, vcc_lo
	global_load_dword v24, v[24:25], off
	s_waitcnt vmcnt(0)
	v_subrev_nc_u32_e32 v24, s62, v24
	v_cmpx_ne_u32_e64 v24, v12
	s_cbranch_execz .LBB25_52
; %bb.54:                               ;   in Loop: Header=BB25_53 Depth=4
	v_add_nc_u32_e32 v10, 1, v10
	s_andn2_b32 s78, s78, exec_lo
	s_andn2_b32 s77, s77, exec_lo
	v_cmp_ge_i32_e32 vcc_lo, v10, v35
	s_and_b32 s80, vcc_lo, exec_lo
	s_or_b32 s78, s78, s80
	s_branch .LBB25_52
.LBB25_55:                              ;   in Loop: Header=BB25_14 Depth=3
	s_inst_prefetch 0x2
	s_or_b32 exec_lo, exec_lo, s75
	s_and_saveexec_b32 s75, s76
	s_xor_b32 s75, exec_lo, s75
	s_cbranch_execz .LBB25_60
; %bb.56:                               ;   in Loop: Header=BB25_14 Depth=3
	v_lshlrev_b64 v[22:23], 3, v[22:23]
	v_add_co_u32 v24, vcc_lo, s52, v22
	v_add_co_ci_u32_e64 v25, null, s53, v23, vcc_lo
	s_andn2_b32 vcc_lo, exec_lo, s56
	global_store_dwordx2 v[24:25], v[20:21], off
	s_cbranch_vccnz .LBB25_60
; %bb.57:                               ;   in Loop: Header=BB25_14 Depth=3
	v_add_co_u32 v22, vcc_lo, s26, v22
	v_add_co_ci_u32_e64 v23, null, s27, v23, vcc_lo
	global_load_dwordx2 v[22:23], v[22:23], off
	s_waitcnt vmcnt(0)
	v_add_f64 v[20:21], v[22:23], -v[20:21]
	v_cmp_class_f64_e64 s77, v[20:21], 0x1f8
	s_and_saveexec_b32 s76, s77
	s_cbranch_execz .LBB25_59
; %bb.58:                               ;   in Loop: Header=BB25_14 Depth=3
	v_cmp_lt_f64_e64 vcc_lo, v[1:2], |v[20:21]|
	v_and_b32_e32 v10, 0x7fffffff, v21
	v_cndmask_b32_e32 v2, v2, v10, vcc_lo
	v_cndmask_b32_e32 v1, v1, v20, vcc_lo
.LBB25_59:                              ;   in Loop: Header=BB25_14 Depth=3
	s_or_b32 exec_lo, exec_lo, s76
.LBB25_60:                              ;   in Loop: Header=BB25_14 Depth=3
	s_or_b32 exec_lo, exec_lo, s75
.LBB25_61:                              ;   in Loop: Header=BB25_14 Depth=3
	s_or_b32 exec_lo, exec_lo, s74
.LBB25_62:                              ;   in Loop: Header=BB25_14 Depth=3
	s_or_b32 exec_lo, exec_lo, s10
	s_or_b32 exec_lo, exec_lo, s73
	s_and_b32 s72, s33, s72
	s_and_saveexec_b32 s10, s72
	s_cbranch_execz .LBB25_13
.LBB25_63:                              ;   in Loop: Header=BB25_14 Depth=3
	s_mov_b32 s72, exec_lo
	v_cmpx_ge_i32_e64 v19, v40
	s_xor_b32 s72, exec_lo, s72
	s_cbranch_execnz .LBB25_69
; %bb.64:                               ;   in Loop: Header=BB25_14 Depth=3
	s_andn2_saveexec_b32 s72, s72
	s_cbranch_execnz .LBB25_78
.LBB25_65:                              ;   in Loop: Header=BB25_14 Depth=3
	s_or_b32 exec_lo, exec_lo, s72
	s_mov_b32 s72, exec_lo
	v_cmpx_eq_u32_e64 v8, v12
	s_cbranch_execz .LBB25_67
.LBB25_66:                              ;   in Loop: Header=BB25_14 Depth=3
	v_lshlrev_b64 v[12:13], 3, v[12:13]
	v_add_co_u32 v12, vcc_lo, s48, v12
	v_add_co_ci_u32_e64 v13, null, s49, v13, vcc_lo
	global_load_dwordx2 v[12:13], v[12:13], off
	s_waitcnt vmcnt(0)
	v_add_f64 v[14:15], v[14:15], v[12:13]
.LBB25_67:                              ;   in Loop: Header=BB25_14 Depth=3
	s_or_b32 exec_lo, exec_lo, s72
	v_add_f64 v[12:13], v[16:17], -v[14:15]
	v_cmp_class_f64_e64 s73, v[12:13], 0x1f8
	s_and_saveexec_b32 s72, s73
	s_cbranch_execz .LBB25_12
; %bb.68:                               ;   in Loop: Header=BB25_14 Depth=3
	v_cmp_lt_f64_e64 vcc_lo, v[4:5], |v[12:13]|
	v_and_b32_e32 v6, 0x7fffffff, v13
	v_cndmask_b32_e32 v5, v5, v6, vcc_lo
	v_cndmask_b32_e32 v4, v4, v12, vcc_lo
	s_branch .LBB25_12
.LBB25_69:                              ;   in Loop: Header=BB25_14 Depth=3
	s_mov_b32 s73, exec_lo
	v_cmpx_lt_i32_e64 v6, v35
	s_cbranch_execz .LBB25_77
; %bb.70:                               ;   in Loop: Header=BB25_14 Depth=3
	s_mov_b32 s74, 0
                                        ; implicit-def: $sgpr75
                                        ; implicit-def: $sgpr77
                                        ; implicit-def: $sgpr76
	s_inst_prefetch 0x1
	s_branch .LBB25_72
	.p2align	6
.LBB25_71:                              ;   in Loop: Header=BB25_72 Depth=4
	s_or_b32 exec_lo, exec_lo, s78
	s_and_b32 s78, exec_lo, s77
	s_or_b32 s74, s78, s74
	s_andn2_b32 s75, s75, exec_lo
	s_and_b32 s78, s76, exec_lo
	s_or_b32 s75, s75, s78
	s_andn2_b32 exec_lo, exec_lo, s74
	s_cbranch_execz .LBB25_74
.LBB25_72:                              ;   Parent Loop BB25_5 Depth=1
                                        ;     Parent Loop BB25_9 Depth=2
                                        ;       Parent Loop BB25_14 Depth=3
                                        ; =>      This Inner Loop Header: Depth=4
	v_add_nc_u32_e32 v18, v11, v6
	s_or_b32 s76, s76, exec_lo
	s_or_b32 s77, s77, exec_lo
	s_mov_b32 s78, exec_lo
	v_ashrrev_i32_e32 v19, 31, v18
	v_lshlrev_b64 v[20:21], 2, v[18:19]
	v_add_co_u32 v20, vcc_lo, s24, v20
	v_add_co_ci_u32_e64 v21, null, s25, v21, vcc_lo
	global_load_dword v10, v[20:21], off
	s_waitcnt vmcnt(0)
	v_subrev_nc_u32_e32 v10, s62, v10
	v_cmpx_ne_u32_e64 v10, v12
	s_cbranch_execz .LBB25_71
; %bb.73:                               ;   in Loop: Header=BB25_72 Depth=4
	v_add_nc_u32_e32 v6, 1, v6
	s_andn2_b32 s77, s77, exec_lo
	s_andn2_b32 s76, s76, exec_lo
	v_cmp_ge_i32_e32 vcc_lo, v6, v35
	s_and_b32 s79, vcc_lo, exec_lo
	s_or_b32 s77, s77, s79
	s_branch .LBB25_71
.LBB25_74:                              ;   in Loop: Header=BB25_14 Depth=3
	s_inst_prefetch 0x2
	s_or_b32 exec_lo, exec_lo, s74
	s_and_saveexec_b32 s74, s75
	s_xor_b32 s74, exec_lo, s74
	s_cbranch_execz .LBB25_76
; %bb.75:                               ;   in Loop: Header=BB25_14 Depth=3
	v_lshlrev_b64 v[18:19], 3, v[18:19]
	v_lshlrev_b64 v[20:21], 3, v[12:13]
	v_add_co_u32 v18, vcc_lo, s26, v18
	v_add_co_ci_u32_e64 v19, null, s27, v19, vcc_lo
	v_add_co_u32 v20, vcc_lo, s48, v20
	v_add_co_ci_u32_e64 v21, null, s49, v21, vcc_lo
	global_load_dwordx2 v[18:19], v[18:19], off
	global_load_dwordx2 v[20:21], v[20:21], off
	s_waitcnt vmcnt(0)
	v_fma_f64 v[14:15], v[18:19], v[20:21], v[14:15]
.LBB25_76:                              ;   in Loop: Header=BB25_14 Depth=3
	s_or_b32 exec_lo, exec_lo, s74
.LBB25_77:                              ;   in Loop: Header=BB25_14 Depth=3
	s_or_b32 exec_lo, exec_lo, s73
                                        ; implicit-def: $vgpr19
                                        ; implicit-def: $vgpr18
                                        ; implicit-def: $vgpr40
	s_andn2_saveexec_b32 s72, s72
	s_cbranch_execz .LBB25_65
.LBB25_78:                              ;   in Loop: Header=BB25_14 Depth=3
	s_mov_b32 s73, 0
                                        ; implicit-def: $sgpr74
                                        ; implicit-def: $sgpr76
                                        ; implicit-def: $sgpr75
	s_inst_prefetch 0x1
	s_branch .LBB25_80
	.p2align	6
.LBB25_79:                              ;   in Loop: Header=BB25_80 Depth=4
	s_or_b32 exec_lo, exec_lo, s77
	s_and_b32 s77, exec_lo, s76
	s_or_b32 s73, s77, s73
	s_andn2_b32 s74, s74, exec_lo
	s_and_b32 s77, s75, exec_lo
	s_or_b32 s74, s74, s77
	s_andn2_b32 exec_lo, exec_lo, s73
	s_cbranch_execz .LBB25_82
.LBB25_80:                              ;   Parent Loop BB25_5 Depth=1
                                        ;     Parent Loop BB25_9 Depth=2
                                        ;       Parent Loop BB25_14 Depth=3
                                        ; =>      This Inner Loop Header: Depth=4
	v_add_nc_u32_e32 v20, v18, v19
	s_or_b32 s75, s75, exec_lo
	s_or_b32 s76, s76, exec_lo
	s_mov_b32 s77, exec_lo
	v_ashrrev_i32_e32 v21, 31, v20
	v_lshlrev_b64 v[22:23], 2, v[20:21]
	v_add_co_u32 v22, vcc_lo, s16, v22
	v_add_co_ci_u32_e64 v23, null, s17, v23, vcc_lo
	global_load_dword v6, v[22:23], off
	s_waitcnt vmcnt(0)
	v_subrev_nc_u32_e32 v6, s63, v6
	v_cmpx_ne_u32_e64 v6, v8
	s_cbranch_execz .LBB25_79
; %bb.81:                               ;   in Loop: Header=BB25_80 Depth=4
	v_add_nc_u32_e32 v19, 1, v19
	s_andn2_b32 s76, s76, exec_lo
	s_andn2_b32 s75, s75, exec_lo
	v_cmp_ge_i32_e32 vcc_lo, v19, v40
	s_and_b32 s78, vcc_lo, exec_lo
	s_or_b32 s76, s76, s78
	s_branch .LBB25_79
.LBB25_82:                              ;   in Loop: Header=BB25_14 Depth=3
	s_inst_prefetch 0x2
	s_or_b32 exec_lo, exec_lo, s73
	s_and_saveexec_b32 s73, s74
	s_xor_b32 s73, exec_lo, s73
	s_cbranch_execz .LBB25_84
; %bb.83:                               ;   in Loop: Header=BB25_14 Depth=3
	v_lshlrev_b64 v[18:19], 3, v[20:21]
	v_add_co_u32 v18, vcc_lo, s18, v18
	v_add_co_ci_u32_e64 v19, null, s19, v19, vcc_lo
	global_load_dwordx2 v[18:19], v[18:19], off
	s_waitcnt vmcnt(0)
	v_add_f64 v[14:15], v[14:15], v[18:19]
.LBB25_84:                              ;   in Loop: Header=BB25_14 Depth=3
	s_or_b32 exec_lo, exec_lo, s73
	s_or_b32 exec_lo, exec_lo, s72
	s_mov_b32 s72, exec_lo
	v_cmpx_eq_u32_e64 v8, v12
	s_cbranch_execnz .LBB25_66
	s_branch .LBB25_67
.LBB25_85:                              ;   in Loop: Header=BB25_5 Depth=1
	v_xor_b32_e32 v11, 8, v28
	v_xor_b32_e32 v10, 4, v28
	;; [unrolled: 1-line block ×4, first 2 shown]
	s_and_b32 vcc_lo, exec_lo, s56
	s_cbranch_vccnz .LBB25_88
; %bb.86:                               ;   in Loop: Header=BB25_5 Depth=1
	s_andn2_b32 vcc_lo, exec_lo, s33
	s_cbranch_vccz .LBB25_103
.LBB25_87:                              ;   in Loop: Header=BB25_5 Depth=1
	s_and_saveexec_b32 s10, s7
	s_cbranch_execnz .LBB25_118
	s_branch .LBB25_129
.LBB25_88:                              ;   in Loop: Header=BB25_5 Depth=1
	v_cmp_gt_i32_e32 vcc_lo, 32, v11
	v_cmp_gt_i32_e64 s9, 32, v10
	v_cndmask_b32_e32 v8, v28, v11, vcc_lo
	v_cndmask_b32_e64 v12, v28, v10, s9
	v_cmp_gt_i32_e64 s9, 32, v6
	v_lshlrev_b32_e32 v9, 2, v8
	v_lshlrev_b32_e32 v12, 2, v12
	ds_bpermute_b32 v8, v9, v1
	ds_bpermute_b32 v9, v9, v2
	s_waitcnt lgkmcnt(0)
	v_cmp_lt_f64_e32 vcc_lo, v[1:2], v[8:9]
	v_cndmask_b32_e32 v2, v2, v9, vcc_lo
	v_cndmask_b32_e32 v1, v1, v8, vcc_lo
	ds_bpermute_b32 v9, v12, v2
	ds_bpermute_b32 v8, v12, v1
	v_cndmask_b32_e64 v12, v28, v6, s9
	v_cmp_gt_i32_e64 s9, 32, v3
	v_lshlrev_b32_e32 v12, 2, v12
	s_waitcnt lgkmcnt(0)
	v_cmp_lt_f64_e32 vcc_lo, v[1:2], v[8:9]
	v_cndmask_b32_e32 v2, v2, v9, vcc_lo
	v_cndmask_b32_e32 v1, v1, v8, vcc_lo
	ds_bpermute_b32 v9, v12, v2
	ds_bpermute_b32 v8, v12, v1
	v_cndmask_b32_e64 v12, v28, v3, s9
	v_lshlrev_b32_e32 v12, 2, v12
	s_waitcnt lgkmcnt(0)
	v_cmp_lt_f64_e32 vcc_lo, v[1:2], v[8:9]
	v_cndmask_b32_e32 v2, v2, v9, vcc_lo
	v_cndmask_b32_e32 v1, v1, v8, vcc_lo
	ds_bpermute_b32 v8, v12, v1
	ds_bpermute_b32 v12, v12, v2
	s_and_saveexec_b32 s9, s0
	s_cbranch_execz .LBB25_90
; %bb.89:                               ;   in Loop: Header=BB25_5 Depth=1
	s_waitcnt lgkmcnt(0)
	v_mov_b32_e32 v9, v12
	v_cmp_lt_f64_e32 vcc_lo, v[1:2], v[8:9]
	v_cndmask_b32_e32 v2, v2, v12, vcc_lo
	v_cndmask_b32_e32 v1, v1, v8, vcc_lo
	ds_write_b64 v31, v[1:2]
.LBB25_90:                              ;   in Loop: Header=BB25_5 Depth=1
	s_or_b32 exec_lo, exec_lo, s9
	s_waitcnt lgkmcnt(0)
	s_waitcnt_vscnt null, 0x0
	s_barrier
	buffer_gl0_inv
	s_and_saveexec_b32 s9, s1
	s_cbranch_execz .LBB25_92
; %bb.91:                               ;   in Loop: Header=BB25_5 Depth=1
	ds_read2_b64 v[12:15], v29 offset1:32
	s_waitcnt lgkmcnt(0)
	v_cmp_lt_f64_e32 vcc_lo, v[12:13], v[14:15]
	v_cndmask_b32_e32 v2, v13, v15, vcc_lo
	v_cndmask_b32_e32 v1, v12, v14, vcc_lo
	ds_write_b64 v29, v[1:2]
.LBB25_92:                              ;   in Loop: Header=BB25_5 Depth=1
	s_or_b32 exec_lo, exec_lo, s9
	s_waitcnt lgkmcnt(0)
	s_barrier
	buffer_gl0_inv
	s_and_saveexec_b32 s9, s2
	s_cbranch_execz .LBB25_94
; %bb.93:                               ;   in Loop: Header=BB25_5 Depth=1
	ds_read2_b64 v[12:15], v29 offset1:16
	s_waitcnt lgkmcnt(0)
	v_cmp_lt_f64_e32 vcc_lo, v[12:13], v[14:15]
	v_cndmask_b32_e32 v2, v13, v15, vcc_lo
	v_cndmask_b32_e32 v1, v12, v14, vcc_lo
	ds_write_b64 v29, v[1:2]
.LBB25_94:                              ;   in Loop: Header=BB25_5 Depth=1
	s_or_b32 exec_lo, exec_lo, s9
	s_waitcnt lgkmcnt(0)
	;; [unrolled: 14-line block ×4, first 2 shown]
	s_barrier
	buffer_gl0_inv
	s_and_saveexec_b32 s9, s5
	s_cbranch_execz .LBB25_100
; %bb.99:                               ;   in Loop: Header=BB25_5 Depth=1
	ds_read2_b64 v[12:15], v29 offset1:2
	s_waitcnt lgkmcnt(0)
	v_cmp_lt_f64_e32 vcc_lo, v[12:13], v[14:15]
	v_cndmask_b32_e32 v2, v13, v15, vcc_lo
	v_cndmask_b32_e32 v1, v12, v14, vcc_lo
	ds_write_b64 v29, v[1:2]
.LBB25_100:                             ;   in Loop: Header=BB25_5 Depth=1
	s_or_b32 exec_lo, exec_lo, s9
	s_waitcnt lgkmcnt(0)
	s_barrier
	buffer_gl0_inv
	s_and_saveexec_b32 s9, s6
	s_cbranch_execz .LBB25_102
; %bb.101:                              ;   in Loop: Header=BB25_5 Depth=1
	ds_read_b128 v[12:15], v7
	s_waitcnt lgkmcnt(0)
	v_cmp_lt_f64_e32 vcc_lo, v[12:13], v[14:15]
	v_cndmask_b32_e32 v2, v13, v15, vcc_lo
	v_cndmask_b32_e32 v1, v12, v14, vcc_lo
	ds_write_b64 v7, v[1:2]
.LBB25_102:                             ;   in Loop: Header=BB25_5 Depth=1
	s_or_b32 exec_lo, exec_lo, s9
	s_waitcnt lgkmcnt(0)
	s_barrier
	buffer_gl0_inv
	ds_read_b64 v[1:2], v7
	s_load_dwordx2 s[68:69], s[54:55], 0x0
	s_waitcnt lgkmcnt(0)
	v_div_scale_f64 v[8:9], null, s[68:69], s[68:69], v[1:2]
	v_rcp_f64_e32 v[12:13], v[8:9]
	v_fma_f64 v[14:15], -v[8:9], v[12:13], 1.0
	v_fma_f64 v[12:13], v[12:13], v[14:15], v[12:13]
	v_fma_f64 v[14:15], -v[8:9], v[12:13], 1.0
	v_fma_f64 v[12:13], v[12:13], v[14:15], v[12:13]
	v_div_scale_f64 v[14:15], vcc_lo, v[1:2], s[68:69], v[1:2]
	v_mul_f64 v[16:17], v[14:15], v[12:13]
	v_fma_f64 v[8:9], -v[8:9], v[16:17], v[14:15]
	v_div_fmas_f64 v[8:9], v[8:9], v[12:13], v[16:17]
	v_div_fixup_f64 v[1:2], v[8:9], s[68:69], v[1:2]
	s_andn2_b32 vcc_lo, exec_lo, s33
	s_cbranch_vccnz .LBB25_87
.LBB25_103:                             ;   in Loop: Header=BB25_5 Depth=1
	v_cmp_gt_i32_e32 vcc_lo, 32, v11
	v_cmp_gt_i32_e64 s9, 32, v10
	v_cndmask_b32_e32 v8, v28, v11, vcc_lo
	v_cndmask_b32_e64 v10, v28, v10, s9
	v_cmp_gt_i32_e64 s9, 32, v6
	v_lshlrev_b32_e32 v9, 2, v8
	v_lshlrev_b32_e32 v10, 2, v10
	v_cndmask_b32_e64 v6, v28, v6, s9
	v_cmp_gt_i32_e64 s9, 32, v3
	ds_bpermute_b32 v8, v9, v4
	ds_bpermute_b32 v9, v9, v5
	v_cndmask_b32_e64 v3, v28, v3, s9
	s_waitcnt lgkmcnt(0)
	v_cmp_lt_f64_e32 vcc_lo, v[4:5], v[8:9]
	v_cndmask_b32_e32 v5, v5, v9, vcc_lo
	v_cndmask_b32_e32 v4, v4, v8, vcc_lo
	ds_bpermute_b32 v9, v10, v5
	ds_bpermute_b32 v8, v10, v4
	v_lshlrev_b32_e32 v10, 2, v6
	s_waitcnt lgkmcnt(0)
	v_cmp_lt_f64_e32 vcc_lo, v[4:5], v[8:9]
	v_cndmask_b32_e32 v6, v5, v9, vcc_lo
	v_cndmask_b32_e32 v5, v4, v8, vcc_lo
	ds_bpermute_b32 v9, v10, v6
	ds_bpermute_b32 v8, v10, v5
	v_lshlrev_b32_e32 v10, 2, v3
	s_waitcnt lgkmcnt(0)
	v_cmp_lt_f64_e32 vcc_lo, v[5:6], v[8:9]
	v_cndmask_b32_e32 v4, v6, v9, vcc_lo
	v_cndmask_b32_e32 v3, v5, v8, vcc_lo
	ds_bpermute_b32 v8, v10, v4
	ds_bpermute_b32 v5, v10, v3
	s_and_saveexec_b32 s9, s0
	s_cbranch_execz .LBB25_105
; %bb.104:                              ;   in Loop: Header=BB25_5 Depth=1
	s_waitcnt lgkmcnt(1)
	v_mov_b32_e32 v6, v8
	s_waitcnt lgkmcnt(0)
	v_cmp_lt_f64_e32 vcc_lo, v[3:4], v[5:6]
	v_cndmask_b32_e32 v4, v4, v8, vcc_lo
	v_cndmask_b32_e32 v3, v3, v5, vcc_lo
	ds_write_b64 v31, v[3:4]
.LBB25_105:                             ;   in Loop: Header=BB25_5 Depth=1
	s_or_b32 exec_lo, exec_lo, s9
	s_waitcnt lgkmcnt(0)
	s_waitcnt_vscnt null, 0x0
	s_barrier
	buffer_gl0_inv
	s_and_saveexec_b32 s9, s1
	s_cbranch_execz .LBB25_107
; %bb.106:                              ;   in Loop: Header=BB25_5 Depth=1
	ds_read2_b64 v[3:6], v29 offset1:32
	s_waitcnt lgkmcnt(0)
	v_cmp_lt_f64_e32 vcc_lo, v[3:4], v[5:6]
	v_cndmask_b32_e32 v4, v4, v6, vcc_lo
	v_cndmask_b32_e32 v3, v3, v5, vcc_lo
	ds_write_b64 v29, v[3:4]
.LBB25_107:                             ;   in Loop: Header=BB25_5 Depth=1
	s_or_b32 exec_lo, exec_lo, s9
	s_waitcnt lgkmcnt(0)
	s_barrier
	buffer_gl0_inv
	s_and_saveexec_b32 s9, s2
	s_cbranch_execz .LBB25_109
; %bb.108:                              ;   in Loop: Header=BB25_5 Depth=1
	ds_read2_b64 v[3:6], v29 offset1:16
	s_waitcnt lgkmcnt(0)
	v_cmp_lt_f64_e32 vcc_lo, v[3:4], v[5:6]
	v_cndmask_b32_e32 v4, v4, v6, vcc_lo
	v_cndmask_b32_e32 v3, v3, v5, vcc_lo
	ds_write_b64 v29, v[3:4]
.LBB25_109:                             ;   in Loop: Header=BB25_5 Depth=1
	s_or_b32 exec_lo, exec_lo, s9
	s_waitcnt lgkmcnt(0)
	;; [unrolled: 14-line block ×5, first 2 shown]
	s_barrier
	buffer_gl0_inv
	s_and_saveexec_b32 s9, s6
	s_cbranch_execz .LBB25_117
; %bb.116:                              ;   in Loop: Header=BB25_5 Depth=1
	ds_read_b128 v[3:6], v7
	s_waitcnt lgkmcnt(0)
	v_cmp_lt_f64_e32 vcc_lo, v[3:4], v[5:6]
	v_cndmask_b32_e32 v4, v4, v6, vcc_lo
	v_cndmask_b32_e32 v3, v3, v5, vcc_lo
	ds_write_b64 v7, v[3:4]
.LBB25_117:                             ;   in Loop: Header=BB25_5 Depth=1
	s_or_b32 exec_lo, exec_lo, s9
	s_waitcnt lgkmcnt(0)
	s_barrier
	buffer_gl0_inv
	ds_read_b64 v[3:4], v7
	s_load_dwordx2 s[68:69], s[54:55], 0x0
	s_waitcnt lgkmcnt(0)
	v_div_scale_f64 v[5:6], null, s[68:69], s[68:69], v[3:4]
	v_rcp_f64_e32 v[8:9], v[5:6]
	v_fma_f64 v[10:11], -v[5:6], v[8:9], 1.0
	v_fma_f64 v[8:9], v[8:9], v[10:11], v[8:9]
	v_fma_f64 v[10:11], -v[5:6], v[8:9], 1.0
	v_fma_f64 v[8:9], v[8:9], v[10:11], v[8:9]
	v_div_scale_f64 v[10:11], vcc_lo, v[3:4], s[68:69], v[3:4]
	v_mul_f64 v[12:13], v[10:11], v[8:9]
	v_fma_f64 v[5:6], -v[5:6], v[12:13], v[10:11]
	v_div_fmas_f64 v[5:6], v[5:6], v[8:9], v[12:13]
	v_div_fixup_f64 v[4:5], v[5:6], s[68:69], v[3:4]
	s_and_saveexec_b32 s10, s7
	s_cbranch_execz .LBB25_129
.LBB25_118:                             ;   in Loop: Header=BB25_5 Depth=1
	v_mov_b32_e32 v8, v30
	s_mov_b32 s68, 0
	s_branch .LBB25_120
.LBB25_119:                             ;   in Loop: Header=BB25_120 Depth=2
	s_or_b32 exec_lo, exec_lo, s69
	v_add_nc_u32_e32 v8, 64, v8
	v_cmp_le_u32_e32 vcc_lo, s64, v8
	s_or_b32 s68, vcc_lo, s68
	s_andn2_b32 exec_lo, exec_lo, s68
	s_cbranch_execz .LBB25_129
.LBB25_120:                             ;   Parent Loop BB25_5 Depth=1
                                        ; =>  This Loop Header: Depth=2
                                        ;       Child Loop BB25_123 Depth 3
                                        ;       Child Loop BB25_126 Depth 3
	s_mov_b32 s69, exec_lo
	v_cmpx_gt_i32_e64 s57, v8
	s_cbranch_execz .LBB25_119
; %bb.121:                              ;   in Loop: Header=BB25_120 Depth=2
	v_ashrrev_i32_e32 v9, 31, v8
	s_mov_b32 s70, exec_lo
	v_lshlrev_b64 v[10:11], 2, v[8:9]
	v_add_co_u32 v12, vcc_lo, s20, v10
	v_add_co_ci_u32_e64 v13, null, s21, v11, vcc_lo
	v_add_co_u32 v14, vcc_lo, s22, v10
	v_add_co_ci_u32_e64 v15, null, s23, v11, vcc_lo
	global_load_dword v3, v[12:13], off
	global_load_dword v6, v[14:15], off
	s_waitcnt vmcnt(1)
	v_add_nc_u32_e32 v12, v33, v3
	s_waitcnt vmcnt(0)
	v_subrev_nc_u32_e32 v3, s62, v6
	v_cmpx_lt_i32_e64 v12, v3
	s_cbranch_execz .LBB25_124
; %bb.122:                              ;   in Loop: Header=BB25_120 Depth=2
	v_ashrrev_i32_e32 v13, 31, v12
	s_mov_b32 s71, 0
	v_lshlrev_b64 v[15:16], 3, v[12:13]
	v_add_co_u32 v13, vcc_lo, s52, v15
	v_add_co_ci_u32_e64 v14, null, s53, v16, vcc_lo
	v_add_co_u32 v15, vcc_lo, s26, v15
	v_add_co_ci_u32_e64 v16, null, s27, v16, vcc_lo
	.p2align	6
.LBB25_123:                             ;   Parent Loop BB25_5 Depth=1
                                        ;     Parent Loop BB25_120 Depth=2
                                        ; =>    This Inner Loop Header: Depth=3
	global_load_dwordx2 v[17:18], v[13:14], off
	v_add_nc_u32_e32 v12, 16, v12
	v_add_co_u32 v13, vcc_lo, 0x80, v13
	v_add_co_ci_u32_e64 v14, null, 0, v14, vcc_lo
	v_cmp_ge_i32_e32 vcc_lo, v12, v3
	s_or_b32 s71, vcc_lo, s71
	s_waitcnt vmcnt(0)
	global_store_dwordx2 v[15:16], v[17:18], off
	v_add_co_u32 v15, s9, 0x80, v15
	v_add_co_ci_u32_e64 v16, null, 0, v16, s9
	s_andn2_b32 exec_lo, exec_lo, s71
	s_cbranch_execnz .LBB25_123
.LBB25_124:                             ;   in Loop: Header=BB25_120 Depth=2
	s_or_b32 exec_lo, exec_lo, s70
	v_add_co_u32 v12, vcc_lo, s12, v10
	v_add_co_ci_u32_e64 v13, null, s13, v11, vcc_lo
	v_add_co_u32 v10, vcc_lo, s14, v10
	v_add_co_ci_u32_e64 v11, null, s15, v11, vcc_lo
	global_load_dword v3, v[12:13], off
	global_load_dword v6, v[10:11], off
	s_mov_b32 s70, exec_lo
	s_waitcnt vmcnt(1)
	v_add_nc_u32_e32 v10, v34, v3
	s_waitcnt vmcnt(0)
	v_subrev_nc_u32_e32 v3, s63, v6
	v_cmpx_lt_i32_e64 v10, v3
	s_cbranch_execz .LBB25_127
; %bb.125:                              ;   in Loop: Header=BB25_120 Depth=2
	v_ashrrev_i32_e32 v11, 31, v10
	s_mov_b32 s71, 0
	v_lshlrev_b64 v[13:14], 3, v[10:11]
	v_add_co_u32 v11, vcc_lo, s34, v13
	v_add_co_ci_u32_e64 v12, null, s35, v14, vcc_lo
	v_add_co_u32 v13, vcc_lo, s18, v13
	v_add_co_ci_u32_e64 v14, null, s19, v14, vcc_lo
	.p2align	6
.LBB25_126:                             ;   Parent Loop BB25_5 Depth=1
                                        ;     Parent Loop BB25_120 Depth=2
                                        ; =>    This Inner Loop Header: Depth=3
	global_load_dwordx2 v[15:16], v[11:12], off
	v_add_nc_u32_e32 v10, 16, v10
	v_add_co_u32 v11, vcc_lo, 0x80, v11
	v_add_co_ci_u32_e64 v12, null, 0, v12, vcc_lo
	v_cmp_ge_i32_e32 vcc_lo, v10, v3
	s_or_b32 s71, vcc_lo, s71
	s_waitcnt vmcnt(0)
	global_store_dwordx2 v[13:14], v[15:16], off
	v_add_co_u32 v13, s9, 0x80, v13
	v_add_co_ci_u32_e64 v14, null, 0, v14, s9
	s_andn2_b32 exec_lo, exec_lo, s71
	s_cbranch_execnz .LBB25_126
.LBB25_127:                             ;   in Loop: Header=BB25_120 Depth=2
	s_or_b32 exec_lo, exec_lo, s70
	s_and_b32 exec_lo, exec_lo, s8
	s_cbranch_execz .LBB25_119
; %bb.128:                              ;   in Loop: Header=BB25_120 Depth=2
	v_lshlrev_b64 v[9:10], 3, v[8:9]
	v_add_co_u32 v11, vcc_lo, s50, v9
	v_add_co_ci_u32_e64 v12, null, s51, v10, vcc_lo
	v_add_co_u32 v9, vcc_lo, s48, v9
	v_add_co_ci_u32_e64 v10, null, s49, v10, vcc_lo
	global_load_dwordx2 v[11:12], v[11:12], off
	s_waitcnt vmcnt(0)
	global_store_dwordx2 v[9:10], v[11:12], off
	s_branch .LBB25_119
.LBB25_129:                             ;   in Loop: Header=BB25_5 Depth=1
	s_or_b32 exec_lo, exec_lo, s10
	s_mov_b32 s10, -1
	s_and_b32 vcc_lo, exec_lo, s58
	s_mov_b32 s68, -1
	s_cbranch_vccz .LBB25_139
; %bb.130:                              ;   in Loop: Header=BB25_5 Depth=1
	s_and_b32 vcc_lo, exec_lo, s66
	s_mov_b32 s9, -1
                                        ; implicit-def: $sgpr68
	s_cbranch_vccz .LBB25_136
; %bb.131:                              ;   in Loop: Header=BB25_5 Depth=1
	s_and_b32 vcc_lo, exec_lo, s65
                                        ; implicit-def: $sgpr68
	s_cbranch_vccz .LBB25_133
; %bb.132:                              ;   in Loop: Header=BB25_5 Depth=1
	v_cmp_ge_f64_e64 s68, s[46:47], v[4:5]
	s_mov_b32 s9, 0
.LBB25_133:                             ;   in Loop: Header=BB25_5 Depth=1
	s_andn2_b32 vcc_lo, exec_lo, s9
	s_cbranch_vccnz .LBB25_135
; %bb.134:                              ;   in Loop: Header=BB25_5 Depth=1
	v_cmp_ge_f64_e32 vcc_lo, s[46:47], v[1:2]
	s_andn2_b32 s9, s68, exec_lo
	s_and_b32 s68, vcc_lo, exec_lo
	s_or_b32 s68, s9, s68
.LBB25_135:                             ;   in Loop: Header=BB25_5 Depth=1
	s_mov_b32 s9, 0
.LBB25_136:                             ;   in Loop: Header=BB25_5 Depth=1
	s_andn2_b32 vcc_lo, exec_lo, s9
	s_cbranch_vccnz .LBB25_138
; %bb.137:                              ;   in Loop: Header=BB25_5 Depth=1
	v_cmp_ge_f64_e32 vcc_lo, s[46:47], v[1:2]
	v_cmp_ge_f64_e64 s9, s[46:47], v[4:5]
	s_andn2_b32 s68, s68, exec_lo
	s_and_b32 s9, vcc_lo, s9
	s_and_b32 s9, s9, exec_lo
	s_or_b32 s68, s68, s9
.LBB25_138:                             ;   in Loop: Header=BB25_5 Depth=1
	s_xor_b32 s68, s68, -1
.LBB25_139:                             ;   in Loop: Header=BB25_5 Depth=1
	v_mov_b32_e32 v3, s67
	s_and_saveexec_b32 s9, s68
	s_cbranch_execz .LBB25_4
; %bb.140:                              ;   in Loop: Header=BB25_5 Depth=1
	s_add_i32 s67, s67, 1
	v_mov_b32_e32 v3, s11
	s_cmp_eq_u32 s67, s11
	s_cselect_b32 s10, -1, 0
	s_orn2_b32 s10, s10, exec_lo
	s_branch .LBB25_4
.LBB25_141:
	s_or_b32 exec_lo, exec_lo, s59
	s_or_b32 exec_lo, exec_lo, s60
	s_andn2_b32 vcc_lo, exec_lo, s58
	s_cbranch_vccnz .LBB25_2
.LBB25_142:
	v_xor_b32_e32 v6, 8, v28
	v_xor_b32_e32 v7, 4, v28
	s_mov_b32 s0, exec_lo
	v_cmp_gt_i32_e32 vcc_lo, 32, v6
	v_cndmask_b32_e32 v6, v28, v6, vcc_lo
	v_cmp_gt_i32_e32 vcc_lo, 32, v7
	v_lshlrev_b32_e32 v6, 2, v6
	v_cndmask_b32_e32 v7, v28, v7, vcc_lo
	ds_bpermute_b32 v6, v6, v3
	v_lshlrev_b32_e32 v7, 2, v7
	s_waitcnt lgkmcnt(0)
	v_max_i32_e32 v3, v3, v6
	ds_bpermute_b32 v6, v7, v3
	v_xor_b32_e32 v7, 2, v28
	v_cmp_gt_i32_e32 vcc_lo, 32, v7
	v_cndmask_b32_e32 v7, v28, v7, vcc_lo
	v_lshlrev_b32_e32 v7, 2, v7
	s_waitcnt lgkmcnt(0)
	v_max_i32_e32 v3, v3, v6
	ds_bpermute_b32 v6, v7, v3
	v_xor_b32_e32 v7, 1, v28
	v_cmp_gt_i32_e32 vcc_lo, 32, v7
	v_cndmask_b32_e32 v7, v28, v7, vcc_lo
	s_waitcnt lgkmcnt(0)
	v_max_i32_e32 v3, v3, v6
	v_lshlrev_b32_e32 v6, 2, v7
	ds_bpermute_b32 v6, v6, v3
	v_cmpx_eq_u32_e32 15, v27
	s_cbranch_execz .LBB25_144
; %bb.143:
	v_lshlrev_b32_e32 v7, 2, v26
	s_waitcnt lgkmcnt(0)
	v_max_i32_e32 v3, v3, v6
	ds_write_b32 v7, v3 offset:512
.LBB25_144:
	s_or_b32 exec_lo, exec_lo, s0
	v_lshlrev_b32_e32 v3, 2, v0
	s_mov_b32 s0, exec_lo
	s_waitcnt lgkmcnt(0)
	s_waitcnt_vscnt null, 0x0
	s_barrier
	buffer_gl0_inv
	v_cmpx_gt_u32_e32 32, v0
	s_cbranch_execz .LBB25_146
; %bb.145:
	ds_read2_b32 v[6:7], v3 offset0:128 offset1:160
	s_waitcnt lgkmcnt(0)
	v_max_i32_e32 v6, v6, v7
	ds_write_b32 v3, v6 offset:512
.LBB25_146:
	s_or_b32 exec_lo, exec_lo, s0
	s_mov_b32 s0, exec_lo
	s_waitcnt lgkmcnt(0)
	s_barrier
	buffer_gl0_inv
	v_cmpx_gt_u32_e32 16, v0
	s_cbranch_execz .LBB25_148
; %bb.147:
	ds_read2_b32 v[6:7], v3 offset0:128 offset1:144
	s_waitcnt lgkmcnt(0)
	v_max_i32_e32 v6, v6, v7
	ds_write_b32 v3, v6 offset:512
.LBB25_148:
	s_or_b32 exec_lo, exec_lo, s0
	s_mov_b32 s0, exec_lo
	s_waitcnt lgkmcnt(0)
	;; [unrolled: 13-line block ×4, first 2 shown]
	s_barrier
	buffer_gl0_inv
	v_cmpx_gt_u32_e32 2, v0
	s_cbranch_execz .LBB25_154
; %bb.153:
	ds_read2_b32 v[6:7], v3 offset0:128 offset1:130
	s_waitcnt lgkmcnt(0)
	v_max_i32_e32 v6, v6, v7
	ds_write_b32 v3, v6 offset:512
.LBB25_154:
	s_or_b32 exec_lo, exec_lo, s0
	v_cmp_eq_u32_e32 vcc_lo, 0, v0
	s_waitcnt lgkmcnt(0)
	s_barrier
	buffer_gl0_inv
	s_and_saveexec_b32 s0, vcc_lo
	s_cbranch_execz .LBB25_156
; %bb.155:
	v_mov_b32_e32 v3, 0
	ds_read_b64 v[6:7], v3 offset:512
	s_waitcnt lgkmcnt(0)
	v_max_i32_e32 v6, v6, v7
	ds_write_b32 v3, v6 offset:512
.LBB25_156:
	s_or_b32 exec_lo, exec_lo, s0
	s_waitcnt lgkmcnt(0)
	s_barrier
	buffer_gl0_inv
	s_and_saveexec_b32 s0, vcc_lo
	s_cbranch_execz .LBB25_159
; %bb.157:
	v_mbcnt_lo_u32_b32 v3, exec_lo, 0
	v_cmp_eq_u32_e32 vcc_lo, 0, v3
	s_and_b32 exec_lo, exec_lo, vcc_lo
	s_cbranch_execz .LBB25_159
; %bb.158:
	v_mov_b32_e32 v3, 0
	ds_read_b32 v6, v3 offset:512
	s_waitcnt lgkmcnt(0)
	v_add_nc_u32_e32 v6, 1, v6
	global_atomic_smax v3, v6, s[44:45]
.LBB25_159:
	s_or_b32 exec_lo, exec_lo, s0
	v_cmp_eq_u32_e32 vcc_lo, 0, v0
	s_and_b32 s0, vcc_lo, s56
	s_and_saveexec_b32 s1, s0
	s_cbranch_execz .LBB25_166
.LBB25_160:
	v_mov_b32_e32 v6, 0
	v_mov_b32_e32 v7, 0x7ff80000
	s_mov_b32 s0, exec_lo
.LBB25_161:                             ; =>This Inner Loop Header: Depth=1
	s_ff1_i32_b32 s4, s0
	v_max_f64 v[6:7], v[6:7], v[6:7]
	v_readlane_b32 s3, v2, s4
	v_readlane_b32 s2, v1, s4
	v_max_f64 v[8:9], s[2:3], s[2:3]
	s_lshl_b32 s2, 1, s4
	s_andn2_b32 s0, s0, s2
	s_cmp_lg_u32 s0, 0
	v_max_f64 v[6:7], v[6:7], v[8:9]
	s_cbranch_scc1 .LBB25_161
; %bb.162:
	v_mbcnt_lo_u32_b32 v0, exec_lo, 0
	s_mov_b32 s2, 0
	s_mov_b32 s3, exec_lo
	v_cmpx_eq_u32_e32 0, v0
	s_xor_b32 s3, exec_lo, s3
	s_cbranch_execz .LBB25_166
; %bb.163:
	v_mov_b32_e32 v8, 0
	v_max_f64 v[6:7], v[6:7], v[6:7]
	global_load_dwordx2 v[2:3], v8, s[28:29]
.LBB25_164:                             ; =>This Inner Loop Header: Depth=1
	s_waitcnt vmcnt(0)
	v_max_f64 v[0:1], v[2:3], v[2:3]
	v_max_f64 v[0:1], v[0:1], v[6:7]
	global_atomic_cmpswap_x2 v[0:1], v8, v[0:3], s[28:29] glc
	s_waitcnt vmcnt(0)
	v_cmp_eq_u64_e64 s0, v[0:1], v[2:3]
	v_mov_b32_e32 v3, v1
	v_mov_b32_e32 v2, v0
	s_or_b32 s2, s0, s2
	s_andn2_b32 exec_lo, exec_lo, s2
	s_cbranch_execnz .LBB25_164
; %bb.165:
	s_or_b32 exec_lo, exec_lo, s2
.LBB25_166:
	s_or_b32 exec_lo, exec_lo, s1
	s_and_b32 s0, vcc_lo, s33
	s_and_saveexec_b32 s1, s0
	s_cbranch_execz .LBB25_172
; %bb.167:
	v_mov_b32_e32 v0, 0
	v_mov_b32_e32 v1, 0x7ff80000
	s_mov_b32 s0, exec_lo
.LBB25_168:                             ; =>This Inner Loop Header: Depth=1
	s_ff1_i32_b32 s1, s0
	v_max_f64 v[0:1], v[0:1], v[0:1]
	v_readlane_b32 s3, v5, s1
	v_readlane_b32 s2, v4, s1
	s_lshl_b32 s1, 1, s1
	s_andn2_b32 s0, s0, s1
	v_max_f64 v[2:3], s[2:3], s[2:3]
	s_cmp_lg_u32 s0, 0
	v_max_f64 v[0:1], v[0:1], v[2:3]
	s_cbranch_scc1 .LBB25_168
; %bb.169:
	v_mbcnt_lo_u32_b32 v2, exec_lo, 0
	s_mov_b32 s0, 0
	s_mov_b32 s1, exec_lo
	v_cmpx_eq_u32_e32 0, v2
	s_xor_b32 s1, exec_lo, s1
	s_cbranch_execz .LBB25_172
; %bb.170:
	v_mov_b32_e32 v6, 0
	v_max_f64 v[4:5], v[0:1], v[0:1]
	global_load_dwordx2 v[2:3], v6, s[30:31]
.LBB25_171:                             ; =>This Inner Loop Header: Depth=1
	s_waitcnt vmcnt(0)
	v_max_f64 v[0:1], v[2:3], v[2:3]
	v_max_f64 v[0:1], v[0:1], v[4:5]
	global_atomic_cmpswap_x2 v[0:1], v6, v[0:3], s[30:31] glc
	s_waitcnt vmcnt(0)
	v_cmp_eq_u64_e32 vcc_lo, v[0:1], v[2:3]
	v_mov_b32_e32 v3, v1
	v_mov_b32_e32 v2, v0
	s_or_b32 s0, vcc_lo, s0
	s_andn2_b32 exec_lo, exec_lo, s0
	s_cbranch_execnz .LBB25_171
.LBB25_172:
	s_endpgm
	.section	.rodata,"a",@progbits
	.p2align	6, 0x0
	.amdhsa_kernel _ZN9rocsparseL6kernelILi1024ELi16EdiiEEvbbbT3_PS1_NS_15floating_traitsIT1_E6data_tES1_T2_PKS7_S9_PKS1_PKS4_21rocsparse_index_base_S9_S9_SB_PS4_SF_SE_S9_S9_SB_SF_SF_SE_SF_SF_PS6_SG_PKS6_
		.amdhsa_group_segment_fixed_size 768
		.amdhsa_private_segment_fixed_size 0
		.amdhsa_kernarg_size 208
		.amdhsa_user_sgpr_count 6
		.amdhsa_user_sgpr_private_segment_buffer 1
		.amdhsa_user_sgpr_dispatch_ptr 0
		.amdhsa_user_sgpr_queue_ptr 0
		.amdhsa_user_sgpr_kernarg_segment_ptr 1
		.amdhsa_user_sgpr_dispatch_id 0
		.amdhsa_user_sgpr_flat_scratch_init 0
		.amdhsa_user_sgpr_private_segment_size 0
		.amdhsa_wavefront_size32 1
		.amdhsa_uses_dynamic_stack 0
		.amdhsa_system_sgpr_private_segment_wavefront_offset 0
		.amdhsa_system_sgpr_workgroup_id_x 1
		.amdhsa_system_sgpr_workgroup_id_y 0
		.amdhsa_system_sgpr_workgroup_id_z 0
		.amdhsa_system_sgpr_workgroup_info 0
		.amdhsa_system_vgpr_workitem_id 0
		.amdhsa_next_free_vgpr 47
		.amdhsa_next_free_sgpr 82
		.amdhsa_reserve_vcc 1
		.amdhsa_reserve_flat_scratch 0
		.amdhsa_float_round_mode_32 0
		.amdhsa_float_round_mode_16_64 0
		.amdhsa_float_denorm_mode_32 3
		.amdhsa_float_denorm_mode_16_64 3
		.amdhsa_dx10_clamp 1
		.amdhsa_ieee_mode 1
		.amdhsa_fp16_overflow 0
		.amdhsa_workgroup_processor_mode 1
		.amdhsa_memory_ordered 1
		.amdhsa_forward_progress 1
		.amdhsa_shared_vgpr_count 0
		.amdhsa_exception_fp_ieee_invalid_op 0
		.amdhsa_exception_fp_denorm_src 0
		.amdhsa_exception_fp_ieee_div_zero 0
		.amdhsa_exception_fp_ieee_overflow 0
		.amdhsa_exception_fp_ieee_underflow 0
		.amdhsa_exception_fp_ieee_inexact 0
		.amdhsa_exception_int_div_zero 0
	.end_amdhsa_kernel
	.section	.text._ZN9rocsparseL6kernelILi1024ELi16EdiiEEvbbbT3_PS1_NS_15floating_traitsIT1_E6data_tES1_T2_PKS7_S9_PKS1_PKS4_21rocsparse_index_base_S9_S9_SB_PS4_SF_SE_S9_S9_SB_SF_SF_SE_SF_SF_PS6_SG_PKS6_,"axG",@progbits,_ZN9rocsparseL6kernelILi1024ELi16EdiiEEvbbbT3_PS1_NS_15floating_traitsIT1_E6data_tES1_T2_PKS7_S9_PKS1_PKS4_21rocsparse_index_base_S9_S9_SB_PS4_SF_SE_S9_S9_SB_SF_SF_SE_SF_SF_PS6_SG_PKS6_,comdat
.Lfunc_end25:
	.size	_ZN9rocsparseL6kernelILi1024ELi16EdiiEEvbbbT3_PS1_NS_15floating_traitsIT1_E6data_tES1_T2_PKS7_S9_PKS1_PKS4_21rocsparse_index_base_S9_S9_SB_PS4_SF_SE_S9_S9_SB_SF_SF_SE_SF_SF_PS6_SG_PKS6_, .Lfunc_end25-_ZN9rocsparseL6kernelILi1024ELi16EdiiEEvbbbT3_PS1_NS_15floating_traitsIT1_E6data_tES1_T2_PKS7_S9_PKS1_PKS4_21rocsparse_index_base_S9_S9_SB_PS4_SF_SE_S9_S9_SB_SF_SF_SE_SF_SF_PS6_SG_PKS6_
                                        ; -- End function
	.set _ZN9rocsparseL6kernelILi1024ELi16EdiiEEvbbbT3_PS1_NS_15floating_traitsIT1_E6data_tES1_T2_PKS7_S9_PKS1_PKS4_21rocsparse_index_base_S9_S9_SB_PS4_SF_SE_S9_S9_SB_SF_SF_SE_SF_SF_PS6_SG_PKS6_.num_vgpr, 47
	.set _ZN9rocsparseL6kernelILi1024ELi16EdiiEEvbbbT3_PS1_NS_15floating_traitsIT1_E6data_tES1_T2_PKS7_S9_PKS1_PKS4_21rocsparse_index_base_S9_S9_SB_PS4_SF_SE_S9_S9_SB_SF_SF_SE_SF_SF_PS6_SG_PKS6_.num_agpr, 0
	.set _ZN9rocsparseL6kernelILi1024ELi16EdiiEEvbbbT3_PS1_NS_15floating_traitsIT1_E6data_tES1_T2_PKS7_S9_PKS1_PKS4_21rocsparse_index_base_S9_S9_SB_PS4_SF_SE_S9_S9_SB_SF_SF_SE_SF_SF_PS6_SG_PKS6_.numbered_sgpr, 82
	.set _ZN9rocsparseL6kernelILi1024ELi16EdiiEEvbbbT3_PS1_NS_15floating_traitsIT1_E6data_tES1_T2_PKS7_S9_PKS1_PKS4_21rocsparse_index_base_S9_S9_SB_PS4_SF_SE_S9_S9_SB_SF_SF_SE_SF_SF_PS6_SG_PKS6_.num_named_barrier, 0
	.set _ZN9rocsparseL6kernelILi1024ELi16EdiiEEvbbbT3_PS1_NS_15floating_traitsIT1_E6data_tES1_T2_PKS7_S9_PKS1_PKS4_21rocsparse_index_base_S9_S9_SB_PS4_SF_SE_S9_S9_SB_SF_SF_SE_SF_SF_PS6_SG_PKS6_.private_seg_size, 0
	.set _ZN9rocsparseL6kernelILi1024ELi16EdiiEEvbbbT3_PS1_NS_15floating_traitsIT1_E6data_tES1_T2_PKS7_S9_PKS1_PKS4_21rocsparse_index_base_S9_S9_SB_PS4_SF_SE_S9_S9_SB_SF_SF_SE_SF_SF_PS6_SG_PKS6_.uses_vcc, 1
	.set _ZN9rocsparseL6kernelILi1024ELi16EdiiEEvbbbT3_PS1_NS_15floating_traitsIT1_E6data_tES1_T2_PKS7_S9_PKS1_PKS4_21rocsparse_index_base_S9_S9_SB_PS4_SF_SE_S9_S9_SB_SF_SF_SE_SF_SF_PS6_SG_PKS6_.uses_flat_scratch, 0
	.set _ZN9rocsparseL6kernelILi1024ELi16EdiiEEvbbbT3_PS1_NS_15floating_traitsIT1_E6data_tES1_T2_PKS7_S9_PKS1_PKS4_21rocsparse_index_base_S9_S9_SB_PS4_SF_SE_S9_S9_SB_SF_SF_SE_SF_SF_PS6_SG_PKS6_.has_dyn_sized_stack, 0
	.set _ZN9rocsparseL6kernelILi1024ELi16EdiiEEvbbbT3_PS1_NS_15floating_traitsIT1_E6data_tES1_T2_PKS7_S9_PKS1_PKS4_21rocsparse_index_base_S9_S9_SB_PS4_SF_SE_S9_S9_SB_SF_SF_SE_SF_SF_PS6_SG_PKS6_.has_recursion, 0
	.set _ZN9rocsparseL6kernelILi1024ELi16EdiiEEvbbbT3_PS1_NS_15floating_traitsIT1_E6data_tES1_T2_PKS7_S9_PKS1_PKS4_21rocsparse_index_base_S9_S9_SB_PS4_SF_SE_S9_S9_SB_SF_SF_SE_SF_SF_PS6_SG_PKS6_.has_indirect_call, 0
	.section	.AMDGPU.csdata,"",@progbits
; Kernel info:
; codeLenInByte = 6432
; TotalNumSgprs: 84
; NumVgprs: 47
; ScratchSize: 0
; MemoryBound: 1
; FloatMode: 240
; IeeeMode: 1
; LDSByteSize: 768 bytes/workgroup (compile time only)
; SGPRBlocks: 0
; VGPRBlocks: 5
; NumSGPRsForWavesPerEU: 84
; NumVGPRsForWavesPerEU: 47
; Occupancy: 16
; WaveLimiterHint : 1
; COMPUTE_PGM_RSRC2:SCRATCH_EN: 0
; COMPUTE_PGM_RSRC2:USER_SGPR: 6
; COMPUTE_PGM_RSRC2:TRAP_HANDLER: 0
; COMPUTE_PGM_RSRC2:TGID_X_EN: 1
; COMPUTE_PGM_RSRC2:TGID_Y_EN: 0
; COMPUTE_PGM_RSRC2:TGID_Z_EN: 0
; COMPUTE_PGM_RSRC2:TIDIG_COMP_CNT: 0
	.section	.text._ZN9rocsparseL6kernelILi1024ELi32EdiiEEvbbbT3_PS1_NS_15floating_traitsIT1_E6data_tES1_T2_PKS7_S9_PKS1_PKS4_21rocsparse_index_base_S9_S9_SB_PS4_SF_SE_S9_S9_SB_SF_SF_SE_SF_SF_PS6_SG_PKS6_,"axG",@progbits,_ZN9rocsparseL6kernelILi1024ELi32EdiiEEvbbbT3_PS1_NS_15floating_traitsIT1_E6data_tES1_T2_PKS7_S9_PKS1_PKS4_21rocsparse_index_base_S9_S9_SB_PS4_SF_SE_S9_S9_SB_SF_SF_SE_SF_SF_PS6_SG_PKS6_,comdat
	.globl	_ZN9rocsparseL6kernelILi1024ELi32EdiiEEvbbbT3_PS1_NS_15floating_traitsIT1_E6data_tES1_T2_PKS7_S9_PKS1_PKS4_21rocsparse_index_base_S9_S9_SB_PS4_SF_SE_S9_S9_SB_SF_SF_SE_SF_SF_PS6_SG_PKS6_ ; -- Begin function _ZN9rocsparseL6kernelILi1024ELi32EdiiEEvbbbT3_PS1_NS_15floating_traitsIT1_E6data_tES1_T2_PKS7_S9_PKS1_PKS4_21rocsparse_index_base_S9_S9_SB_PS4_SF_SE_S9_S9_SB_SF_SF_SE_SF_SF_PS6_SG_PKS6_
	.p2align	8
	.type	_ZN9rocsparseL6kernelILi1024ELi32EdiiEEvbbbT3_PS1_NS_15floating_traitsIT1_E6data_tES1_T2_PKS7_S9_PKS1_PKS4_21rocsparse_index_base_S9_S9_SB_PS4_SF_SE_S9_S9_SB_SF_SF_SE_SF_SF_PS6_SG_PKS6_,@function
_ZN9rocsparseL6kernelILi1024ELi32EdiiEEvbbbT3_PS1_NS_15floating_traitsIT1_E6data_tES1_T2_PKS7_S9_PKS1_PKS4_21rocsparse_index_base_S9_S9_SB_PS4_SF_SE_S9_S9_SB_SF_SF_SE_SF_SF_PS6_SG_PKS6_: ; @_ZN9rocsparseL6kernelILi1024ELi32EdiiEEvbbbT3_PS1_NS_15floating_traitsIT1_E6data_tES1_T2_PKS7_S9_PKS1_PKS4_21rocsparse_index_base_S9_S9_SB_PS4_SF_SE_S9_S9_SB_SF_SF_SE_SF_SF_PS6_SG_PKS6_
; %bb.0:
	s_clause 0x4
	s_load_dword s0, s[4:5], 0x0
	s_load_dwordx2 s[10:11], s[4:5], 0x0
	s_load_dword s56, s[4:5], 0x18
	s_load_dwordx4 s[44:47], s[4:5], 0x8
	s_load_dwordx4 s[28:31], s[4:5], 0xb8
	v_lshrrev_b32_e32 v26, 5, v0
	v_mov_b32_e32 v3, 0
	v_lshlrev_b32_e32 v29, 3, v0
	v_mov_b32_e32 v1, 0
	v_and_b32_e32 v27, 31, v0
	v_mov_b32_e32 v2, 0
	v_mov_b32_e32 v4, v3
	v_mbcnt_lo_u32_b32 v28, -1, 0
	s_mov_b32 s58, 0
	ds_write_b64 v29, v[3:4]
	v_mov_b32_e32 v4, 0
	v_mov_b32_e32 v5, 0
	s_waitcnt lgkmcnt(0)
	s_bitcmp1_b32 s0, 0
	s_barrier
	s_cselect_b32 s57, -1, 0
	s_bitcmp1_b32 s0, 8
	buffer_gl0_inv
	s_cselect_b32 s33, -1, 0
	s_bitcmp1_b32 s10, 16
	s_cselect_b32 s10, -1, 0
	s_lshl_b32 s63, s6, 10
	s_cmp_gt_i32 s11, 0
	v_or_b32_e32 v30, s63, v26
	s_cselect_b32 s0, -1, 0
	v_cmp_gt_i32_e32 vcc_lo, s56, v30
	s_and_b32 s0, s0, vcc_lo
	s_and_saveexec_b32 s59, s0
	s_cbranch_execnz .LBB26_3
; %bb.1:
	s_or_b32 exec_lo, exec_lo, s59
	s_andn2_b32 vcc_lo, exec_lo, s57
	s_cbranch_vccz .LBB26_138
.LBB26_2:
	v_cmp_eq_u32_e32 vcc_lo, 0, v0
	s_and_b32 s0, vcc_lo, s33
	s_and_saveexec_b32 s1, s0
	s_cbranch_execnz .LBB26_154
	s_branch .LBB26_160
.LBB26_3:
	s_clause 0x9
	s_load_dword s60, s[4:5], 0x40
	s_load_dword s61, s[4:5], 0x70
	;; [unrolled: 1-line block ×3, first 2 shown]
	s_load_dwordx2 s[34:35], s[4:5], 0x98
	s_load_dwordx2 s[52:53], s[4:5], 0x68
	;; [unrolled: 1-line block ×3, first 2 shown]
	s_load_dwordx4 s[48:51], s[4:5], 0xa8
	s_load_dwordx8 s[12:19], s[4:5], 0x78
	s_load_dwordx8 s[20:27], s[4:5], 0x48
	;; [unrolled: 1-line block ×3, first 2 shown]
	s_addk_i32 s63, 0x400
	v_mov_b32_e32 v1, 0
	v_mov_b32_e32 v4, 0
	v_cmp_eq_u32_e64 s0, 31, v27
	v_lshlrev_b32_e32 v31, 3, v26
	v_cmp_gt_u32_e64 s1, 16, v0
	v_cmp_gt_u32_e64 s2, 8, v0
	;; [unrolled: 1-line block ×4, first 2 shown]
	v_cmp_eq_u32_e64 s5, 0, v0
	v_cmp_gt_u32_e64 s6, s63, v30
	s_waitcnt lgkmcnt(0)
	v_subrev_nc_u32_e32 v32, s60, v27
	v_subrev_nc_u32_e32 v33, s61, v27
	v_subrev_nc_u32_e32 v34, s62, v27
	v_cmp_eq_u32_e64 s7, 0, v27
	v_mov_b32_e32 v2, 0
	v_mov_b32_e32 v5, 0
	;; [unrolled: 1-line block ×3, first 2 shown]
	s_and_b32 s8, s33, s10
	s_xor_b32 s64, s33, -1
	s_xor_b32 s65, s8, -1
	s_mov_b32 s66, 0
	s_branch .LBB26_5
.LBB26_4:                               ;   in Loop: Header=BB26_5 Depth=1
	s_or_b32 exec_lo, exec_lo, s8
	s_and_b32 s8, exec_lo, s9
	s_or_b32 s58, s8, s58
	s_andn2_b32 exec_lo, exec_lo, s58
	s_cbranch_execz .LBB26_137
.LBB26_5:                               ; =>This Loop Header: Depth=1
                                        ;     Child Loop BB26_9 Depth 2
                                        ;       Child Loop BB26_14 Depth 3
                                        ;         Child Loop BB26_18 Depth 4
                                        ;         Child Loop BB26_39 Depth 4
	;; [unrolled: 1-line block ×5, first 2 shown]
                                        ;     Child Loop BB26_116 Depth 2
                                        ;       Child Loop BB26_119 Depth 3
                                        ;       Child Loop BB26_122 Depth 3
	v_cndmask_b32_e64 v2, v2, 0, s33
	v_cndmask_b32_e64 v1, v1, 0, s33
	v_cndmask_b32_e64 v5, v5, 0, s10
	v_cndmask_b32_e64 v4, v4, 0, s10
	s_mov_b32 s67, 0
	s_branch .LBB26_9
.LBB26_6:                               ;   in Loop: Header=BB26_9 Depth=2
	s_or_b32 exec_lo, exec_lo, s70
.LBB26_7:                               ;   in Loop: Header=BB26_9 Depth=2
	s_or_b32 exec_lo, exec_lo, s69
.LBB26_8:                               ;   in Loop: Header=BB26_9 Depth=2
	s_or_b32 exec_lo, exec_lo, s68
	s_add_i32 s67, s67, 1
	s_cmp_eq_u32 s67, 32
	s_cbranch_scc1 .LBB26_85
.LBB26_9:                               ;   Parent Loop BB26_5 Depth=1
                                        ; =>  This Loop Header: Depth=2
                                        ;       Child Loop BB26_14 Depth 3
                                        ;         Child Loop BB26_18 Depth 4
                                        ;         Child Loop BB26_39 Depth 4
                                        ;         Child Loop BB26_53 Depth 4
                                        ;         Child Loop BB26_72 Depth 4
                                        ;         Child Loop BB26_80 Depth 4
	v_lshl_add_u32 v8, s67, 5, v30
	s_mov_b32 s68, exec_lo
	v_cmpx_gt_i32_e64 s56, v8
	s_cbranch_execz .LBB26_8
; %bb.10:                               ;   in Loop: Header=BB26_9 Depth=2
	v_ashrrev_i32_e32 v9, 31, v8
	s_mov_b32 s69, exec_lo
	v_lshlrev_b64 v[10:11], 2, v[8:9]
	v_add_co_u32 v12, vcc_lo, s36, v10
	v_add_co_ci_u32_e64 v13, null, s37, v11, vcc_lo
	v_add_co_u32 v14, vcc_lo, s38, v10
	v_add_co_ci_u32_e64 v15, null, s39, v11, vcc_lo
	global_load_dword v3, v[12:13], off
	global_load_dword v6, v[14:15], off
	s_waitcnt vmcnt(1)
	v_add_nc_u32_e32 v9, v32, v3
	s_waitcnt vmcnt(0)
	v_subrev_nc_u32_e32 v3, s60, v6
	v_cmpx_lt_i32_e64 v9, v3
	s_cbranch_execz .LBB26_7
; %bb.11:                               ;   in Loop: Header=BB26_9 Depth=2
	v_add_co_u32 v12, vcc_lo, s20, v10
	v_add_co_ci_u32_e64 v13, null, s21, v11, vcc_lo
	v_add_co_u32 v10, vcc_lo, s22, v10
	v_add_co_ci_u32_e64 v11, null, s23, v11, vcc_lo
	global_load_dword v6, v[12:13], off
	s_mov_b32 s70, 0
	global_load_dword v10, v[10:11], off
	s_waitcnt vmcnt(1)
	v_subrev_nc_u32_e32 v11, s61, v6
	s_waitcnt vmcnt(0)
	v_sub_nc_u32_e32 v35, v10, v6
	v_ashrrev_i32_e32 v12, 31, v11
	v_cmp_lt_i32_e64 s8, 0, v35
	v_lshlrev_b64 v[13:14], 2, v[11:12]
	v_lshlrev_b64 v[15:16], 3, v[11:12]
	v_add_co_u32 v36, vcc_lo, s24, v13
	v_add_co_ci_u32_e64 v37, null, s25, v14, vcc_lo
	v_add_co_u32 v38, vcc_lo, s26, v15
	v_add_co_ci_u32_e64 v39, null, s27, v16, vcc_lo
	s_branch .LBB26_14
.LBB26_12:                              ;   in Loop: Header=BB26_14 Depth=3
	s_or_b32 exec_lo, exec_lo, s71
.LBB26_13:                              ;   in Loop: Header=BB26_14 Depth=3
	s_or_b32 exec_lo, exec_lo, s9
	v_add_nc_u32_e32 v9, 32, v9
	v_cmp_ge_i32_e32 vcc_lo, v9, v3
	s_or_b32 s70, vcc_lo, s70
	s_andn2_b32 exec_lo, exec_lo, s70
	s_cbranch_execz .LBB26_6
.LBB26_14:                              ;   Parent Loop BB26_5 Depth=1
                                        ;     Parent Loop BB26_9 Depth=2
                                        ; =>    This Loop Header: Depth=3
                                        ;         Child Loop BB26_18 Depth 4
                                        ;         Child Loop BB26_39 Depth 4
	;; [unrolled: 1-line block ×5, first 2 shown]
	v_ashrrev_i32_e32 v10, 31, v9
	v_mov_b32_e32 v19, 0
	v_lshlrev_b64 v[12:13], 2, v[9:10]
	v_add_co_u32 v12, vcc_lo, s40, v12
	v_add_co_ci_u32_e64 v13, null, s41, v13, vcc_lo
	global_load_dword v6, v[12:13], off
	s_waitcnt vmcnt(0)
	v_subrev_nc_u32_e32 v12, s60, v6
	v_ashrrev_i32_e32 v13, 31, v12
	v_lshlrev_b64 v[14:15], 2, v[12:13]
	v_add_co_u32 v16, vcc_lo, s12, v14
	v_add_co_ci_u32_e64 v17, null, s13, v15, vcc_lo
	v_add_co_u32 v14, vcc_lo, s14, v14
	v_add_co_ci_u32_e64 v15, null, s15, v15, vcc_lo
	global_load_dword v6, v[16:17], off
	global_load_dword v16, v[14:15], off
	v_mov_b32_e32 v14, 0
	v_mov_b32_e32 v15, 0
	s_waitcnt vmcnt(1)
	v_subrev_nc_u32_e32 v18, s62, v6
	s_waitcnt vmcnt(0)
	v_sub_nc_u32_e32 v40, v16, v6
	v_mov_b32_e32 v6, v19
	s_and_saveexec_b32 s71, s8
	s_cbranch_execz .LBB26_22
; %bb.15:                               ;   in Loop: Header=BB26_14 Depth=3
	v_ashrrev_i32_e32 v19, 31, v18
	v_mov_b32_e32 v14, 0
	v_mov_b32_e32 v15, 0
	;; [unrolled: 1-line block ×3, first 2 shown]
	s_mov_b32 s72, 0
	v_lshlrev_b64 v[16:17], 2, v[18:19]
	v_lshlrev_b64 v[19:20], 3, v[18:19]
                                        ; implicit-def: $sgpr73
	v_add_co_u32 v16, vcc_lo, s16, v16
	v_add_co_ci_u32_e64 v17, null, s17, v17, vcc_lo
	v_add_co_u32 v21, vcc_lo, s18, v19
	v_add_co_ci_u32_e64 v22, null, s19, v20, vcc_lo
	v_mov_b32_e32 v19, 0
	s_branch .LBB26_18
.LBB26_16:                              ;   in Loop: Header=BB26_18 Depth=4
	s_or_b32 exec_lo, exec_lo, s9
	v_cmp_le_i32_e32 vcc_lo, v23, v24
	v_cmp_ge_i32_e64 s9, v23, v24
	v_add_co_ci_u32_e64 v6, null, 0, v6, vcc_lo
	v_add_co_ci_u32_e64 v19, null, 0, v19, s9
	s_andn2_b32 s9, s73, exec_lo
	v_cmp_ge_i32_e32 vcc_lo, v6, v35
	s_and_b32 s73, vcc_lo, exec_lo
	s_or_b32 s73, s9, s73
.LBB26_17:                              ;   in Loop: Header=BB26_18 Depth=4
	s_or_b32 exec_lo, exec_lo, s74
	s_and_b32 s9, exec_lo, s73
	s_or_b32 s72, s9, s72
	s_andn2_b32 exec_lo, exec_lo, s72
	s_cbranch_execz .LBB26_21
.LBB26_18:                              ;   Parent Loop BB26_5 Depth=1
                                        ;     Parent Loop BB26_9 Depth=2
                                        ;       Parent Loop BB26_14 Depth=3
                                        ; =>      This Inner Loop Header: Depth=4
	s_or_b32 s73, s73, exec_lo
	s_mov_b32 s74, exec_lo
	v_cmpx_lt_i32_e64 v19, v40
	s_cbranch_execz .LBB26_17
; %bb.19:                               ;   in Loop: Header=BB26_18 Depth=4
	v_mov_b32_e32 v20, v7
	v_lshlrev_b64 v[23:24], 2, v[6:7]
	s_mov_b32 s9, exec_lo
	v_lshlrev_b64 v[41:42], 2, v[19:20]
	v_add_co_u32 v23, vcc_lo, v36, v23
	v_add_co_ci_u32_e64 v24, null, v37, v24, vcc_lo
	v_add_co_u32 v41, vcc_lo, v16, v41
	v_add_co_ci_u32_e64 v42, null, v17, v42, vcc_lo
	global_load_dword v23, v[23:24], off
	global_load_dword v24, v[41:42], off
	s_waitcnt vmcnt(1)
	v_subrev_nc_u32_e32 v23, s61, v23
	s_waitcnt vmcnt(0)
	v_subrev_nc_u32_e32 v24, s62, v24
	v_cmpx_eq_u32_e64 v23, v24
	s_cbranch_execz .LBB26_16
; %bb.20:                               ;   in Loop: Header=BB26_18 Depth=4
	v_lshlrev_b64 v[41:42], 3, v[6:7]
	v_lshlrev_b64 v[43:44], 3, v[19:20]
	v_add_co_u32 v41, vcc_lo, v38, v41
	v_add_co_ci_u32_e64 v42, null, v39, v42, vcc_lo
	v_add_co_u32 v43, vcc_lo, v21, v43
	v_add_co_ci_u32_e64 v44, null, v22, v44, vcc_lo
	global_load_dwordx2 v[41:42], v[41:42], off
	global_load_dwordx2 v[43:44], v[43:44], off
	s_waitcnt vmcnt(0)
	v_fma_f64 v[14:15], v[41:42], v[43:44], v[14:15]
	s_branch .LBB26_16
.LBB26_21:                              ;   in Loop: Header=BB26_14 Depth=3
	s_or_b32 exec_lo, exec_lo, s72
.LBB26_22:                              ;   in Loop: Header=BB26_14 Depth=3
	s_or_b32 exec_lo, exec_lo, s71
	v_lshlrev_b64 v[16:17], 3, v[9:10]
	v_cmp_le_i32_e64 s9, v8, v12
	s_mov_b32 s71, exec_lo
	v_add_co_u32 v16, vcc_lo, s42, v16
	v_add_co_ci_u32_e64 v17, null, s43, v17, vcc_lo
	global_load_dwordx2 v[16:17], v[16:17], off
	s_waitcnt vmcnt(0)
	v_add_f64 v[20:21], v[16:17], -v[14:15]
	v_cmpx_gt_i32_e64 v8, v12
	s_cbranch_execnz .LBB26_25
; %bb.23:                               ;   in Loop: Header=BB26_14 Depth=3
	s_or_b32 exec_lo, exec_lo, s71
	v_cmp_class_f64_e64 s71, v[20:21], 0x1f8
	s_and_saveexec_b32 s72, s71
	s_cbranch_execnz .LBB26_28
.LBB26_24:                              ;   in Loop: Header=BB26_14 Depth=3
	s_or_b32 exec_lo, exec_lo, s72
	s_and_b32 s71, s10, s71
	s_and_saveexec_b32 s9, s71
	s_cbranch_execz .LBB26_13
	s_branch .LBB26_63
.LBB26_25:                              ;   in Loop: Header=BB26_14 Depth=3
	v_lshlrev_b64 v[22:23], 3, v[12:13]
	v_mov_b32_e32 v24, 0
	v_mov_b32_e32 v25, 0
	s_mov_b32 s72, exec_lo
	v_add_co_u32 v22, vcc_lo, s48, v22
	v_add_co_ci_u32_e64 v23, null, s49, v23, vcc_lo
	global_load_dwordx2 v[22:23], v[22:23], off
	s_waitcnt vmcnt(0)
	v_cmpx_lg_f64_e32 0, v[22:23]
	s_cbranch_execz .LBB26_27
; %bb.26:                               ;   in Loop: Header=BB26_14 Depth=3
	v_div_scale_f64 v[24:25], null, v[22:23], v[22:23], v[20:21]
	v_rcp_f64_e32 v[41:42], v[24:25]
	v_fma_f64 v[43:44], -v[24:25], v[41:42], 1.0
	v_fma_f64 v[41:42], v[41:42], v[43:44], v[41:42]
	v_fma_f64 v[43:44], -v[24:25], v[41:42], 1.0
	v_fma_f64 v[41:42], v[41:42], v[43:44], v[41:42]
	v_div_scale_f64 v[43:44], vcc_lo, v[20:21], v[22:23], v[20:21]
	v_mul_f64 v[45:46], v[43:44], v[41:42]
	v_fma_f64 v[24:25], -v[24:25], v[45:46], v[43:44]
	v_div_fmas_f64 v[24:25], v[24:25], v[41:42], v[45:46]
	v_div_fixup_f64 v[24:25], v[24:25], v[22:23], v[20:21]
.LBB26_27:                              ;   in Loop: Header=BB26_14 Depth=3
	s_or_b32 exec_lo, exec_lo, s72
	v_mov_b32_e32 v20, v24
	v_mov_b32_e32 v21, v25
	s_or_b32 exec_lo, exec_lo, s71
	v_cmp_class_f64_e64 s71, v[20:21], 0x1f8
	s_and_saveexec_b32 s72, s71
	s_cbranch_execz .LBB26_24
.LBB26_28:                              ;   in Loop: Header=BB26_14 Depth=3
	s_and_saveexec_b32 s73, s9
	s_xor_b32 s9, exec_lo, s73
	s_cbranch_execz .LBB26_49
; %bb.29:                               ;   in Loop: Header=BB26_14 Depth=3
	s_mov_b32 s73, exec_lo
	v_cmpx_ge_i32_e64 v8, v12
	s_xor_b32 s73, exec_lo, s73
	s_cbranch_execz .LBB26_35
; %bb.30:                               ;   in Loop: Header=BB26_14 Depth=3
	v_lshlrev_b64 v[22:23], 3, v[12:13]
	v_add_co_u32 v24, vcc_lo, s50, v22
	v_add_co_ci_u32_e64 v25, null, s51, v23, vcc_lo
	s_andn2_b32 vcc_lo, exec_lo, s33
	global_store_dwordx2 v[24:25], v[20:21], off
	s_cbranch_vccnz .LBB26_34
; %bb.31:                               ;   in Loop: Header=BB26_14 Depth=3
	v_add_co_u32 v22, vcc_lo, s48, v22
	v_add_co_ci_u32_e64 v23, null, s49, v23, vcc_lo
	global_load_dwordx2 v[22:23], v[22:23], off
	s_waitcnt vmcnt(0)
	v_add_f64 v[20:21], v[22:23], -v[20:21]
	v_cmp_class_f64_e64 s75, v[20:21], 0x1f8
	s_and_saveexec_b32 s74, s75
	s_cbranch_execz .LBB26_33
; %bb.32:                               ;   in Loop: Header=BB26_14 Depth=3
	v_cmp_lt_f64_e64 vcc_lo, v[1:2], |v[20:21]|
	v_and_b32_e32 v10, 0x7fffffff, v21
	v_cndmask_b32_e32 v2, v2, v10, vcc_lo
	v_cndmask_b32_e32 v1, v1, v20, vcc_lo
.LBB26_33:                              ;   in Loop: Header=BB26_14 Depth=3
	s_or_b32 exec_lo, exec_lo, s74
.LBB26_34:                              ;   in Loop: Header=BB26_14 Depth=3
                                        ; implicit-def: $vgpr20_vgpr21
.LBB26_35:                              ;   in Loop: Header=BB26_14 Depth=3
	s_andn2_saveexec_b32 s73, s73
	s_cbranch_execz .LBB26_48
; %bb.36:                               ;   in Loop: Header=BB26_14 Depth=3
	s_mov_b32 s74, exec_lo
	v_cmpx_lt_i32_e64 v19, v40
	s_cbranch_execz .LBB26_47
; %bb.37:                               ;   in Loop: Header=BB26_14 Depth=3
	v_mov_b32_e32 v10, v19
	s_mov_b32 s75, 0
                                        ; implicit-def: $sgpr76
                                        ; implicit-def: $sgpr78
                                        ; implicit-def: $sgpr77
	s_inst_prefetch 0x1
	s_branch .LBB26_39
	.p2align	6
.LBB26_38:                              ;   in Loop: Header=BB26_39 Depth=4
	s_or_b32 exec_lo, exec_lo, s79
	s_and_b32 s79, exec_lo, s78
	s_or_b32 s75, s79, s75
	s_andn2_b32 s76, s76, exec_lo
	s_and_b32 s79, s77, exec_lo
	s_or_b32 s76, s76, s79
	s_andn2_b32 exec_lo, exec_lo, s75
	s_cbranch_execz .LBB26_41
.LBB26_39:                              ;   Parent Loop BB26_5 Depth=1
                                        ;     Parent Loop BB26_9 Depth=2
                                        ;       Parent Loop BB26_14 Depth=3
                                        ; =>      This Inner Loop Header: Depth=4
	v_add_nc_u32_e32 v22, v18, v10
	s_or_b32 s77, s77, exec_lo
	s_or_b32 s78, s78, exec_lo
	s_mov_b32 s79, exec_lo
	v_ashrrev_i32_e32 v23, 31, v22
	v_lshlrev_b64 v[24:25], 2, v[22:23]
	v_add_co_u32 v24, vcc_lo, s16, v24
	v_add_co_ci_u32_e64 v25, null, s17, v25, vcc_lo
	global_load_dword v24, v[24:25], off
	s_waitcnt vmcnt(0)
	v_subrev_nc_u32_e32 v24, s62, v24
	v_cmpx_ne_u32_e64 v24, v8
	s_cbranch_execz .LBB26_38
; %bb.40:                               ;   in Loop: Header=BB26_39 Depth=4
	v_add_nc_u32_e32 v10, 1, v10
	s_andn2_b32 s78, s78, exec_lo
	s_andn2_b32 s77, s77, exec_lo
	v_cmp_ge_i32_e32 vcc_lo, v10, v40
	s_and_b32 s80, vcc_lo, exec_lo
	s_or_b32 s78, s78, s80
	s_branch .LBB26_38
.LBB26_41:                              ;   in Loop: Header=BB26_14 Depth=3
	s_inst_prefetch 0x2
	s_or_b32 exec_lo, exec_lo, s75
	s_and_saveexec_b32 s75, s76
	s_xor_b32 s75, exec_lo, s75
	s_cbranch_execz .LBB26_46
; %bb.42:                               ;   in Loop: Header=BB26_14 Depth=3
	v_lshlrev_b64 v[22:23], 3, v[22:23]
	v_add_co_u32 v24, vcc_lo, s34, v22
	v_add_co_ci_u32_e64 v25, null, s35, v23, vcc_lo
	s_andn2_b32 vcc_lo, exec_lo, s33
	global_store_dwordx2 v[24:25], v[20:21], off
	s_cbranch_vccnz .LBB26_46
; %bb.43:                               ;   in Loop: Header=BB26_14 Depth=3
	v_add_co_u32 v22, vcc_lo, s18, v22
	v_add_co_ci_u32_e64 v23, null, s19, v23, vcc_lo
	global_load_dwordx2 v[22:23], v[22:23], off
	s_waitcnt vmcnt(0)
	v_add_f64 v[20:21], v[22:23], -v[20:21]
	v_cmp_class_f64_e64 s77, v[20:21], 0x1f8
	s_and_saveexec_b32 s76, s77
	s_cbranch_execz .LBB26_45
; %bb.44:                               ;   in Loop: Header=BB26_14 Depth=3
	v_cmp_lt_f64_e64 vcc_lo, v[1:2], |v[20:21]|
	v_and_b32_e32 v10, 0x7fffffff, v21
	v_cndmask_b32_e32 v2, v2, v10, vcc_lo
	v_cndmask_b32_e32 v1, v1, v20, vcc_lo
.LBB26_45:                              ;   in Loop: Header=BB26_14 Depth=3
	s_or_b32 exec_lo, exec_lo, s76
.LBB26_46:                              ;   in Loop: Header=BB26_14 Depth=3
	s_or_b32 exec_lo, exec_lo, s75
.LBB26_47:                              ;   in Loop: Header=BB26_14 Depth=3
	s_or_b32 exec_lo, exec_lo, s74
.LBB26_48:                              ;   in Loop: Header=BB26_14 Depth=3
	s_or_b32 exec_lo, exec_lo, s73
                                        ; implicit-def: $vgpr20_vgpr21
.LBB26_49:                              ;   in Loop: Header=BB26_14 Depth=3
	s_andn2_saveexec_b32 s9, s9
	s_cbranch_execz .LBB26_62
; %bb.50:                               ;   in Loop: Header=BB26_14 Depth=3
	s_mov_b32 s73, exec_lo
	v_cmpx_lt_i32_e64 v6, v35
	s_cbranch_execz .LBB26_61
; %bb.51:                               ;   in Loop: Header=BB26_14 Depth=3
	v_mov_b32_e32 v10, v6
	s_mov_b32 s74, 0
                                        ; implicit-def: $sgpr75
                                        ; implicit-def: $sgpr77
                                        ; implicit-def: $sgpr76
	s_inst_prefetch 0x1
	s_branch .LBB26_53
	.p2align	6
.LBB26_52:                              ;   in Loop: Header=BB26_53 Depth=4
	s_or_b32 exec_lo, exec_lo, s78
	s_and_b32 s78, exec_lo, s77
	s_or_b32 s74, s78, s74
	s_andn2_b32 s75, s75, exec_lo
	s_and_b32 s78, s76, exec_lo
	s_or_b32 s75, s75, s78
	s_andn2_b32 exec_lo, exec_lo, s74
	s_cbranch_execz .LBB26_55
.LBB26_53:                              ;   Parent Loop BB26_5 Depth=1
                                        ;     Parent Loop BB26_9 Depth=2
                                        ;       Parent Loop BB26_14 Depth=3
                                        ; =>      This Inner Loop Header: Depth=4
	v_add_nc_u32_e32 v22, v11, v10
	s_or_b32 s76, s76, exec_lo
	s_or_b32 s77, s77, exec_lo
	s_mov_b32 s78, exec_lo
	v_ashrrev_i32_e32 v23, 31, v22
	v_lshlrev_b64 v[24:25], 2, v[22:23]
	v_add_co_u32 v24, vcc_lo, s24, v24
	v_add_co_ci_u32_e64 v25, null, s25, v25, vcc_lo
	global_load_dword v24, v[24:25], off
	s_waitcnt vmcnt(0)
	v_subrev_nc_u32_e32 v24, s61, v24
	v_cmpx_ne_u32_e64 v24, v12
	s_cbranch_execz .LBB26_52
; %bb.54:                               ;   in Loop: Header=BB26_53 Depth=4
	v_add_nc_u32_e32 v10, 1, v10
	s_andn2_b32 s77, s77, exec_lo
	s_andn2_b32 s76, s76, exec_lo
	v_cmp_ge_i32_e32 vcc_lo, v10, v35
	s_and_b32 s79, vcc_lo, exec_lo
	s_or_b32 s77, s77, s79
	s_branch .LBB26_52
.LBB26_55:                              ;   in Loop: Header=BB26_14 Depth=3
	s_inst_prefetch 0x2
	s_or_b32 exec_lo, exec_lo, s74
	s_and_saveexec_b32 s74, s75
	s_xor_b32 s74, exec_lo, s74
	s_cbranch_execz .LBB26_60
; %bb.56:                               ;   in Loop: Header=BB26_14 Depth=3
	v_lshlrev_b64 v[22:23], 3, v[22:23]
	v_add_co_u32 v24, vcc_lo, s52, v22
	v_add_co_ci_u32_e64 v25, null, s53, v23, vcc_lo
	s_andn2_b32 vcc_lo, exec_lo, s33
	global_store_dwordx2 v[24:25], v[20:21], off
	s_cbranch_vccnz .LBB26_60
; %bb.57:                               ;   in Loop: Header=BB26_14 Depth=3
	v_add_co_u32 v22, vcc_lo, s26, v22
	v_add_co_ci_u32_e64 v23, null, s27, v23, vcc_lo
	global_load_dwordx2 v[22:23], v[22:23], off
	s_waitcnt vmcnt(0)
	v_add_f64 v[20:21], v[22:23], -v[20:21]
	v_cmp_class_f64_e64 s76, v[20:21], 0x1f8
	s_and_saveexec_b32 s75, s76
	s_cbranch_execz .LBB26_59
; %bb.58:                               ;   in Loop: Header=BB26_14 Depth=3
	v_cmp_lt_f64_e64 vcc_lo, v[1:2], |v[20:21]|
	v_and_b32_e32 v10, 0x7fffffff, v21
	v_cndmask_b32_e32 v2, v2, v10, vcc_lo
	v_cndmask_b32_e32 v1, v1, v20, vcc_lo
.LBB26_59:                              ;   in Loop: Header=BB26_14 Depth=3
	s_or_b32 exec_lo, exec_lo, s75
.LBB26_60:                              ;   in Loop: Header=BB26_14 Depth=3
	s_or_b32 exec_lo, exec_lo, s74
.LBB26_61:                              ;   in Loop: Header=BB26_14 Depth=3
	s_or_b32 exec_lo, exec_lo, s73
.LBB26_62:                              ;   in Loop: Header=BB26_14 Depth=3
	s_or_b32 exec_lo, exec_lo, s9
	s_or_b32 exec_lo, exec_lo, s72
	s_and_b32 s71, s10, s71
	s_and_saveexec_b32 s9, s71
	s_cbranch_execz .LBB26_13
.LBB26_63:                              ;   in Loop: Header=BB26_14 Depth=3
	s_mov_b32 s71, exec_lo
	v_cmpx_ge_i32_e64 v19, v40
	s_xor_b32 s71, exec_lo, s71
	s_cbranch_execnz .LBB26_69
; %bb.64:                               ;   in Loop: Header=BB26_14 Depth=3
	s_andn2_saveexec_b32 s71, s71
	s_cbranch_execnz .LBB26_78
.LBB26_65:                              ;   in Loop: Header=BB26_14 Depth=3
	s_or_b32 exec_lo, exec_lo, s71
	s_mov_b32 s71, exec_lo
	v_cmpx_eq_u32_e64 v8, v12
	s_cbranch_execz .LBB26_67
.LBB26_66:                              ;   in Loop: Header=BB26_14 Depth=3
	v_lshlrev_b64 v[12:13], 3, v[12:13]
	v_add_co_u32 v12, vcc_lo, s48, v12
	v_add_co_ci_u32_e64 v13, null, s49, v13, vcc_lo
	global_load_dwordx2 v[12:13], v[12:13], off
	s_waitcnt vmcnt(0)
	v_add_f64 v[14:15], v[14:15], v[12:13]
.LBB26_67:                              ;   in Loop: Header=BB26_14 Depth=3
	s_or_b32 exec_lo, exec_lo, s71
	v_add_f64 v[12:13], v[16:17], -v[14:15]
	v_cmp_class_f64_e64 s72, v[12:13], 0x1f8
	s_and_saveexec_b32 s71, s72
	s_cbranch_execz .LBB26_12
; %bb.68:                               ;   in Loop: Header=BB26_14 Depth=3
	v_cmp_lt_f64_e64 vcc_lo, v[4:5], |v[12:13]|
	v_and_b32_e32 v6, 0x7fffffff, v13
	v_cndmask_b32_e32 v5, v5, v6, vcc_lo
	v_cndmask_b32_e32 v4, v4, v12, vcc_lo
	s_branch .LBB26_12
.LBB26_69:                              ;   in Loop: Header=BB26_14 Depth=3
	s_mov_b32 s72, exec_lo
	v_cmpx_lt_i32_e64 v6, v35
	s_cbranch_execz .LBB26_77
; %bb.70:                               ;   in Loop: Header=BB26_14 Depth=3
	s_mov_b32 s73, 0
                                        ; implicit-def: $sgpr74
                                        ; implicit-def: $sgpr76
                                        ; implicit-def: $sgpr75
	s_inst_prefetch 0x1
	s_branch .LBB26_72
	.p2align	6
.LBB26_71:                              ;   in Loop: Header=BB26_72 Depth=4
	s_or_b32 exec_lo, exec_lo, s77
	s_and_b32 s77, exec_lo, s76
	s_or_b32 s73, s77, s73
	s_andn2_b32 s74, s74, exec_lo
	s_and_b32 s77, s75, exec_lo
	s_or_b32 s74, s74, s77
	s_andn2_b32 exec_lo, exec_lo, s73
	s_cbranch_execz .LBB26_74
.LBB26_72:                              ;   Parent Loop BB26_5 Depth=1
                                        ;     Parent Loop BB26_9 Depth=2
                                        ;       Parent Loop BB26_14 Depth=3
                                        ; =>      This Inner Loop Header: Depth=4
	v_add_nc_u32_e32 v18, v11, v6
	s_or_b32 s75, s75, exec_lo
	s_or_b32 s76, s76, exec_lo
	s_mov_b32 s77, exec_lo
	v_ashrrev_i32_e32 v19, 31, v18
	v_lshlrev_b64 v[20:21], 2, v[18:19]
	v_add_co_u32 v20, vcc_lo, s24, v20
	v_add_co_ci_u32_e64 v21, null, s25, v21, vcc_lo
	global_load_dword v10, v[20:21], off
	s_waitcnt vmcnt(0)
	v_subrev_nc_u32_e32 v10, s61, v10
	v_cmpx_ne_u32_e64 v10, v12
	s_cbranch_execz .LBB26_71
; %bb.73:                               ;   in Loop: Header=BB26_72 Depth=4
	v_add_nc_u32_e32 v6, 1, v6
	s_andn2_b32 s76, s76, exec_lo
	s_andn2_b32 s75, s75, exec_lo
	v_cmp_ge_i32_e32 vcc_lo, v6, v35
	s_and_b32 s78, vcc_lo, exec_lo
	s_or_b32 s76, s76, s78
	s_branch .LBB26_71
.LBB26_74:                              ;   in Loop: Header=BB26_14 Depth=3
	s_inst_prefetch 0x2
	s_or_b32 exec_lo, exec_lo, s73
	s_and_saveexec_b32 s73, s74
	s_xor_b32 s73, exec_lo, s73
	s_cbranch_execz .LBB26_76
; %bb.75:                               ;   in Loop: Header=BB26_14 Depth=3
	v_lshlrev_b64 v[18:19], 3, v[18:19]
	v_lshlrev_b64 v[20:21], 3, v[12:13]
	v_add_co_u32 v18, vcc_lo, s26, v18
	v_add_co_ci_u32_e64 v19, null, s27, v19, vcc_lo
	v_add_co_u32 v20, vcc_lo, s48, v20
	v_add_co_ci_u32_e64 v21, null, s49, v21, vcc_lo
	global_load_dwordx2 v[18:19], v[18:19], off
	global_load_dwordx2 v[20:21], v[20:21], off
	s_waitcnt vmcnt(0)
	v_fma_f64 v[14:15], v[18:19], v[20:21], v[14:15]
.LBB26_76:                              ;   in Loop: Header=BB26_14 Depth=3
	s_or_b32 exec_lo, exec_lo, s73
.LBB26_77:                              ;   in Loop: Header=BB26_14 Depth=3
	s_or_b32 exec_lo, exec_lo, s72
                                        ; implicit-def: $vgpr19
                                        ; implicit-def: $vgpr18
                                        ; implicit-def: $vgpr40
	s_andn2_saveexec_b32 s71, s71
	s_cbranch_execz .LBB26_65
.LBB26_78:                              ;   in Loop: Header=BB26_14 Depth=3
	s_mov_b32 s72, 0
                                        ; implicit-def: $sgpr73
                                        ; implicit-def: $sgpr75
                                        ; implicit-def: $sgpr74
	s_inst_prefetch 0x1
	s_branch .LBB26_80
	.p2align	6
.LBB26_79:                              ;   in Loop: Header=BB26_80 Depth=4
	s_or_b32 exec_lo, exec_lo, s76
	s_and_b32 s76, exec_lo, s75
	s_or_b32 s72, s76, s72
	s_andn2_b32 s73, s73, exec_lo
	s_and_b32 s76, s74, exec_lo
	s_or_b32 s73, s73, s76
	s_andn2_b32 exec_lo, exec_lo, s72
	s_cbranch_execz .LBB26_82
.LBB26_80:                              ;   Parent Loop BB26_5 Depth=1
                                        ;     Parent Loop BB26_9 Depth=2
                                        ;       Parent Loop BB26_14 Depth=3
                                        ; =>      This Inner Loop Header: Depth=4
	v_add_nc_u32_e32 v20, v18, v19
	s_or_b32 s74, s74, exec_lo
	s_or_b32 s75, s75, exec_lo
	s_mov_b32 s76, exec_lo
	v_ashrrev_i32_e32 v21, 31, v20
	v_lshlrev_b64 v[22:23], 2, v[20:21]
	v_add_co_u32 v22, vcc_lo, s16, v22
	v_add_co_ci_u32_e64 v23, null, s17, v23, vcc_lo
	global_load_dword v6, v[22:23], off
	s_waitcnt vmcnt(0)
	v_subrev_nc_u32_e32 v6, s62, v6
	v_cmpx_ne_u32_e64 v6, v8
	s_cbranch_execz .LBB26_79
; %bb.81:                               ;   in Loop: Header=BB26_80 Depth=4
	v_add_nc_u32_e32 v19, 1, v19
	s_andn2_b32 s75, s75, exec_lo
	s_andn2_b32 s74, s74, exec_lo
	v_cmp_ge_i32_e32 vcc_lo, v19, v40
	s_and_b32 s77, vcc_lo, exec_lo
	s_or_b32 s75, s75, s77
	s_branch .LBB26_79
.LBB26_82:                              ;   in Loop: Header=BB26_14 Depth=3
	s_inst_prefetch 0x2
	s_or_b32 exec_lo, exec_lo, s72
	s_and_saveexec_b32 s72, s73
	s_xor_b32 s72, exec_lo, s72
	s_cbranch_execz .LBB26_84
; %bb.83:                               ;   in Loop: Header=BB26_14 Depth=3
	v_lshlrev_b64 v[18:19], 3, v[20:21]
	v_add_co_u32 v18, vcc_lo, s18, v18
	v_add_co_ci_u32_e64 v19, null, s19, v19, vcc_lo
	global_load_dwordx2 v[18:19], v[18:19], off
	s_waitcnt vmcnt(0)
	v_add_f64 v[14:15], v[14:15], v[18:19]
.LBB26_84:                              ;   in Loop: Header=BB26_14 Depth=3
	s_or_b32 exec_lo, exec_lo, s72
	s_or_b32 exec_lo, exec_lo, s71
	s_mov_b32 s71, exec_lo
	v_cmpx_eq_u32_e64 v8, v12
	s_cbranch_execnz .LBB26_66
	s_branch .LBB26_67
.LBB26_85:                              ;   in Loop: Header=BB26_5 Depth=1
	v_xor_b32_e32 v12, 16, v28
	v_xor_b32_e32 v11, 8, v28
	;; [unrolled: 1-line block ×5, first 2 shown]
	s_and_b32 vcc_lo, exec_lo, s33
	s_cbranch_vccnz .LBB26_88
; %bb.86:                               ;   in Loop: Header=BB26_5 Depth=1
	s_andn2_b32 vcc_lo, exec_lo, s10
	s_cbranch_vccz .LBB26_101
.LBB26_87:                              ;   in Loop: Header=BB26_5 Depth=1
	s_and_saveexec_b32 s9, s6
	s_cbranch_execnz .LBB26_114
	s_branch .LBB26_125
.LBB26_88:                              ;   in Loop: Header=BB26_5 Depth=1
	v_cmp_gt_i32_e32 vcc_lo, 32, v12
	v_cmp_gt_i32_e64 s8, 32, v11
	v_cndmask_b32_e32 v8, v28, v12, vcc_lo
	v_cndmask_b32_e64 v13, v28, v11, s8
	v_cmp_gt_i32_e64 s8, 32, v10
	v_lshlrev_b32_e32 v9, 2, v8
	v_lshlrev_b32_e32 v13, 2, v13
	ds_bpermute_b32 v8, v9, v1
	ds_bpermute_b32 v9, v9, v2
	s_waitcnt lgkmcnt(0)
	v_cmp_lt_f64_e32 vcc_lo, v[1:2], v[8:9]
	v_cndmask_b32_e32 v2, v2, v9, vcc_lo
	v_cndmask_b32_e32 v1, v1, v8, vcc_lo
	ds_bpermute_b32 v9, v13, v2
	ds_bpermute_b32 v8, v13, v1
	v_cndmask_b32_e64 v13, v28, v10, s8
	v_cmp_gt_i32_e64 s8, 32, v6
	v_lshlrev_b32_e32 v13, 2, v13
	s_waitcnt lgkmcnt(0)
	v_cmp_lt_f64_e32 vcc_lo, v[1:2], v[8:9]
	v_cndmask_b32_e32 v2, v2, v9, vcc_lo
	v_cndmask_b32_e32 v1, v1, v8, vcc_lo
	ds_bpermute_b32 v9, v13, v2
	ds_bpermute_b32 v8, v13, v1
	v_cndmask_b32_e64 v13, v28, v6, s8
	v_cmp_gt_i32_e64 s8, 32, v3
	v_lshlrev_b32_e32 v13, 2, v13
	s_waitcnt lgkmcnt(0)
	v_cmp_lt_f64_e32 vcc_lo, v[1:2], v[8:9]
	v_cndmask_b32_e32 v2, v2, v9, vcc_lo
	v_cndmask_b32_e32 v1, v1, v8, vcc_lo
	ds_bpermute_b32 v9, v13, v2
	ds_bpermute_b32 v8, v13, v1
	v_cndmask_b32_e64 v13, v28, v3, s8
	v_lshlrev_b32_e32 v13, 2, v13
	s_waitcnt lgkmcnt(0)
	v_cmp_lt_f64_e32 vcc_lo, v[1:2], v[8:9]
	v_cndmask_b32_e32 v2, v2, v9, vcc_lo
	v_cndmask_b32_e32 v1, v1, v8, vcc_lo
	ds_bpermute_b32 v8, v13, v1
	ds_bpermute_b32 v13, v13, v2
	s_and_saveexec_b32 s8, s0
	s_cbranch_execz .LBB26_90
; %bb.89:                               ;   in Loop: Header=BB26_5 Depth=1
	s_waitcnt lgkmcnt(0)
	v_mov_b32_e32 v9, v13
	v_cmp_lt_f64_e32 vcc_lo, v[1:2], v[8:9]
	v_cndmask_b32_e32 v2, v2, v13, vcc_lo
	v_cndmask_b32_e32 v1, v1, v8, vcc_lo
	ds_write_b64 v31, v[1:2]
.LBB26_90:                              ;   in Loop: Header=BB26_5 Depth=1
	s_or_b32 exec_lo, exec_lo, s8
	s_waitcnt lgkmcnt(0)
	s_waitcnt_vscnt null, 0x0
	s_barrier
	buffer_gl0_inv
	s_and_saveexec_b32 s8, s1
	s_cbranch_execz .LBB26_92
; %bb.91:                               ;   in Loop: Header=BB26_5 Depth=1
	ds_read2_b64 v[13:16], v29 offset1:16
	s_waitcnt lgkmcnt(0)
	v_cmp_lt_f64_e32 vcc_lo, v[13:14], v[15:16]
	v_cndmask_b32_e32 v2, v14, v16, vcc_lo
	v_cndmask_b32_e32 v1, v13, v15, vcc_lo
	ds_write_b64 v29, v[1:2]
.LBB26_92:                              ;   in Loop: Header=BB26_5 Depth=1
	s_or_b32 exec_lo, exec_lo, s8
	s_waitcnt lgkmcnt(0)
	s_barrier
	buffer_gl0_inv
	s_and_saveexec_b32 s8, s2
	s_cbranch_execz .LBB26_94
; %bb.93:                               ;   in Loop: Header=BB26_5 Depth=1
	ds_read2_b64 v[13:16], v29 offset1:8
	s_waitcnt lgkmcnt(0)
	v_cmp_lt_f64_e32 vcc_lo, v[13:14], v[15:16]
	v_cndmask_b32_e32 v2, v14, v16, vcc_lo
	v_cndmask_b32_e32 v1, v13, v15, vcc_lo
	ds_write_b64 v29, v[1:2]
.LBB26_94:                              ;   in Loop: Header=BB26_5 Depth=1
	s_or_b32 exec_lo, exec_lo, s8
	s_waitcnt lgkmcnt(0)
	;; [unrolled: 14-line block ×4, first 2 shown]
	s_barrier
	buffer_gl0_inv
	s_and_saveexec_b32 s8, s5
	s_cbranch_execz .LBB26_100
; %bb.99:                               ;   in Loop: Header=BB26_5 Depth=1
	ds_read_b128 v[13:16], v7
	s_waitcnt lgkmcnt(0)
	v_cmp_lt_f64_e32 vcc_lo, v[13:14], v[15:16]
	v_cndmask_b32_e32 v2, v14, v16, vcc_lo
	v_cndmask_b32_e32 v1, v13, v15, vcc_lo
	ds_write_b64 v7, v[1:2]
.LBB26_100:                             ;   in Loop: Header=BB26_5 Depth=1
	s_or_b32 exec_lo, exec_lo, s8
	s_waitcnt lgkmcnt(0)
	s_barrier
	buffer_gl0_inv
	ds_read_b64 v[1:2], v7
	s_load_dwordx2 s[8:9], s[54:55], 0x0
	s_waitcnt lgkmcnt(0)
	v_div_scale_f64 v[8:9], null, s[8:9], s[8:9], v[1:2]
	v_rcp_f64_e32 v[13:14], v[8:9]
	v_fma_f64 v[15:16], -v[8:9], v[13:14], 1.0
	v_fma_f64 v[13:14], v[13:14], v[15:16], v[13:14]
	v_fma_f64 v[15:16], -v[8:9], v[13:14], 1.0
	v_fma_f64 v[13:14], v[13:14], v[15:16], v[13:14]
	v_div_scale_f64 v[15:16], vcc_lo, v[1:2], s[8:9], v[1:2]
	v_mul_f64 v[17:18], v[15:16], v[13:14]
	v_fma_f64 v[8:9], -v[8:9], v[17:18], v[15:16]
	v_div_fmas_f64 v[8:9], v[8:9], v[13:14], v[17:18]
	v_div_fixup_f64 v[1:2], v[8:9], s[8:9], v[1:2]
	s_andn2_b32 vcc_lo, exec_lo, s10
	s_cbranch_vccnz .LBB26_87
.LBB26_101:                             ;   in Loop: Header=BB26_5 Depth=1
	v_cmp_gt_i32_e32 vcc_lo, 32, v12
	v_cmp_gt_i32_e64 s8, 32, v11
	v_cndmask_b32_e32 v8, v28, v12, vcc_lo
	v_cndmask_b32_e64 v11, v28, v11, s8
	v_cmp_gt_i32_e64 s8, 32, v10
	v_lshlrev_b32_e32 v9, 2, v8
	v_lshlrev_b32_e32 v11, 2, v11
	v_cndmask_b32_e64 v10, v28, v10, s8
	v_cmp_gt_i32_e64 s8, 32, v6
	ds_bpermute_b32 v8, v9, v4
	ds_bpermute_b32 v9, v9, v5
	v_lshlrev_b32_e32 v10, 2, v10
	v_cndmask_b32_e64 v6, v28, v6, s8
	v_cmp_gt_i32_e64 s8, 32, v3
	v_cndmask_b32_e64 v3, v28, v3, s8
	s_waitcnt lgkmcnt(0)
	v_cmp_lt_f64_e32 vcc_lo, v[4:5], v[8:9]
	v_cndmask_b32_e32 v5, v5, v9, vcc_lo
	v_cndmask_b32_e32 v4, v4, v8, vcc_lo
	ds_bpermute_b32 v9, v11, v5
	ds_bpermute_b32 v8, v11, v4
	s_waitcnt lgkmcnt(0)
	v_cmp_lt_f64_e32 vcc_lo, v[4:5], v[8:9]
	v_cndmask_b32_e32 v5, v5, v9, vcc_lo
	v_cndmask_b32_e32 v4, v4, v8, vcc_lo
	ds_bpermute_b32 v9, v10, v5
	ds_bpermute_b32 v8, v10, v4
	v_lshlrev_b32_e32 v10, 2, v6
	s_waitcnt lgkmcnt(0)
	v_cmp_lt_f64_e32 vcc_lo, v[4:5], v[8:9]
	v_cndmask_b32_e32 v6, v5, v9, vcc_lo
	v_cndmask_b32_e32 v5, v4, v8, vcc_lo
	ds_bpermute_b32 v9, v10, v6
	ds_bpermute_b32 v8, v10, v5
	v_lshlrev_b32_e32 v10, 2, v3
	s_waitcnt lgkmcnt(0)
	v_cmp_lt_f64_e32 vcc_lo, v[5:6], v[8:9]
	v_cndmask_b32_e32 v4, v6, v9, vcc_lo
	v_cndmask_b32_e32 v3, v5, v8, vcc_lo
	ds_bpermute_b32 v8, v10, v4
	ds_bpermute_b32 v5, v10, v3
	s_and_saveexec_b32 s8, s0
	s_cbranch_execz .LBB26_103
; %bb.102:                              ;   in Loop: Header=BB26_5 Depth=1
	s_waitcnt lgkmcnt(1)
	v_mov_b32_e32 v6, v8
	s_waitcnt lgkmcnt(0)
	v_cmp_lt_f64_e32 vcc_lo, v[3:4], v[5:6]
	v_cndmask_b32_e32 v4, v4, v8, vcc_lo
	v_cndmask_b32_e32 v3, v3, v5, vcc_lo
	ds_write_b64 v31, v[3:4]
.LBB26_103:                             ;   in Loop: Header=BB26_5 Depth=1
	s_or_b32 exec_lo, exec_lo, s8
	s_waitcnt lgkmcnt(0)
	s_waitcnt_vscnt null, 0x0
	s_barrier
	buffer_gl0_inv
	s_and_saveexec_b32 s8, s1
	s_cbranch_execz .LBB26_105
; %bb.104:                              ;   in Loop: Header=BB26_5 Depth=1
	ds_read2_b64 v[3:6], v29 offset1:16
	s_waitcnt lgkmcnt(0)
	v_cmp_lt_f64_e32 vcc_lo, v[3:4], v[5:6]
	v_cndmask_b32_e32 v4, v4, v6, vcc_lo
	v_cndmask_b32_e32 v3, v3, v5, vcc_lo
	ds_write_b64 v29, v[3:4]
.LBB26_105:                             ;   in Loop: Header=BB26_5 Depth=1
	s_or_b32 exec_lo, exec_lo, s8
	s_waitcnt lgkmcnt(0)
	s_barrier
	buffer_gl0_inv
	s_and_saveexec_b32 s8, s2
	s_cbranch_execz .LBB26_107
; %bb.106:                              ;   in Loop: Header=BB26_5 Depth=1
	ds_read2_b64 v[3:6], v29 offset1:8
	s_waitcnt lgkmcnt(0)
	v_cmp_lt_f64_e32 vcc_lo, v[3:4], v[5:6]
	v_cndmask_b32_e32 v4, v4, v6, vcc_lo
	v_cndmask_b32_e32 v3, v3, v5, vcc_lo
	ds_write_b64 v29, v[3:4]
.LBB26_107:                             ;   in Loop: Header=BB26_5 Depth=1
	s_or_b32 exec_lo, exec_lo, s8
	s_waitcnt lgkmcnt(0)
	s_barrier
	buffer_gl0_inv
	s_and_saveexec_b32 s8, s3
	s_cbranch_execz .LBB26_109
; %bb.108:                              ;   in Loop: Header=BB26_5 Depth=1
	ds_read2_b64 v[3:6], v29 offset1:4
	s_waitcnt lgkmcnt(0)
	v_cmp_lt_f64_e32 vcc_lo, v[3:4], v[5:6]
	v_cndmask_b32_e32 v4, v4, v6, vcc_lo
	v_cndmask_b32_e32 v3, v3, v5, vcc_lo
	ds_write_b64 v29, v[3:4]
.LBB26_109:                             ;   in Loop: Header=BB26_5 Depth=1
	s_or_b32 exec_lo, exec_lo, s8
	s_waitcnt lgkmcnt(0)
	s_barrier
	buffer_gl0_inv
	s_and_saveexec_b32 s8, s4
	s_cbranch_execz .LBB26_111
; %bb.110:                              ;   in Loop: Header=BB26_5 Depth=1
	ds_read2_b64 v[3:6], v29 offset1:2
	s_waitcnt lgkmcnt(0)
	v_cmp_lt_f64_e32 vcc_lo, v[3:4], v[5:6]
	v_cndmask_b32_e32 v4, v4, v6, vcc_lo
	v_cndmask_b32_e32 v3, v3, v5, vcc_lo
	ds_write_b64 v29, v[3:4]
.LBB26_111:                             ;   in Loop: Header=BB26_5 Depth=1
	s_or_b32 exec_lo, exec_lo, s8
	s_waitcnt lgkmcnt(0)
	s_barrier
	buffer_gl0_inv
	s_and_saveexec_b32 s8, s5
	s_cbranch_execz .LBB26_113
; %bb.112:                              ;   in Loop: Header=BB26_5 Depth=1
	ds_read_b128 v[3:6], v7
	s_waitcnt lgkmcnt(0)
	v_cmp_lt_f64_e32 vcc_lo, v[3:4], v[5:6]
	v_cndmask_b32_e32 v4, v4, v6, vcc_lo
	v_cndmask_b32_e32 v3, v3, v5, vcc_lo
	ds_write_b64 v7, v[3:4]
.LBB26_113:                             ;   in Loop: Header=BB26_5 Depth=1
	s_or_b32 exec_lo, exec_lo, s8
	s_waitcnt lgkmcnt(0)
	s_barrier
	buffer_gl0_inv
	ds_read_b64 v[3:4], v7
	s_load_dwordx2 s[8:9], s[54:55], 0x0
	s_waitcnt lgkmcnt(0)
	v_div_scale_f64 v[5:6], null, s[8:9], s[8:9], v[3:4]
	v_rcp_f64_e32 v[8:9], v[5:6]
	v_fma_f64 v[10:11], -v[5:6], v[8:9], 1.0
	v_fma_f64 v[8:9], v[8:9], v[10:11], v[8:9]
	v_fma_f64 v[10:11], -v[5:6], v[8:9], 1.0
	v_fma_f64 v[8:9], v[8:9], v[10:11], v[8:9]
	v_div_scale_f64 v[10:11], vcc_lo, v[3:4], s[8:9], v[3:4]
	v_mul_f64 v[12:13], v[10:11], v[8:9]
	v_fma_f64 v[5:6], -v[5:6], v[12:13], v[10:11]
	v_div_fmas_f64 v[5:6], v[5:6], v[8:9], v[12:13]
	v_div_fixup_f64 v[4:5], v[5:6], s[8:9], v[3:4]
	s_and_saveexec_b32 s9, s6
	s_cbranch_execz .LBB26_125
.LBB26_114:                             ;   in Loop: Header=BB26_5 Depth=1
	v_mov_b32_e32 v8, v30
	s_mov_b32 s67, 0
	s_branch .LBB26_116
.LBB26_115:                             ;   in Loop: Header=BB26_116 Depth=2
	s_or_b32 exec_lo, exec_lo, s68
	v_add_nc_u32_e32 v8, 32, v8
	v_cmp_le_u32_e32 vcc_lo, s63, v8
	s_or_b32 s67, vcc_lo, s67
	s_andn2_b32 exec_lo, exec_lo, s67
	s_cbranch_execz .LBB26_125
.LBB26_116:                             ;   Parent Loop BB26_5 Depth=1
                                        ; =>  This Loop Header: Depth=2
                                        ;       Child Loop BB26_119 Depth 3
                                        ;       Child Loop BB26_122 Depth 3
	s_mov_b32 s68, exec_lo
	v_cmpx_gt_i32_e64 s56, v8
	s_cbranch_execz .LBB26_115
; %bb.117:                              ;   in Loop: Header=BB26_116 Depth=2
	v_ashrrev_i32_e32 v9, 31, v8
	s_mov_b32 s69, exec_lo
	v_lshlrev_b64 v[10:11], 2, v[8:9]
	v_add_co_u32 v12, vcc_lo, s20, v10
	v_add_co_ci_u32_e64 v13, null, s21, v11, vcc_lo
	v_add_co_u32 v14, vcc_lo, s22, v10
	v_add_co_ci_u32_e64 v15, null, s23, v11, vcc_lo
	global_load_dword v3, v[12:13], off
	global_load_dword v6, v[14:15], off
	s_waitcnt vmcnt(1)
	v_add_nc_u32_e32 v12, v33, v3
	s_waitcnt vmcnt(0)
	v_subrev_nc_u32_e32 v3, s61, v6
	v_cmpx_lt_i32_e64 v12, v3
	s_cbranch_execz .LBB26_120
; %bb.118:                              ;   in Loop: Header=BB26_116 Depth=2
	v_ashrrev_i32_e32 v13, 31, v12
	s_mov_b32 s70, 0
	v_lshlrev_b64 v[15:16], 3, v[12:13]
	v_add_co_u32 v13, vcc_lo, s52, v15
	v_add_co_ci_u32_e64 v14, null, s53, v16, vcc_lo
	v_add_co_u32 v15, vcc_lo, s26, v15
	v_add_co_ci_u32_e64 v16, null, s27, v16, vcc_lo
	.p2align	6
.LBB26_119:                             ;   Parent Loop BB26_5 Depth=1
                                        ;     Parent Loop BB26_116 Depth=2
                                        ; =>    This Inner Loop Header: Depth=3
	global_load_dwordx2 v[17:18], v[13:14], off
	v_add_nc_u32_e32 v12, 32, v12
	v_add_co_u32 v13, vcc_lo, 0x100, v13
	v_add_co_ci_u32_e64 v14, null, 0, v14, vcc_lo
	v_cmp_ge_i32_e32 vcc_lo, v12, v3
	s_or_b32 s70, vcc_lo, s70
	s_waitcnt vmcnt(0)
	global_store_dwordx2 v[15:16], v[17:18], off
	v_add_co_u32 v15, s8, 0x100, v15
	v_add_co_ci_u32_e64 v16, null, 0, v16, s8
	s_andn2_b32 exec_lo, exec_lo, s70
	s_cbranch_execnz .LBB26_119
.LBB26_120:                             ;   in Loop: Header=BB26_116 Depth=2
	s_or_b32 exec_lo, exec_lo, s69
	v_add_co_u32 v12, vcc_lo, s12, v10
	v_add_co_ci_u32_e64 v13, null, s13, v11, vcc_lo
	v_add_co_u32 v10, vcc_lo, s14, v10
	v_add_co_ci_u32_e64 v11, null, s15, v11, vcc_lo
	global_load_dword v3, v[12:13], off
	global_load_dword v6, v[10:11], off
	s_mov_b32 s69, exec_lo
	s_waitcnt vmcnt(1)
	v_add_nc_u32_e32 v10, v34, v3
	s_waitcnt vmcnt(0)
	v_subrev_nc_u32_e32 v3, s62, v6
	v_cmpx_lt_i32_e64 v10, v3
	s_cbranch_execz .LBB26_123
; %bb.121:                              ;   in Loop: Header=BB26_116 Depth=2
	v_ashrrev_i32_e32 v11, 31, v10
	s_mov_b32 s70, 0
	v_lshlrev_b64 v[13:14], 3, v[10:11]
	v_add_co_u32 v11, vcc_lo, s34, v13
	v_add_co_ci_u32_e64 v12, null, s35, v14, vcc_lo
	v_add_co_u32 v13, vcc_lo, s18, v13
	v_add_co_ci_u32_e64 v14, null, s19, v14, vcc_lo
	.p2align	6
.LBB26_122:                             ;   Parent Loop BB26_5 Depth=1
                                        ;     Parent Loop BB26_116 Depth=2
                                        ; =>    This Inner Loop Header: Depth=3
	global_load_dwordx2 v[15:16], v[11:12], off
	v_add_nc_u32_e32 v10, 32, v10
	v_add_co_u32 v11, vcc_lo, 0x100, v11
	v_add_co_ci_u32_e64 v12, null, 0, v12, vcc_lo
	v_cmp_ge_i32_e32 vcc_lo, v10, v3
	s_or_b32 s70, vcc_lo, s70
	s_waitcnt vmcnt(0)
	global_store_dwordx2 v[13:14], v[15:16], off
	v_add_co_u32 v13, s8, 0x100, v13
	v_add_co_ci_u32_e64 v14, null, 0, v14, s8
	s_andn2_b32 exec_lo, exec_lo, s70
	s_cbranch_execnz .LBB26_122
.LBB26_123:                             ;   in Loop: Header=BB26_116 Depth=2
	s_or_b32 exec_lo, exec_lo, s69
	s_and_b32 exec_lo, exec_lo, s7
	s_cbranch_execz .LBB26_115
; %bb.124:                              ;   in Loop: Header=BB26_116 Depth=2
	v_lshlrev_b64 v[9:10], 3, v[8:9]
	v_add_co_u32 v11, vcc_lo, s50, v9
	v_add_co_ci_u32_e64 v12, null, s51, v10, vcc_lo
	v_add_co_u32 v9, vcc_lo, s48, v9
	v_add_co_ci_u32_e64 v10, null, s49, v10, vcc_lo
	global_load_dwordx2 v[11:12], v[11:12], off
	s_waitcnt vmcnt(0)
	global_store_dwordx2 v[9:10], v[11:12], off
	s_branch .LBB26_115
.LBB26_125:                             ;   in Loop: Header=BB26_5 Depth=1
	s_or_b32 exec_lo, exec_lo, s9
	s_mov_b32 s9, -1
	s_and_b32 vcc_lo, exec_lo, s57
	s_mov_b32 s67, -1
	s_cbranch_vccz .LBB26_135
; %bb.126:                              ;   in Loop: Header=BB26_5 Depth=1
	s_and_b32 vcc_lo, exec_lo, s65
	s_mov_b32 s8, -1
                                        ; implicit-def: $sgpr67
	s_cbranch_vccz .LBB26_132
; %bb.127:                              ;   in Loop: Header=BB26_5 Depth=1
	s_and_b32 vcc_lo, exec_lo, s64
                                        ; implicit-def: $sgpr67
	s_cbranch_vccz .LBB26_129
; %bb.128:                              ;   in Loop: Header=BB26_5 Depth=1
	v_cmp_ge_f64_e64 s67, s[46:47], v[4:5]
	s_mov_b32 s8, 0
.LBB26_129:                             ;   in Loop: Header=BB26_5 Depth=1
	s_andn2_b32 vcc_lo, exec_lo, s8
	s_cbranch_vccnz .LBB26_131
; %bb.130:                              ;   in Loop: Header=BB26_5 Depth=1
	v_cmp_ge_f64_e32 vcc_lo, s[46:47], v[1:2]
	s_andn2_b32 s8, s67, exec_lo
	s_and_b32 s67, vcc_lo, exec_lo
	s_or_b32 s67, s8, s67
.LBB26_131:                             ;   in Loop: Header=BB26_5 Depth=1
	s_mov_b32 s8, 0
.LBB26_132:                             ;   in Loop: Header=BB26_5 Depth=1
	s_andn2_b32 vcc_lo, exec_lo, s8
	s_cbranch_vccnz .LBB26_134
; %bb.133:                              ;   in Loop: Header=BB26_5 Depth=1
	v_cmp_ge_f64_e32 vcc_lo, s[46:47], v[1:2]
	v_cmp_ge_f64_e64 s8, s[46:47], v[4:5]
	s_andn2_b32 s67, s67, exec_lo
	s_and_b32 s8, vcc_lo, s8
	s_and_b32 s8, s8, exec_lo
	s_or_b32 s67, s67, s8
.LBB26_134:                             ;   in Loop: Header=BB26_5 Depth=1
	s_xor_b32 s67, s67, -1
.LBB26_135:                             ;   in Loop: Header=BB26_5 Depth=1
	v_mov_b32_e32 v3, s66
	s_and_saveexec_b32 s8, s67
	s_cbranch_execz .LBB26_4
; %bb.136:                              ;   in Loop: Header=BB26_5 Depth=1
	s_add_i32 s66, s66, 1
	v_mov_b32_e32 v3, s11
	s_cmp_eq_u32 s66, s11
	s_cselect_b32 s9, -1, 0
	s_orn2_b32 s9, s9, exec_lo
	s_branch .LBB26_4
.LBB26_137:
	s_or_b32 exec_lo, exec_lo, s58
	s_or_b32 exec_lo, exec_lo, s59
	s_andn2_b32 vcc_lo, exec_lo, s57
	s_cbranch_vccnz .LBB26_2
.LBB26_138:
	v_xor_b32_e32 v6, 16, v28
	v_xor_b32_e32 v7, 8, v28
	s_mov_b32 s0, exec_lo
	v_cmp_gt_i32_e32 vcc_lo, 32, v6
	v_cndmask_b32_e32 v6, v28, v6, vcc_lo
	v_cmp_gt_i32_e32 vcc_lo, 32, v7
	v_lshlrev_b32_e32 v6, 2, v6
	v_cndmask_b32_e32 v7, v28, v7, vcc_lo
	ds_bpermute_b32 v6, v6, v3
	v_lshlrev_b32_e32 v7, 2, v7
	s_waitcnt lgkmcnt(0)
	v_max_i32_e32 v3, v3, v6
	ds_bpermute_b32 v6, v7, v3
	v_xor_b32_e32 v7, 4, v28
	v_cmp_gt_i32_e32 vcc_lo, 32, v7
	v_cndmask_b32_e32 v7, v28, v7, vcc_lo
	v_lshlrev_b32_e32 v7, 2, v7
	s_waitcnt lgkmcnt(0)
	v_max_i32_e32 v3, v3, v6
	ds_bpermute_b32 v6, v7, v3
	v_xor_b32_e32 v7, 2, v28
	v_cmp_gt_i32_e32 vcc_lo, 32, v7
	v_cndmask_b32_e32 v7, v28, v7, vcc_lo
	;; [unrolled: 7-line block ×3, first 2 shown]
	s_waitcnt lgkmcnt(0)
	v_max_i32_e32 v3, v3, v6
	v_lshlrev_b32_e32 v6, 2, v7
	ds_bpermute_b32 v6, v6, v3
	v_cmpx_eq_u32_e32 31, v27
	s_cbranch_execz .LBB26_140
; %bb.139:
	v_lshlrev_b32_e32 v7, 2, v26
	s_waitcnt lgkmcnt(0)
	v_max_i32_e32 v3, v3, v6
	ds_write_b32 v7, v3 offset:256
.LBB26_140:
	s_or_b32 exec_lo, exec_lo, s0
	v_lshlrev_b32_e32 v3, 2, v0
	s_mov_b32 s0, exec_lo
	s_waitcnt lgkmcnt(0)
	s_waitcnt_vscnt null, 0x0
	s_barrier
	buffer_gl0_inv
	v_cmpx_gt_u32_e32 16, v0
	s_cbranch_execz .LBB26_142
; %bb.141:
	ds_read2_b32 v[6:7], v3 offset0:64 offset1:80
	s_waitcnt lgkmcnt(0)
	v_max_i32_e32 v6, v6, v7
	ds_write_b32 v3, v6 offset:256
.LBB26_142:
	s_or_b32 exec_lo, exec_lo, s0
	s_mov_b32 s0, exec_lo
	s_waitcnt lgkmcnt(0)
	s_barrier
	buffer_gl0_inv
	v_cmpx_gt_u32_e32 8, v0
	s_cbranch_execz .LBB26_144
; %bb.143:
	ds_read2_b32 v[6:7], v3 offset0:64 offset1:72
	s_waitcnt lgkmcnt(0)
	v_max_i32_e32 v6, v6, v7
	ds_write_b32 v3, v6 offset:256
.LBB26_144:
	s_or_b32 exec_lo, exec_lo, s0
	s_mov_b32 s0, exec_lo
	s_waitcnt lgkmcnt(0)
	s_barrier
	buffer_gl0_inv
	v_cmpx_gt_u32_e32 4, v0
	s_cbranch_execz .LBB26_146
; %bb.145:
	ds_read2_b32 v[6:7], v3 offset0:64 offset1:68
	s_waitcnt lgkmcnt(0)
	v_max_i32_e32 v6, v6, v7
	ds_write_b32 v3, v6 offset:256
.LBB26_146:
	s_or_b32 exec_lo, exec_lo, s0
	s_mov_b32 s0, exec_lo
	s_waitcnt lgkmcnt(0)
	s_barrier
	buffer_gl0_inv
	v_cmpx_gt_u32_e32 2, v0
	s_cbranch_execz .LBB26_148
; %bb.147:
	ds_read2_b32 v[6:7], v3 offset0:64 offset1:66
	s_waitcnt lgkmcnt(0)
	v_max_i32_e32 v6, v6, v7
	ds_write_b32 v3, v6 offset:256
.LBB26_148:
	s_or_b32 exec_lo, exec_lo, s0
	v_cmp_eq_u32_e32 vcc_lo, 0, v0
	s_waitcnt lgkmcnt(0)
	s_barrier
	buffer_gl0_inv
	s_and_saveexec_b32 s0, vcc_lo
	s_cbranch_execz .LBB26_150
; %bb.149:
	v_mov_b32_e32 v3, 0
	ds_read_b64 v[6:7], v3 offset:256
	s_waitcnt lgkmcnt(0)
	v_max_i32_e32 v6, v6, v7
	ds_write_b32 v3, v6 offset:256
.LBB26_150:
	s_or_b32 exec_lo, exec_lo, s0
	s_waitcnt lgkmcnt(0)
	s_barrier
	buffer_gl0_inv
	s_and_saveexec_b32 s0, vcc_lo
	s_cbranch_execz .LBB26_153
; %bb.151:
	v_mbcnt_lo_u32_b32 v3, exec_lo, 0
	v_cmp_eq_u32_e32 vcc_lo, 0, v3
	s_and_b32 exec_lo, exec_lo, vcc_lo
	s_cbranch_execz .LBB26_153
; %bb.152:
	v_mov_b32_e32 v3, 0
	ds_read_b32 v6, v3 offset:256
	s_waitcnt lgkmcnt(0)
	v_add_nc_u32_e32 v6, 1, v6
	global_atomic_smax v3, v6, s[44:45]
.LBB26_153:
	s_or_b32 exec_lo, exec_lo, s0
	v_cmp_eq_u32_e32 vcc_lo, 0, v0
	s_and_b32 s0, vcc_lo, s33
	s_and_saveexec_b32 s1, s0
	s_cbranch_execz .LBB26_160
.LBB26_154:
	v_mov_b32_e32 v6, 0
	v_mov_b32_e32 v7, 0x7ff80000
	s_mov_b32 s0, exec_lo
.LBB26_155:                             ; =>This Inner Loop Header: Depth=1
	s_ff1_i32_b32 s4, s0
	v_max_f64 v[6:7], v[6:7], v[6:7]
	v_readlane_b32 s3, v2, s4
	v_readlane_b32 s2, v1, s4
	v_max_f64 v[8:9], s[2:3], s[2:3]
	s_lshl_b32 s2, 1, s4
	s_andn2_b32 s0, s0, s2
	s_cmp_lg_u32 s0, 0
	v_max_f64 v[6:7], v[6:7], v[8:9]
	s_cbranch_scc1 .LBB26_155
; %bb.156:
	v_mbcnt_lo_u32_b32 v0, exec_lo, 0
	s_mov_b32 s2, 0
	s_mov_b32 s3, exec_lo
	v_cmpx_eq_u32_e32 0, v0
	s_xor_b32 s3, exec_lo, s3
	s_cbranch_execz .LBB26_160
; %bb.157:
	v_mov_b32_e32 v8, 0
	v_max_f64 v[6:7], v[6:7], v[6:7]
	global_load_dwordx2 v[2:3], v8, s[28:29]
.LBB26_158:                             ; =>This Inner Loop Header: Depth=1
	s_waitcnt vmcnt(0)
	v_max_f64 v[0:1], v[2:3], v[2:3]
	v_max_f64 v[0:1], v[0:1], v[6:7]
	global_atomic_cmpswap_x2 v[0:1], v8, v[0:3], s[28:29] glc
	s_waitcnt vmcnt(0)
	v_cmp_eq_u64_e64 s0, v[0:1], v[2:3]
	v_mov_b32_e32 v3, v1
	v_mov_b32_e32 v2, v0
	s_or_b32 s2, s0, s2
	s_andn2_b32 exec_lo, exec_lo, s2
	s_cbranch_execnz .LBB26_158
; %bb.159:
	s_or_b32 exec_lo, exec_lo, s2
.LBB26_160:
	s_or_b32 exec_lo, exec_lo, s1
	s_and_b32 s0, vcc_lo, s10
	s_and_saveexec_b32 s1, s0
	s_cbranch_execz .LBB26_166
; %bb.161:
	v_mov_b32_e32 v0, 0
	v_mov_b32_e32 v1, 0x7ff80000
	s_mov_b32 s0, exec_lo
.LBB26_162:                             ; =>This Inner Loop Header: Depth=1
	s_ff1_i32_b32 s1, s0
	v_max_f64 v[0:1], v[0:1], v[0:1]
	v_readlane_b32 s3, v5, s1
	v_readlane_b32 s2, v4, s1
	s_lshl_b32 s1, 1, s1
	s_andn2_b32 s0, s0, s1
	v_max_f64 v[2:3], s[2:3], s[2:3]
	s_cmp_lg_u32 s0, 0
	v_max_f64 v[0:1], v[0:1], v[2:3]
	s_cbranch_scc1 .LBB26_162
; %bb.163:
	v_mbcnt_lo_u32_b32 v2, exec_lo, 0
	s_mov_b32 s0, 0
	s_mov_b32 s1, exec_lo
	v_cmpx_eq_u32_e32 0, v2
	s_xor_b32 s1, exec_lo, s1
	s_cbranch_execz .LBB26_166
; %bb.164:
	v_mov_b32_e32 v6, 0
	v_max_f64 v[4:5], v[0:1], v[0:1]
	global_load_dwordx2 v[2:3], v6, s[30:31]
.LBB26_165:                             ; =>This Inner Loop Header: Depth=1
	s_waitcnt vmcnt(0)
	v_max_f64 v[0:1], v[2:3], v[2:3]
	v_max_f64 v[0:1], v[0:1], v[4:5]
	global_atomic_cmpswap_x2 v[0:1], v6, v[0:3], s[30:31] glc
	s_waitcnt vmcnt(0)
	v_cmp_eq_u64_e32 vcc_lo, v[0:1], v[2:3]
	v_mov_b32_e32 v3, v1
	v_mov_b32_e32 v2, v0
	s_or_b32 s0, vcc_lo, s0
	s_andn2_b32 exec_lo, exec_lo, s0
	s_cbranch_execnz .LBB26_165
.LBB26_166:
	s_endpgm
	.section	.rodata,"a",@progbits
	.p2align	6, 0x0
	.amdhsa_kernel _ZN9rocsparseL6kernelILi1024ELi32EdiiEEvbbbT3_PS1_NS_15floating_traitsIT1_E6data_tES1_T2_PKS7_S9_PKS1_PKS4_21rocsparse_index_base_S9_S9_SB_PS4_SF_SE_S9_S9_SB_SF_SF_SE_SF_SF_PS6_SG_PKS6_
		.amdhsa_group_segment_fixed_size 384
		.amdhsa_private_segment_fixed_size 0
		.amdhsa_kernarg_size 208
		.amdhsa_user_sgpr_count 6
		.amdhsa_user_sgpr_private_segment_buffer 1
		.amdhsa_user_sgpr_dispatch_ptr 0
		.amdhsa_user_sgpr_queue_ptr 0
		.amdhsa_user_sgpr_kernarg_segment_ptr 1
		.amdhsa_user_sgpr_dispatch_id 0
		.amdhsa_user_sgpr_flat_scratch_init 0
		.amdhsa_user_sgpr_private_segment_size 0
		.amdhsa_wavefront_size32 1
		.amdhsa_uses_dynamic_stack 0
		.amdhsa_system_sgpr_private_segment_wavefront_offset 0
		.amdhsa_system_sgpr_workgroup_id_x 1
		.amdhsa_system_sgpr_workgroup_id_y 0
		.amdhsa_system_sgpr_workgroup_id_z 0
		.amdhsa_system_sgpr_workgroup_info 0
		.amdhsa_system_vgpr_workitem_id 0
		.amdhsa_next_free_vgpr 47
		.amdhsa_next_free_sgpr 81
		.amdhsa_reserve_vcc 1
		.amdhsa_reserve_flat_scratch 0
		.amdhsa_float_round_mode_32 0
		.amdhsa_float_round_mode_16_64 0
		.amdhsa_float_denorm_mode_32 3
		.amdhsa_float_denorm_mode_16_64 3
		.amdhsa_dx10_clamp 1
		.amdhsa_ieee_mode 1
		.amdhsa_fp16_overflow 0
		.amdhsa_workgroup_processor_mode 1
		.amdhsa_memory_ordered 1
		.amdhsa_forward_progress 1
		.amdhsa_shared_vgpr_count 0
		.amdhsa_exception_fp_ieee_invalid_op 0
		.amdhsa_exception_fp_denorm_src 0
		.amdhsa_exception_fp_ieee_div_zero 0
		.amdhsa_exception_fp_ieee_overflow 0
		.amdhsa_exception_fp_ieee_underflow 0
		.amdhsa_exception_fp_ieee_inexact 0
		.amdhsa_exception_int_div_zero 0
	.end_amdhsa_kernel
	.section	.text._ZN9rocsparseL6kernelILi1024ELi32EdiiEEvbbbT3_PS1_NS_15floating_traitsIT1_E6data_tES1_T2_PKS7_S9_PKS1_PKS4_21rocsparse_index_base_S9_S9_SB_PS4_SF_SE_S9_S9_SB_SF_SF_SE_SF_SF_PS6_SG_PKS6_,"axG",@progbits,_ZN9rocsparseL6kernelILi1024ELi32EdiiEEvbbbT3_PS1_NS_15floating_traitsIT1_E6data_tES1_T2_PKS7_S9_PKS1_PKS4_21rocsparse_index_base_S9_S9_SB_PS4_SF_SE_S9_S9_SB_SF_SF_SE_SF_SF_PS6_SG_PKS6_,comdat
.Lfunc_end26:
	.size	_ZN9rocsparseL6kernelILi1024ELi32EdiiEEvbbbT3_PS1_NS_15floating_traitsIT1_E6data_tES1_T2_PKS7_S9_PKS1_PKS4_21rocsparse_index_base_S9_S9_SB_PS4_SF_SE_S9_S9_SB_SF_SF_SE_SF_SF_PS6_SG_PKS6_, .Lfunc_end26-_ZN9rocsparseL6kernelILi1024ELi32EdiiEEvbbbT3_PS1_NS_15floating_traitsIT1_E6data_tES1_T2_PKS7_S9_PKS1_PKS4_21rocsparse_index_base_S9_S9_SB_PS4_SF_SE_S9_S9_SB_SF_SF_SE_SF_SF_PS6_SG_PKS6_
                                        ; -- End function
	.set _ZN9rocsparseL6kernelILi1024ELi32EdiiEEvbbbT3_PS1_NS_15floating_traitsIT1_E6data_tES1_T2_PKS7_S9_PKS1_PKS4_21rocsparse_index_base_S9_S9_SB_PS4_SF_SE_S9_S9_SB_SF_SF_SE_SF_SF_PS6_SG_PKS6_.num_vgpr, 47
	.set _ZN9rocsparseL6kernelILi1024ELi32EdiiEEvbbbT3_PS1_NS_15floating_traitsIT1_E6data_tES1_T2_PKS7_S9_PKS1_PKS4_21rocsparse_index_base_S9_S9_SB_PS4_SF_SE_S9_S9_SB_SF_SF_SE_SF_SF_PS6_SG_PKS6_.num_agpr, 0
	.set _ZN9rocsparseL6kernelILi1024ELi32EdiiEEvbbbT3_PS1_NS_15floating_traitsIT1_E6data_tES1_T2_PKS7_S9_PKS1_PKS4_21rocsparse_index_base_S9_S9_SB_PS4_SF_SE_S9_S9_SB_SF_SF_SE_SF_SF_PS6_SG_PKS6_.numbered_sgpr, 81
	.set _ZN9rocsparseL6kernelILi1024ELi32EdiiEEvbbbT3_PS1_NS_15floating_traitsIT1_E6data_tES1_T2_PKS7_S9_PKS1_PKS4_21rocsparse_index_base_S9_S9_SB_PS4_SF_SE_S9_S9_SB_SF_SF_SE_SF_SF_PS6_SG_PKS6_.num_named_barrier, 0
	.set _ZN9rocsparseL6kernelILi1024ELi32EdiiEEvbbbT3_PS1_NS_15floating_traitsIT1_E6data_tES1_T2_PKS7_S9_PKS1_PKS4_21rocsparse_index_base_S9_S9_SB_PS4_SF_SE_S9_S9_SB_SF_SF_SE_SF_SF_PS6_SG_PKS6_.private_seg_size, 0
	.set _ZN9rocsparseL6kernelILi1024ELi32EdiiEEvbbbT3_PS1_NS_15floating_traitsIT1_E6data_tES1_T2_PKS7_S9_PKS1_PKS4_21rocsparse_index_base_S9_S9_SB_PS4_SF_SE_S9_S9_SB_SF_SF_SE_SF_SF_PS6_SG_PKS6_.uses_vcc, 1
	.set _ZN9rocsparseL6kernelILi1024ELi32EdiiEEvbbbT3_PS1_NS_15floating_traitsIT1_E6data_tES1_T2_PKS7_S9_PKS1_PKS4_21rocsparse_index_base_S9_S9_SB_PS4_SF_SE_S9_S9_SB_SF_SF_SE_SF_SF_PS6_SG_PKS6_.uses_flat_scratch, 0
	.set _ZN9rocsparseL6kernelILi1024ELi32EdiiEEvbbbT3_PS1_NS_15floating_traitsIT1_E6data_tES1_T2_PKS7_S9_PKS1_PKS4_21rocsparse_index_base_S9_S9_SB_PS4_SF_SE_S9_S9_SB_SF_SF_SE_SF_SF_PS6_SG_PKS6_.has_dyn_sized_stack, 0
	.set _ZN9rocsparseL6kernelILi1024ELi32EdiiEEvbbbT3_PS1_NS_15floating_traitsIT1_E6data_tES1_T2_PKS7_S9_PKS1_PKS4_21rocsparse_index_base_S9_S9_SB_PS4_SF_SE_S9_S9_SB_SF_SF_SE_SF_SF_PS6_SG_PKS6_.has_recursion, 0
	.set _ZN9rocsparseL6kernelILi1024ELi32EdiiEEvbbbT3_PS1_NS_15floating_traitsIT1_E6data_tES1_T2_PKS7_S9_PKS1_PKS4_21rocsparse_index_base_S9_S9_SB_PS4_SF_SE_S9_S9_SB_SF_SF_SE_SF_SF_PS6_SG_PKS6_.has_indirect_call, 0
	.section	.AMDGPU.csdata,"",@progbits
; Kernel info:
; codeLenInByte = 6408
; TotalNumSgprs: 83
; NumVgprs: 47
; ScratchSize: 0
; MemoryBound: 1
; FloatMode: 240
; IeeeMode: 1
; LDSByteSize: 384 bytes/workgroup (compile time only)
; SGPRBlocks: 0
; VGPRBlocks: 5
; NumSGPRsForWavesPerEU: 83
; NumVGPRsForWavesPerEU: 47
; Occupancy: 16
; WaveLimiterHint : 1
; COMPUTE_PGM_RSRC2:SCRATCH_EN: 0
; COMPUTE_PGM_RSRC2:USER_SGPR: 6
; COMPUTE_PGM_RSRC2:TRAP_HANDLER: 0
; COMPUTE_PGM_RSRC2:TGID_X_EN: 1
; COMPUTE_PGM_RSRC2:TGID_Y_EN: 0
; COMPUTE_PGM_RSRC2:TGID_Z_EN: 0
; COMPUTE_PGM_RSRC2:TIDIG_COMP_CNT: 0
	.section	.text._ZN9rocsparseL6kernelILi1024ELi64EdiiEEvbbbT3_PS1_NS_15floating_traitsIT1_E6data_tES1_T2_PKS7_S9_PKS1_PKS4_21rocsparse_index_base_S9_S9_SB_PS4_SF_SE_S9_S9_SB_SF_SF_SE_SF_SF_PS6_SG_PKS6_,"axG",@progbits,_ZN9rocsparseL6kernelILi1024ELi64EdiiEEvbbbT3_PS1_NS_15floating_traitsIT1_E6data_tES1_T2_PKS7_S9_PKS1_PKS4_21rocsparse_index_base_S9_S9_SB_PS4_SF_SE_S9_S9_SB_SF_SF_SE_SF_SF_PS6_SG_PKS6_,comdat
	.globl	_ZN9rocsparseL6kernelILi1024ELi64EdiiEEvbbbT3_PS1_NS_15floating_traitsIT1_E6data_tES1_T2_PKS7_S9_PKS1_PKS4_21rocsparse_index_base_S9_S9_SB_PS4_SF_SE_S9_S9_SB_SF_SF_SE_SF_SF_PS6_SG_PKS6_ ; -- Begin function _ZN9rocsparseL6kernelILi1024ELi64EdiiEEvbbbT3_PS1_NS_15floating_traitsIT1_E6data_tES1_T2_PKS7_S9_PKS1_PKS4_21rocsparse_index_base_S9_S9_SB_PS4_SF_SE_S9_S9_SB_SF_SF_SE_SF_SF_PS6_SG_PKS6_
	.p2align	8
	.type	_ZN9rocsparseL6kernelILi1024ELi64EdiiEEvbbbT3_PS1_NS_15floating_traitsIT1_E6data_tES1_T2_PKS7_S9_PKS1_PKS4_21rocsparse_index_base_S9_S9_SB_PS4_SF_SE_S9_S9_SB_SF_SF_SE_SF_SF_PS6_SG_PKS6_,@function
_ZN9rocsparseL6kernelILi1024ELi64EdiiEEvbbbT3_PS1_NS_15floating_traitsIT1_E6data_tES1_T2_PKS7_S9_PKS1_PKS4_21rocsparse_index_base_S9_S9_SB_PS4_SF_SE_S9_S9_SB_SF_SF_SE_SF_SF_PS6_SG_PKS6_: ; @_ZN9rocsparseL6kernelILi1024ELi64EdiiEEvbbbT3_PS1_NS_15floating_traitsIT1_E6data_tES1_T2_PKS7_S9_PKS1_PKS4_21rocsparse_index_base_S9_S9_SB_PS4_SF_SE_S9_S9_SB_SF_SF_SE_SF_SF_PS6_SG_PKS6_
; %bb.0:
	s_clause 0x4
	s_load_dword s0, s[4:5], 0x0
	s_load_dwordx2 s[8:9], s[4:5], 0x0
	s_load_dword s55, s[4:5], 0x18
	s_load_dwordx4 s[44:47], s[4:5], 0x8
	s_load_dwordx4 s[28:31], s[4:5], 0xb8
	v_lshrrev_b32_e32 v26, 6, v0
	v_mov_b32_e32 v3, 0
	v_lshlrev_b32_e32 v29, 3, v0
	v_mov_b32_e32 v1, 0
	v_and_b32_e32 v27, 63, v0
	v_mov_b32_e32 v2, 0
	v_mov_b32_e32 v4, v3
	v_mbcnt_lo_u32_b32 v28, -1, 0
	s_mov_b32 s57, 0
	ds_write_b64 v29, v[3:4]
	v_mov_b32_e32 v4, 0
	v_mov_b32_e32 v5, 0
	s_waitcnt lgkmcnt(0)
	s_bitcmp1_b32 s0, 0
	s_barrier
	s_cselect_b32 s56, -1, 0
	s_bitcmp1_b32 s0, 8
	buffer_gl0_inv
	s_cselect_b32 s54, -1, 0
	s_bitcmp1_b32 s8, 16
	s_cselect_b32 s33, -1, 0
	s_lshl_b32 s62, s6, 10
	s_cmp_gt_i32 s9, 0
	v_or_b32_e32 v30, s62, v26
	s_cselect_b32 s0, -1, 0
	v_cmp_gt_i32_e32 vcc_lo, s55, v30
	s_and_b32 s0, s0, vcc_lo
	s_and_saveexec_b32 s58, s0
	s_cbranch_execnz .LBB27_3
; %bb.1:
	s_or_b32 exec_lo, exec_lo, s58
	s_andn2_b32 vcc_lo, exec_lo, s56
	s_cbranch_vccz .LBB27_134
.LBB27_2:
	v_cmp_eq_u32_e32 vcc_lo, 0, v0
	s_and_b32 s0, vcc_lo, s54
	s_and_saveexec_b32 s1, s0
	s_cbranch_execnz .LBB27_148
	s_branch .LBB27_154
.LBB27_3:
	s_clause 0x9
	s_load_dword s59, s[4:5], 0x40
	s_load_dword s60, s[4:5], 0x70
	;; [unrolled: 1-line block ×3, first 2 shown]
	s_load_dwordx2 s[10:11], s[4:5], 0x98
	s_load_dwordx2 s[34:35], s[4:5], 0x68
	;; [unrolled: 1-line block ×3, first 2 shown]
	s_load_dwordx4 s[48:51], s[4:5], 0xa8
	s_load_dwordx8 s[12:19], s[4:5], 0x78
	s_load_dwordx8 s[20:27], s[4:5], 0x48
	s_load_dwordx8 s[36:43], s[4:5], 0x20
	s_addk_i32 s62, 0x400
	v_mov_b32_e32 v1, 0
	v_mov_b32_e32 v4, 0
	v_cmp_eq_u32_e64 s0, 63, v27
	v_lshlrev_b32_e32 v31, 3, v26
	v_cmp_gt_u32_e64 s1, 8, v0
	v_cmp_gt_u32_e64 s2, 4, v0
	v_cmp_gt_u32_e64 s3, 2, v0
	v_cmp_eq_u32_e64 s4, 0, v0
	v_cmp_gt_u32_e64 s5, s62, v30
	s_waitcnt lgkmcnt(0)
	v_subrev_nc_u32_e32 v32, s59, v27
	v_subrev_nc_u32_e32 v33, s60, v27
	;; [unrolled: 1-line block ×3, first 2 shown]
	v_cmp_eq_u32_e64 s6, 0, v27
	v_mov_b32_e32 v2, 0
	v_mov_b32_e32 v5, 0
	;; [unrolled: 1-line block ×3, first 2 shown]
	s_and_b32 s7, s54, s33
	s_xor_b32 s63, s54, -1
	s_xor_b32 s64, s7, -1
	s_mov_b32 s65, 0
	s_branch .LBB27_5
.LBB27_4:                               ;   in Loop: Header=BB27_5 Depth=1
	s_or_b32 exec_lo, exec_lo, s7
	s_and_b32 s7, exec_lo, s8
	s_or_b32 s57, s7, s57
	s_andn2_b32 exec_lo, exec_lo, s57
	s_cbranch_execz .LBB27_133
.LBB27_5:                               ; =>This Loop Header: Depth=1
                                        ;     Child Loop BB27_9 Depth 2
                                        ;       Child Loop BB27_14 Depth 3
                                        ;         Child Loop BB27_18 Depth 4
                                        ;         Child Loop BB27_39 Depth 4
                                        ;         Child Loop BB27_53 Depth 4
                                        ;         Child Loop BB27_72 Depth 4
                                        ;         Child Loop BB27_80 Depth 4
                                        ;     Child Loop BB27_112 Depth 2
                                        ;       Child Loop BB27_115 Depth 3
                                        ;       Child Loop BB27_118 Depth 3
	v_cndmask_b32_e64 v2, v2, 0, s54
	v_cndmask_b32_e64 v1, v1, 0, s54
	;; [unrolled: 1-line block ×4, first 2 shown]
	s_mov_b32 s66, 0
	s_branch .LBB27_9
.LBB27_6:                               ;   in Loop: Header=BB27_9 Depth=2
	s_or_b32 exec_lo, exec_lo, s69
.LBB27_7:                               ;   in Loop: Header=BB27_9 Depth=2
	s_or_b32 exec_lo, exec_lo, s68
.LBB27_8:                               ;   in Loop: Header=BB27_9 Depth=2
	s_or_b32 exec_lo, exec_lo, s67
	s_add_i32 s66, s66, 1
	s_cmp_eq_u32 s66, 64
	s_cbranch_scc1 .LBB27_85
.LBB27_9:                               ;   Parent Loop BB27_5 Depth=1
                                        ; =>  This Loop Header: Depth=2
                                        ;       Child Loop BB27_14 Depth 3
                                        ;         Child Loop BB27_18 Depth 4
                                        ;         Child Loop BB27_39 Depth 4
	;; [unrolled: 1-line block ×5, first 2 shown]
	v_lshl_add_u32 v8, s66, 4, v30
	s_mov_b32 s67, exec_lo
	v_cmpx_gt_i32_e64 s55, v8
	s_cbranch_execz .LBB27_8
; %bb.10:                               ;   in Loop: Header=BB27_9 Depth=2
	v_ashrrev_i32_e32 v9, 31, v8
	s_mov_b32 s68, exec_lo
	v_lshlrev_b64 v[10:11], 2, v[8:9]
	v_add_co_u32 v12, vcc_lo, s36, v10
	v_add_co_ci_u32_e64 v13, null, s37, v11, vcc_lo
	v_add_co_u32 v14, vcc_lo, s38, v10
	v_add_co_ci_u32_e64 v15, null, s39, v11, vcc_lo
	global_load_dword v3, v[12:13], off
	global_load_dword v6, v[14:15], off
	s_waitcnt vmcnt(1)
	v_add_nc_u32_e32 v9, v32, v3
	s_waitcnt vmcnt(0)
	v_subrev_nc_u32_e32 v3, s59, v6
	v_cmpx_lt_i32_e64 v9, v3
	s_cbranch_execz .LBB27_7
; %bb.11:                               ;   in Loop: Header=BB27_9 Depth=2
	v_add_co_u32 v12, vcc_lo, s20, v10
	v_add_co_ci_u32_e64 v13, null, s21, v11, vcc_lo
	v_add_co_u32 v10, vcc_lo, s22, v10
	v_add_co_ci_u32_e64 v11, null, s23, v11, vcc_lo
	global_load_dword v6, v[12:13], off
	s_mov_b32 s69, 0
	global_load_dword v10, v[10:11], off
	s_waitcnt vmcnt(1)
	v_subrev_nc_u32_e32 v11, s60, v6
	s_waitcnt vmcnt(0)
	v_sub_nc_u32_e32 v35, v10, v6
	v_ashrrev_i32_e32 v12, 31, v11
	v_cmp_lt_i32_e64 s7, 0, v35
	v_lshlrev_b64 v[13:14], 2, v[11:12]
	v_lshlrev_b64 v[15:16], 3, v[11:12]
	v_add_co_u32 v36, vcc_lo, s24, v13
	v_add_co_ci_u32_e64 v37, null, s25, v14, vcc_lo
	v_add_co_u32 v38, vcc_lo, s26, v15
	v_add_co_ci_u32_e64 v39, null, s27, v16, vcc_lo
	s_branch .LBB27_14
.LBB27_12:                              ;   in Loop: Header=BB27_14 Depth=3
	s_or_b32 exec_lo, exec_lo, s70
.LBB27_13:                              ;   in Loop: Header=BB27_14 Depth=3
	s_or_b32 exec_lo, exec_lo, s8
	v_add_nc_u32_e32 v9, 64, v9
	v_cmp_ge_i32_e32 vcc_lo, v9, v3
	s_or_b32 s69, vcc_lo, s69
	s_andn2_b32 exec_lo, exec_lo, s69
	s_cbranch_execz .LBB27_6
.LBB27_14:                              ;   Parent Loop BB27_5 Depth=1
                                        ;     Parent Loop BB27_9 Depth=2
                                        ; =>    This Loop Header: Depth=3
                                        ;         Child Loop BB27_18 Depth 4
                                        ;         Child Loop BB27_39 Depth 4
	;; [unrolled: 1-line block ×5, first 2 shown]
	v_ashrrev_i32_e32 v10, 31, v9
	v_mov_b32_e32 v19, 0
	v_lshlrev_b64 v[12:13], 2, v[9:10]
	v_add_co_u32 v12, vcc_lo, s40, v12
	v_add_co_ci_u32_e64 v13, null, s41, v13, vcc_lo
	global_load_dword v6, v[12:13], off
	s_waitcnt vmcnt(0)
	v_subrev_nc_u32_e32 v12, s59, v6
	v_ashrrev_i32_e32 v13, 31, v12
	v_lshlrev_b64 v[14:15], 2, v[12:13]
	v_add_co_u32 v16, vcc_lo, s12, v14
	v_add_co_ci_u32_e64 v17, null, s13, v15, vcc_lo
	v_add_co_u32 v14, vcc_lo, s14, v14
	v_add_co_ci_u32_e64 v15, null, s15, v15, vcc_lo
	global_load_dword v6, v[16:17], off
	global_load_dword v16, v[14:15], off
	v_mov_b32_e32 v14, 0
	v_mov_b32_e32 v15, 0
	s_waitcnt vmcnt(1)
	v_subrev_nc_u32_e32 v18, s61, v6
	s_waitcnt vmcnt(0)
	v_sub_nc_u32_e32 v40, v16, v6
	v_mov_b32_e32 v6, v19
	s_and_saveexec_b32 s70, s7
	s_cbranch_execz .LBB27_22
; %bb.15:                               ;   in Loop: Header=BB27_14 Depth=3
	v_ashrrev_i32_e32 v19, 31, v18
	v_mov_b32_e32 v14, 0
	v_mov_b32_e32 v15, 0
	;; [unrolled: 1-line block ×3, first 2 shown]
	s_mov_b32 s71, 0
	v_lshlrev_b64 v[16:17], 2, v[18:19]
	v_lshlrev_b64 v[19:20], 3, v[18:19]
                                        ; implicit-def: $sgpr72
	v_add_co_u32 v16, vcc_lo, s16, v16
	v_add_co_ci_u32_e64 v17, null, s17, v17, vcc_lo
	v_add_co_u32 v21, vcc_lo, s18, v19
	v_add_co_ci_u32_e64 v22, null, s19, v20, vcc_lo
	v_mov_b32_e32 v19, 0
	s_branch .LBB27_18
.LBB27_16:                              ;   in Loop: Header=BB27_18 Depth=4
	s_or_b32 exec_lo, exec_lo, s8
	v_cmp_le_i32_e32 vcc_lo, v23, v24
	v_cmp_ge_i32_e64 s8, v23, v24
	v_add_co_ci_u32_e64 v6, null, 0, v6, vcc_lo
	v_add_co_ci_u32_e64 v19, null, 0, v19, s8
	s_andn2_b32 s8, s72, exec_lo
	v_cmp_ge_i32_e32 vcc_lo, v6, v35
	s_and_b32 s72, vcc_lo, exec_lo
	s_or_b32 s72, s8, s72
.LBB27_17:                              ;   in Loop: Header=BB27_18 Depth=4
	s_or_b32 exec_lo, exec_lo, s73
	s_and_b32 s8, exec_lo, s72
	s_or_b32 s71, s8, s71
	s_andn2_b32 exec_lo, exec_lo, s71
	s_cbranch_execz .LBB27_21
.LBB27_18:                              ;   Parent Loop BB27_5 Depth=1
                                        ;     Parent Loop BB27_9 Depth=2
                                        ;       Parent Loop BB27_14 Depth=3
                                        ; =>      This Inner Loop Header: Depth=4
	s_or_b32 s72, s72, exec_lo
	s_mov_b32 s73, exec_lo
	v_cmpx_lt_i32_e64 v19, v40
	s_cbranch_execz .LBB27_17
; %bb.19:                               ;   in Loop: Header=BB27_18 Depth=4
	v_mov_b32_e32 v20, v7
	v_lshlrev_b64 v[23:24], 2, v[6:7]
	s_mov_b32 s8, exec_lo
	v_lshlrev_b64 v[41:42], 2, v[19:20]
	v_add_co_u32 v23, vcc_lo, v36, v23
	v_add_co_ci_u32_e64 v24, null, v37, v24, vcc_lo
	v_add_co_u32 v41, vcc_lo, v16, v41
	v_add_co_ci_u32_e64 v42, null, v17, v42, vcc_lo
	global_load_dword v23, v[23:24], off
	global_load_dword v24, v[41:42], off
	s_waitcnt vmcnt(1)
	v_subrev_nc_u32_e32 v23, s60, v23
	s_waitcnt vmcnt(0)
	v_subrev_nc_u32_e32 v24, s61, v24
	v_cmpx_eq_u32_e64 v23, v24
	s_cbranch_execz .LBB27_16
; %bb.20:                               ;   in Loop: Header=BB27_18 Depth=4
	v_lshlrev_b64 v[41:42], 3, v[6:7]
	v_lshlrev_b64 v[43:44], 3, v[19:20]
	v_add_co_u32 v41, vcc_lo, v38, v41
	v_add_co_ci_u32_e64 v42, null, v39, v42, vcc_lo
	v_add_co_u32 v43, vcc_lo, v21, v43
	v_add_co_ci_u32_e64 v44, null, v22, v44, vcc_lo
	global_load_dwordx2 v[41:42], v[41:42], off
	global_load_dwordx2 v[43:44], v[43:44], off
	s_waitcnt vmcnt(0)
	v_fma_f64 v[14:15], v[41:42], v[43:44], v[14:15]
	s_branch .LBB27_16
.LBB27_21:                              ;   in Loop: Header=BB27_14 Depth=3
	s_or_b32 exec_lo, exec_lo, s71
.LBB27_22:                              ;   in Loop: Header=BB27_14 Depth=3
	s_or_b32 exec_lo, exec_lo, s70
	v_lshlrev_b64 v[16:17], 3, v[9:10]
	v_cmp_le_i32_e64 s8, v8, v12
	s_mov_b32 s70, exec_lo
	v_add_co_u32 v16, vcc_lo, s42, v16
	v_add_co_ci_u32_e64 v17, null, s43, v17, vcc_lo
	global_load_dwordx2 v[16:17], v[16:17], off
	s_waitcnt vmcnt(0)
	v_add_f64 v[20:21], v[16:17], -v[14:15]
	v_cmpx_gt_i32_e64 v8, v12
	s_cbranch_execnz .LBB27_25
; %bb.23:                               ;   in Loop: Header=BB27_14 Depth=3
	s_or_b32 exec_lo, exec_lo, s70
	v_cmp_class_f64_e64 s70, v[20:21], 0x1f8
	s_and_saveexec_b32 s71, s70
	s_cbranch_execnz .LBB27_28
.LBB27_24:                              ;   in Loop: Header=BB27_14 Depth=3
	s_or_b32 exec_lo, exec_lo, s71
	s_and_b32 s70, s33, s70
	s_and_saveexec_b32 s8, s70
	s_cbranch_execz .LBB27_13
	s_branch .LBB27_63
.LBB27_25:                              ;   in Loop: Header=BB27_14 Depth=3
	v_lshlrev_b64 v[22:23], 3, v[12:13]
	v_mov_b32_e32 v24, 0
	v_mov_b32_e32 v25, 0
	s_mov_b32 s71, exec_lo
	v_add_co_u32 v22, vcc_lo, s48, v22
	v_add_co_ci_u32_e64 v23, null, s49, v23, vcc_lo
	global_load_dwordx2 v[22:23], v[22:23], off
	s_waitcnt vmcnt(0)
	v_cmpx_lg_f64_e32 0, v[22:23]
	s_cbranch_execz .LBB27_27
; %bb.26:                               ;   in Loop: Header=BB27_14 Depth=3
	v_div_scale_f64 v[24:25], null, v[22:23], v[22:23], v[20:21]
	v_rcp_f64_e32 v[41:42], v[24:25]
	v_fma_f64 v[43:44], -v[24:25], v[41:42], 1.0
	v_fma_f64 v[41:42], v[41:42], v[43:44], v[41:42]
	v_fma_f64 v[43:44], -v[24:25], v[41:42], 1.0
	v_fma_f64 v[41:42], v[41:42], v[43:44], v[41:42]
	v_div_scale_f64 v[43:44], vcc_lo, v[20:21], v[22:23], v[20:21]
	v_mul_f64 v[45:46], v[43:44], v[41:42]
	v_fma_f64 v[24:25], -v[24:25], v[45:46], v[43:44]
	v_div_fmas_f64 v[24:25], v[24:25], v[41:42], v[45:46]
	v_div_fixup_f64 v[24:25], v[24:25], v[22:23], v[20:21]
.LBB27_27:                              ;   in Loop: Header=BB27_14 Depth=3
	s_or_b32 exec_lo, exec_lo, s71
	v_mov_b32_e32 v20, v24
	v_mov_b32_e32 v21, v25
	s_or_b32 exec_lo, exec_lo, s70
	v_cmp_class_f64_e64 s70, v[20:21], 0x1f8
	s_and_saveexec_b32 s71, s70
	s_cbranch_execz .LBB27_24
.LBB27_28:                              ;   in Loop: Header=BB27_14 Depth=3
	s_and_saveexec_b32 s72, s8
	s_xor_b32 s8, exec_lo, s72
	s_cbranch_execz .LBB27_49
; %bb.29:                               ;   in Loop: Header=BB27_14 Depth=3
	s_mov_b32 s72, exec_lo
	v_cmpx_ge_i32_e64 v8, v12
	s_xor_b32 s72, exec_lo, s72
	s_cbranch_execz .LBB27_35
; %bb.30:                               ;   in Loop: Header=BB27_14 Depth=3
	v_lshlrev_b64 v[22:23], 3, v[12:13]
	v_add_co_u32 v24, vcc_lo, s50, v22
	v_add_co_ci_u32_e64 v25, null, s51, v23, vcc_lo
	s_andn2_b32 vcc_lo, exec_lo, s54
	global_store_dwordx2 v[24:25], v[20:21], off
	s_cbranch_vccnz .LBB27_34
; %bb.31:                               ;   in Loop: Header=BB27_14 Depth=3
	v_add_co_u32 v22, vcc_lo, s48, v22
	v_add_co_ci_u32_e64 v23, null, s49, v23, vcc_lo
	global_load_dwordx2 v[22:23], v[22:23], off
	s_waitcnt vmcnt(0)
	v_add_f64 v[20:21], v[22:23], -v[20:21]
	v_cmp_class_f64_e64 s74, v[20:21], 0x1f8
	s_and_saveexec_b32 s73, s74
	s_cbranch_execz .LBB27_33
; %bb.32:                               ;   in Loop: Header=BB27_14 Depth=3
	v_cmp_lt_f64_e64 vcc_lo, v[1:2], |v[20:21]|
	v_and_b32_e32 v10, 0x7fffffff, v21
	v_cndmask_b32_e32 v2, v2, v10, vcc_lo
	v_cndmask_b32_e32 v1, v1, v20, vcc_lo
.LBB27_33:                              ;   in Loop: Header=BB27_14 Depth=3
	s_or_b32 exec_lo, exec_lo, s73
.LBB27_34:                              ;   in Loop: Header=BB27_14 Depth=3
                                        ; implicit-def: $vgpr20_vgpr21
.LBB27_35:                              ;   in Loop: Header=BB27_14 Depth=3
	s_andn2_saveexec_b32 s72, s72
	s_cbranch_execz .LBB27_48
; %bb.36:                               ;   in Loop: Header=BB27_14 Depth=3
	s_mov_b32 s73, exec_lo
	v_cmpx_lt_i32_e64 v19, v40
	s_cbranch_execz .LBB27_47
; %bb.37:                               ;   in Loop: Header=BB27_14 Depth=3
	v_mov_b32_e32 v10, v19
	s_mov_b32 s74, 0
                                        ; implicit-def: $sgpr75
                                        ; implicit-def: $sgpr77
                                        ; implicit-def: $sgpr76
	s_inst_prefetch 0x1
	s_branch .LBB27_39
	.p2align	6
.LBB27_38:                              ;   in Loop: Header=BB27_39 Depth=4
	s_or_b32 exec_lo, exec_lo, s78
	s_and_b32 s78, exec_lo, s77
	s_or_b32 s74, s78, s74
	s_andn2_b32 s75, s75, exec_lo
	s_and_b32 s78, s76, exec_lo
	s_or_b32 s75, s75, s78
	s_andn2_b32 exec_lo, exec_lo, s74
	s_cbranch_execz .LBB27_41
.LBB27_39:                              ;   Parent Loop BB27_5 Depth=1
                                        ;     Parent Loop BB27_9 Depth=2
                                        ;       Parent Loop BB27_14 Depth=3
                                        ; =>      This Inner Loop Header: Depth=4
	v_add_nc_u32_e32 v22, v18, v10
	s_or_b32 s76, s76, exec_lo
	s_or_b32 s77, s77, exec_lo
	s_mov_b32 s78, exec_lo
	v_ashrrev_i32_e32 v23, 31, v22
	v_lshlrev_b64 v[24:25], 2, v[22:23]
	v_add_co_u32 v24, vcc_lo, s16, v24
	v_add_co_ci_u32_e64 v25, null, s17, v25, vcc_lo
	global_load_dword v24, v[24:25], off
	s_waitcnt vmcnt(0)
	v_subrev_nc_u32_e32 v24, s61, v24
	v_cmpx_ne_u32_e64 v24, v8
	s_cbranch_execz .LBB27_38
; %bb.40:                               ;   in Loop: Header=BB27_39 Depth=4
	v_add_nc_u32_e32 v10, 1, v10
	s_andn2_b32 s77, s77, exec_lo
	s_andn2_b32 s76, s76, exec_lo
	v_cmp_ge_i32_e32 vcc_lo, v10, v40
	s_and_b32 s79, vcc_lo, exec_lo
	s_or_b32 s77, s77, s79
	s_branch .LBB27_38
.LBB27_41:                              ;   in Loop: Header=BB27_14 Depth=3
	s_inst_prefetch 0x2
	s_or_b32 exec_lo, exec_lo, s74
	s_and_saveexec_b32 s74, s75
	s_xor_b32 s74, exec_lo, s74
	s_cbranch_execz .LBB27_46
; %bb.42:                               ;   in Loop: Header=BB27_14 Depth=3
	v_lshlrev_b64 v[22:23], 3, v[22:23]
	v_add_co_u32 v24, vcc_lo, s10, v22
	v_add_co_ci_u32_e64 v25, null, s11, v23, vcc_lo
	s_andn2_b32 vcc_lo, exec_lo, s54
	global_store_dwordx2 v[24:25], v[20:21], off
	s_cbranch_vccnz .LBB27_46
; %bb.43:                               ;   in Loop: Header=BB27_14 Depth=3
	v_add_co_u32 v22, vcc_lo, s18, v22
	v_add_co_ci_u32_e64 v23, null, s19, v23, vcc_lo
	global_load_dwordx2 v[22:23], v[22:23], off
	s_waitcnt vmcnt(0)
	v_add_f64 v[20:21], v[22:23], -v[20:21]
	v_cmp_class_f64_e64 s76, v[20:21], 0x1f8
	s_and_saveexec_b32 s75, s76
	s_cbranch_execz .LBB27_45
; %bb.44:                               ;   in Loop: Header=BB27_14 Depth=3
	v_cmp_lt_f64_e64 vcc_lo, v[1:2], |v[20:21]|
	v_and_b32_e32 v10, 0x7fffffff, v21
	v_cndmask_b32_e32 v2, v2, v10, vcc_lo
	v_cndmask_b32_e32 v1, v1, v20, vcc_lo
.LBB27_45:                              ;   in Loop: Header=BB27_14 Depth=3
	s_or_b32 exec_lo, exec_lo, s75
.LBB27_46:                              ;   in Loop: Header=BB27_14 Depth=3
	s_or_b32 exec_lo, exec_lo, s74
.LBB27_47:                              ;   in Loop: Header=BB27_14 Depth=3
	s_or_b32 exec_lo, exec_lo, s73
.LBB27_48:                              ;   in Loop: Header=BB27_14 Depth=3
	s_or_b32 exec_lo, exec_lo, s72
                                        ; implicit-def: $vgpr20_vgpr21
.LBB27_49:                              ;   in Loop: Header=BB27_14 Depth=3
	s_andn2_saveexec_b32 s8, s8
	s_cbranch_execz .LBB27_62
; %bb.50:                               ;   in Loop: Header=BB27_14 Depth=3
	s_mov_b32 s72, exec_lo
	v_cmpx_lt_i32_e64 v6, v35
	s_cbranch_execz .LBB27_61
; %bb.51:                               ;   in Loop: Header=BB27_14 Depth=3
	v_mov_b32_e32 v10, v6
	s_mov_b32 s73, 0
                                        ; implicit-def: $sgpr74
                                        ; implicit-def: $sgpr76
                                        ; implicit-def: $sgpr75
	s_inst_prefetch 0x1
	s_branch .LBB27_53
	.p2align	6
.LBB27_52:                              ;   in Loop: Header=BB27_53 Depth=4
	s_or_b32 exec_lo, exec_lo, s77
	s_and_b32 s77, exec_lo, s76
	s_or_b32 s73, s77, s73
	s_andn2_b32 s74, s74, exec_lo
	s_and_b32 s77, s75, exec_lo
	s_or_b32 s74, s74, s77
	s_andn2_b32 exec_lo, exec_lo, s73
	s_cbranch_execz .LBB27_55
.LBB27_53:                              ;   Parent Loop BB27_5 Depth=1
                                        ;     Parent Loop BB27_9 Depth=2
                                        ;       Parent Loop BB27_14 Depth=3
                                        ; =>      This Inner Loop Header: Depth=4
	v_add_nc_u32_e32 v22, v11, v10
	s_or_b32 s75, s75, exec_lo
	s_or_b32 s76, s76, exec_lo
	s_mov_b32 s77, exec_lo
	v_ashrrev_i32_e32 v23, 31, v22
	v_lshlrev_b64 v[24:25], 2, v[22:23]
	v_add_co_u32 v24, vcc_lo, s24, v24
	v_add_co_ci_u32_e64 v25, null, s25, v25, vcc_lo
	global_load_dword v24, v[24:25], off
	s_waitcnt vmcnt(0)
	v_subrev_nc_u32_e32 v24, s60, v24
	v_cmpx_ne_u32_e64 v24, v12
	s_cbranch_execz .LBB27_52
; %bb.54:                               ;   in Loop: Header=BB27_53 Depth=4
	v_add_nc_u32_e32 v10, 1, v10
	s_andn2_b32 s76, s76, exec_lo
	s_andn2_b32 s75, s75, exec_lo
	v_cmp_ge_i32_e32 vcc_lo, v10, v35
	s_and_b32 s78, vcc_lo, exec_lo
	s_or_b32 s76, s76, s78
	s_branch .LBB27_52
.LBB27_55:                              ;   in Loop: Header=BB27_14 Depth=3
	s_inst_prefetch 0x2
	s_or_b32 exec_lo, exec_lo, s73
	s_and_saveexec_b32 s73, s74
	s_xor_b32 s73, exec_lo, s73
	s_cbranch_execz .LBB27_60
; %bb.56:                               ;   in Loop: Header=BB27_14 Depth=3
	v_lshlrev_b64 v[22:23], 3, v[22:23]
	v_add_co_u32 v24, vcc_lo, s34, v22
	v_add_co_ci_u32_e64 v25, null, s35, v23, vcc_lo
	s_andn2_b32 vcc_lo, exec_lo, s54
	global_store_dwordx2 v[24:25], v[20:21], off
	s_cbranch_vccnz .LBB27_60
; %bb.57:                               ;   in Loop: Header=BB27_14 Depth=3
	v_add_co_u32 v22, vcc_lo, s26, v22
	v_add_co_ci_u32_e64 v23, null, s27, v23, vcc_lo
	global_load_dwordx2 v[22:23], v[22:23], off
	s_waitcnt vmcnt(0)
	v_add_f64 v[20:21], v[22:23], -v[20:21]
	v_cmp_class_f64_e64 s75, v[20:21], 0x1f8
	s_and_saveexec_b32 s74, s75
	s_cbranch_execz .LBB27_59
; %bb.58:                               ;   in Loop: Header=BB27_14 Depth=3
	v_cmp_lt_f64_e64 vcc_lo, v[1:2], |v[20:21]|
	v_and_b32_e32 v10, 0x7fffffff, v21
	v_cndmask_b32_e32 v2, v2, v10, vcc_lo
	v_cndmask_b32_e32 v1, v1, v20, vcc_lo
.LBB27_59:                              ;   in Loop: Header=BB27_14 Depth=3
	s_or_b32 exec_lo, exec_lo, s74
.LBB27_60:                              ;   in Loop: Header=BB27_14 Depth=3
	s_or_b32 exec_lo, exec_lo, s73
.LBB27_61:                              ;   in Loop: Header=BB27_14 Depth=3
	s_or_b32 exec_lo, exec_lo, s72
.LBB27_62:                              ;   in Loop: Header=BB27_14 Depth=3
	s_or_b32 exec_lo, exec_lo, s8
	s_or_b32 exec_lo, exec_lo, s71
	s_and_b32 s70, s33, s70
	s_and_saveexec_b32 s8, s70
	s_cbranch_execz .LBB27_13
.LBB27_63:                              ;   in Loop: Header=BB27_14 Depth=3
	s_mov_b32 s70, exec_lo
	v_cmpx_ge_i32_e64 v19, v40
	s_xor_b32 s70, exec_lo, s70
	s_cbranch_execnz .LBB27_69
; %bb.64:                               ;   in Loop: Header=BB27_14 Depth=3
	s_andn2_saveexec_b32 s70, s70
	s_cbranch_execnz .LBB27_78
.LBB27_65:                              ;   in Loop: Header=BB27_14 Depth=3
	s_or_b32 exec_lo, exec_lo, s70
	s_mov_b32 s70, exec_lo
	v_cmpx_eq_u32_e64 v8, v12
	s_cbranch_execz .LBB27_67
.LBB27_66:                              ;   in Loop: Header=BB27_14 Depth=3
	v_lshlrev_b64 v[12:13], 3, v[12:13]
	v_add_co_u32 v12, vcc_lo, s48, v12
	v_add_co_ci_u32_e64 v13, null, s49, v13, vcc_lo
	global_load_dwordx2 v[12:13], v[12:13], off
	s_waitcnt vmcnt(0)
	v_add_f64 v[14:15], v[14:15], v[12:13]
.LBB27_67:                              ;   in Loop: Header=BB27_14 Depth=3
	s_or_b32 exec_lo, exec_lo, s70
	v_add_f64 v[12:13], v[16:17], -v[14:15]
	v_cmp_class_f64_e64 s71, v[12:13], 0x1f8
	s_and_saveexec_b32 s70, s71
	s_cbranch_execz .LBB27_12
; %bb.68:                               ;   in Loop: Header=BB27_14 Depth=3
	v_cmp_lt_f64_e64 vcc_lo, v[4:5], |v[12:13]|
	v_and_b32_e32 v6, 0x7fffffff, v13
	v_cndmask_b32_e32 v5, v5, v6, vcc_lo
	v_cndmask_b32_e32 v4, v4, v12, vcc_lo
	s_branch .LBB27_12
.LBB27_69:                              ;   in Loop: Header=BB27_14 Depth=3
	s_mov_b32 s71, exec_lo
	v_cmpx_lt_i32_e64 v6, v35
	s_cbranch_execz .LBB27_77
; %bb.70:                               ;   in Loop: Header=BB27_14 Depth=3
	s_mov_b32 s72, 0
                                        ; implicit-def: $sgpr73
                                        ; implicit-def: $sgpr75
                                        ; implicit-def: $sgpr74
	s_inst_prefetch 0x1
	s_branch .LBB27_72
	.p2align	6
.LBB27_71:                              ;   in Loop: Header=BB27_72 Depth=4
	s_or_b32 exec_lo, exec_lo, s76
	s_and_b32 s76, exec_lo, s75
	s_or_b32 s72, s76, s72
	s_andn2_b32 s73, s73, exec_lo
	s_and_b32 s76, s74, exec_lo
	s_or_b32 s73, s73, s76
	s_andn2_b32 exec_lo, exec_lo, s72
	s_cbranch_execz .LBB27_74
.LBB27_72:                              ;   Parent Loop BB27_5 Depth=1
                                        ;     Parent Loop BB27_9 Depth=2
                                        ;       Parent Loop BB27_14 Depth=3
                                        ; =>      This Inner Loop Header: Depth=4
	v_add_nc_u32_e32 v18, v11, v6
	s_or_b32 s74, s74, exec_lo
	s_or_b32 s75, s75, exec_lo
	s_mov_b32 s76, exec_lo
	v_ashrrev_i32_e32 v19, 31, v18
	v_lshlrev_b64 v[20:21], 2, v[18:19]
	v_add_co_u32 v20, vcc_lo, s24, v20
	v_add_co_ci_u32_e64 v21, null, s25, v21, vcc_lo
	global_load_dword v10, v[20:21], off
	s_waitcnt vmcnt(0)
	v_subrev_nc_u32_e32 v10, s60, v10
	v_cmpx_ne_u32_e64 v10, v12
	s_cbranch_execz .LBB27_71
; %bb.73:                               ;   in Loop: Header=BB27_72 Depth=4
	v_add_nc_u32_e32 v6, 1, v6
	s_andn2_b32 s75, s75, exec_lo
	s_andn2_b32 s74, s74, exec_lo
	v_cmp_ge_i32_e32 vcc_lo, v6, v35
	s_and_b32 s77, vcc_lo, exec_lo
	s_or_b32 s75, s75, s77
	s_branch .LBB27_71
.LBB27_74:                              ;   in Loop: Header=BB27_14 Depth=3
	s_inst_prefetch 0x2
	s_or_b32 exec_lo, exec_lo, s72
	s_and_saveexec_b32 s72, s73
	s_xor_b32 s72, exec_lo, s72
	s_cbranch_execz .LBB27_76
; %bb.75:                               ;   in Loop: Header=BB27_14 Depth=3
	v_lshlrev_b64 v[18:19], 3, v[18:19]
	v_lshlrev_b64 v[20:21], 3, v[12:13]
	v_add_co_u32 v18, vcc_lo, s26, v18
	v_add_co_ci_u32_e64 v19, null, s27, v19, vcc_lo
	v_add_co_u32 v20, vcc_lo, s48, v20
	v_add_co_ci_u32_e64 v21, null, s49, v21, vcc_lo
	global_load_dwordx2 v[18:19], v[18:19], off
	global_load_dwordx2 v[20:21], v[20:21], off
	s_waitcnt vmcnt(0)
	v_fma_f64 v[14:15], v[18:19], v[20:21], v[14:15]
.LBB27_76:                              ;   in Loop: Header=BB27_14 Depth=3
	s_or_b32 exec_lo, exec_lo, s72
.LBB27_77:                              ;   in Loop: Header=BB27_14 Depth=3
	s_or_b32 exec_lo, exec_lo, s71
                                        ; implicit-def: $vgpr19
                                        ; implicit-def: $vgpr18
                                        ; implicit-def: $vgpr40
	s_andn2_saveexec_b32 s70, s70
	s_cbranch_execz .LBB27_65
.LBB27_78:                              ;   in Loop: Header=BB27_14 Depth=3
	s_mov_b32 s71, 0
                                        ; implicit-def: $sgpr72
                                        ; implicit-def: $sgpr74
                                        ; implicit-def: $sgpr73
	s_inst_prefetch 0x1
	s_branch .LBB27_80
	.p2align	6
.LBB27_79:                              ;   in Loop: Header=BB27_80 Depth=4
	s_or_b32 exec_lo, exec_lo, s75
	s_and_b32 s75, exec_lo, s74
	s_or_b32 s71, s75, s71
	s_andn2_b32 s72, s72, exec_lo
	s_and_b32 s75, s73, exec_lo
	s_or_b32 s72, s72, s75
	s_andn2_b32 exec_lo, exec_lo, s71
	s_cbranch_execz .LBB27_82
.LBB27_80:                              ;   Parent Loop BB27_5 Depth=1
                                        ;     Parent Loop BB27_9 Depth=2
                                        ;       Parent Loop BB27_14 Depth=3
                                        ; =>      This Inner Loop Header: Depth=4
	v_add_nc_u32_e32 v20, v18, v19
	s_or_b32 s73, s73, exec_lo
	s_or_b32 s74, s74, exec_lo
	s_mov_b32 s75, exec_lo
	v_ashrrev_i32_e32 v21, 31, v20
	v_lshlrev_b64 v[22:23], 2, v[20:21]
	v_add_co_u32 v22, vcc_lo, s16, v22
	v_add_co_ci_u32_e64 v23, null, s17, v23, vcc_lo
	global_load_dword v6, v[22:23], off
	s_waitcnt vmcnt(0)
	v_subrev_nc_u32_e32 v6, s61, v6
	v_cmpx_ne_u32_e64 v6, v8
	s_cbranch_execz .LBB27_79
; %bb.81:                               ;   in Loop: Header=BB27_80 Depth=4
	v_add_nc_u32_e32 v19, 1, v19
	s_andn2_b32 s74, s74, exec_lo
	s_andn2_b32 s73, s73, exec_lo
	v_cmp_ge_i32_e32 vcc_lo, v19, v40
	s_and_b32 s76, vcc_lo, exec_lo
	s_or_b32 s74, s74, s76
	s_branch .LBB27_79
.LBB27_82:                              ;   in Loop: Header=BB27_14 Depth=3
	s_inst_prefetch 0x2
	s_or_b32 exec_lo, exec_lo, s71
	s_and_saveexec_b32 s71, s72
	s_xor_b32 s71, exec_lo, s71
	s_cbranch_execz .LBB27_84
; %bb.83:                               ;   in Loop: Header=BB27_14 Depth=3
	v_lshlrev_b64 v[18:19], 3, v[20:21]
	v_add_co_u32 v18, vcc_lo, s18, v18
	v_add_co_ci_u32_e64 v19, null, s19, v19, vcc_lo
	global_load_dwordx2 v[18:19], v[18:19], off
	s_waitcnt vmcnt(0)
	v_add_f64 v[14:15], v[14:15], v[18:19]
.LBB27_84:                              ;   in Loop: Header=BB27_14 Depth=3
	s_or_b32 exec_lo, exec_lo, s71
	s_or_b32 exec_lo, exec_lo, s70
	s_mov_b32 s70, exec_lo
	v_cmpx_eq_u32_e64 v8, v12
	s_cbranch_execnz .LBB27_66
	s_branch .LBB27_67
.LBB27_85:                              ;   in Loop: Header=BB27_5 Depth=1
	v_or_b32_e32 v13, 32, v28
	v_xor_b32_e32 v12, 16, v28
	v_xor_b32_e32 v11, 8, v28
	;; [unrolled: 1-line block ×5, first 2 shown]
	s_and_b32 vcc_lo, exec_lo, s54
	s_cbranch_vccnz .LBB27_88
; %bb.86:                               ;   in Loop: Header=BB27_5 Depth=1
	s_andn2_b32 vcc_lo, exec_lo, s33
	s_cbranch_vccz .LBB27_99
.LBB27_87:                              ;   in Loop: Header=BB27_5 Depth=1
	s_and_saveexec_b32 s8, s5
	s_cbranch_execnz .LBB27_110
	s_branch .LBB27_121
.LBB27_88:                              ;   in Loop: Header=BB27_5 Depth=1
	v_cmp_gt_i32_e32 vcc_lo, 32, v13
	v_cmp_gt_i32_e64 s7, 32, v12
	v_cndmask_b32_e32 v8, v28, v13, vcc_lo
	v_cndmask_b32_e64 v14, v28, v12, s7
	v_cmp_gt_i32_e64 s7, 32, v11
	v_lshlrev_b32_e32 v9, 2, v8
	v_lshlrev_b32_e32 v14, 2, v14
	ds_bpermute_b32 v8, v9, v1
	ds_bpermute_b32 v9, v9, v2
	s_waitcnt lgkmcnt(0)
	v_cmp_lt_f64_e32 vcc_lo, v[1:2], v[8:9]
	v_cndmask_b32_e32 v2, v2, v9, vcc_lo
	v_cndmask_b32_e32 v1, v1, v8, vcc_lo
	ds_bpermute_b32 v9, v14, v2
	ds_bpermute_b32 v8, v14, v1
	v_cndmask_b32_e64 v14, v28, v11, s7
	v_cmp_gt_i32_e64 s7, 32, v10
	v_lshlrev_b32_e32 v14, 2, v14
	s_waitcnt lgkmcnt(0)
	v_cmp_lt_f64_e32 vcc_lo, v[1:2], v[8:9]
	v_cndmask_b32_e32 v2, v2, v9, vcc_lo
	v_cndmask_b32_e32 v1, v1, v8, vcc_lo
	ds_bpermute_b32 v9, v14, v2
	ds_bpermute_b32 v8, v14, v1
	v_cndmask_b32_e64 v14, v28, v10, s7
	v_cmp_gt_i32_e64 s7, 32, v6
	v_lshlrev_b32_e32 v14, 2, v14
	;; [unrolled: 9-line block ×3, first 2 shown]
	s_waitcnt lgkmcnt(0)
	v_cmp_lt_f64_e32 vcc_lo, v[1:2], v[8:9]
	v_cndmask_b32_e32 v2, v2, v9, vcc_lo
	v_cndmask_b32_e32 v1, v1, v8, vcc_lo
	ds_bpermute_b32 v9, v14, v2
	ds_bpermute_b32 v8, v14, v1
	v_cndmask_b32_e64 v14, v28, v3, s7
	v_lshlrev_b32_e32 v14, 2, v14
	s_waitcnt lgkmcnt(0)
	v_cmp_lt_f64_e32 vcc_lo, v[1:2], v[8:9]
	v_cndmask_b32_e32 v2, v2, v9, vcc_lo
	v_cndmask_b32_e32 v1, v1, v8, vcc_lo
	ds_bpermute_b32 v8, v14, v1
	ds_bpermute_b32 v14, v14, v2
	s_and_saveexec_b32 s7, s0
	s_cbranch_execz .LBB27_90
; %bb.89:                               ;   in Loop: Header=BB27_5 Depth=1
	s_waitcnt lgkmcnt(0)
	v_mov_b32_e32 v9, v14
	v_cmp_lt_f64_e32 vcc_lo, v[1:2], v[8:9]
	v_cndmask_b32_e32 v2, v2, v14, vcc_lo
	v_cndmask_b32_e32 v1, v1, v8, vcc_lo
	ds_write_b64 v31, v[1:2]
.LBB27_90:                              ;   in Loop: Header=BB27_5 Depth=1
	s_or_b32 exec_lo, exec_lo, s7
	s_waitcnt lgkmcnt(0)
	s_waitcnt_vscnt null, 0x0
	s_barrier
	buffer_gl0_inv
	s_and_saveexec_b32 s7, s1
	s_cbranch_execz .LBB27_92
; %bb.91:                               ;   in Loop: Header=BB27_5 Depth=1
	ds_read2_b64 v[14:17], v29 offset1:8
	s_waitcnt lgkmcnt(0)
	v_cmp_lt_f64_e32 vcc_lo, v[14:15], v[16:17]
	v_cndmask_b32_e32 v2, v15, v17, vcc_lo
	v_cndmask_b32_e32 v1, v14, v16, vcc_lo
	ds_write_b64 v29, v[1:2]
.LBB27_92:                              ;   in Loop: Header=BB27_5 Depth=1
	s_or_b32 exec_lo, exec_lo, s7
	s_waitcnt lgkmcnt(0)
	s_barrier
	buffer_gl0_inv
	s_and_saveexec_b32 s7, s2
	s_cbranch_execz .LBB27_94
; %bb.93:                               ;   in Loop: Header=BB27_5 Depth=1
	ds_read2_b64 v[14:17], v29 offset1:4
	s_waitcnt lgkmcnt(0)
	v_cmp_lt_f64_e32 vcc_lo, v[14:15], v[16:17]
	v_cndmask_b32_e32 v2, v15, v17, vcc_lo
	v_cndmask_b32_e32 v1, v14, v16, vcc_lo
	ds_write_b64 v29, v[1:2]
.LBB27_94:                              ;   in Loop: Header=BB27_5 Depth=1
	s_or_b32 exec_lo, exec_lo, s7
	s_waitcnt lgkmcnt(0)
	;; [unrolled: 14-line block ×3, first 2 shown]
	s_barrier
	buffer_gl0_inv
	s_and_saveexec_b32 s7, s4
	s_cbranch_execz .LBB27_98
; %bb.97:                               ;   in Loop: Header=BB27_5 Depth=1
	ds_read_b128 v[14:17], v7
	s_waitcnt lgkmcnt(0)
	v_cmp_lt_f64_e32 vcc_lo, v[14:15], v[16:17]
	v_cndmask_b32_e32 v2, v15, v17, vcc_lo
	v_cndmask_b32_e32 v1, v14, v16, vcc_lo
	ds_write_b64 v7, v[1:2]
.LBB27_98:                              ;   in Loop: Header=BB27_5 Depth=1
	s_or_b32 exec_lo, exec_lo, s7
	s_waitcnt lgkmcnt(0)
	s_barrier
	buffer_gl0_inv
	ds_read_b64 v[1:2], v7
	s_load_dwordx2 s[66:67], s[52:53], 0x0
	s_waitcnt lgkmcnt(0)
	v_div_scale_f64 v[8:9], null, s[66:67], s[66:67], v[1:2]
	v_rcp_f64_e32 v[14:15], v[8:9]
	v_fma_f64 v[16:17], -v[8:9], v[14:15], 1.0
	v_fma_f64 v[14:15], v[14:15], v[16:17], v[14:15]
	v_fma_f64 v[16:17], -v[8:9], v[14:15], 1.0
	v_fma_f64 v[14:15], v[14:15], v[16:17], v[14:15]
	v_div_scale_f64 v[16:17], vcc_lo, v[1:2], s[66:67], v[1:2]
	v_mul_f64 v[18:19], v[16:17], v[14:15]
	v_fma_f64 v[8:9], -v[8:9], v[18:19], v[16:17]
	v_div_fmas_f64 v[8:9], v[8:9], v[14:15], v[18:19]
	v_div_fixup_f64 v[1:2], v[8:9], s[66:67], v[1:2]
	s_andn2_b32 vcc_lo, exec_lo, s33
	s_cbranch_vccnz .LBB27_87
.LBB27_99:                              ;   in Loop: Header=BB27_5 Depth=1
	v_cmp_gt_i32_e32 vcc_lo, 32, v13
	v_cmp_gt_i32_e64 s7, 32, v12
	v_cndmask_b32_e32 v8, v28, v13, vcc_lo
	v_cndmask_b32_e64 v12, v28, v12, s7
	v_cmp_gt_i32_e64 s7, 32, v11
	v_lshlrev_b32_e32 v9, 2, v8
	v_lshlrev_b32_e32 v12, 2, v12
	v_cndmask_b32_e64 v11, v28, v11, s7
	v_cmp_gt_i32_e64 s7, 32, v10
	ds_bpermute_b32 v8, v9, v4
	ds_bpermute_b32 v9, v9, v5
	v_lshlrev_b32_e32 v11, 2, v11
	v_cndmask_b32_e64 v10, v28, v10, s7
	v_cmp_gt_i32_e64 s7, 32, v6
	v_lshlrev_b32_e32 v10, 2, v10
	v_cndmask_b32_e64 v6, v28, v6, s7
	v_cmp_gt_i32_e64 s7, 32, v3
	v_cndmask_b32_e64 v3, v28, v3, s7
	s_waitcnt lgkmcnt(0)
	v_cmp_lt_f64_e32 vcc_lo, v[4:5], v[8:9]
	v_cndmask_b32_e32 v5, v5, v9, vcc_lo
	v_cndmask_b32_e32 v4, v4, v8, vcc_lo
	ds_bpermute_b32 v9, v12, v5
	ds_bpermute_b32 v8, v12, v4
	s_waitcnt lgkmcnt(0)
	v_cmp_lt_f64_e32 vcc_lo, v[4:5], v[8:9]
	v_cndmask_b32_e32 v5, v5, v9, vcc_lo
	v_cndmask_b32_e32 v4, v4, v8, vcc_lo
	ds_bpermute_b32 v9, v11, v5
	ds_bpermute_b32 v8, v11, v4
	;; [unrolled: 6-line block ×3, first 2 shown]
	v_lshlrev_b32_e32 v10, 2, v6
	s_waitcnt lgkmcnt(0)
	v_cmp_lt_f64_e32 vcc_lo, v[4:5], v[8:9]
	v_cndmask_b32_e32 v6, v5, v9, vcc_lo
	v_cndmask_b32_e32 v5, v4, v8, vcc_lo
	ds_bpermute_b32 v9, v10, v6
	ds_bpermute_b32 v8, v10, v5
	v_lshlrev_b32_e32 v10, 2, v3
	s_waitcnt lgkmcnt(0)
	v_cmp_lt_f64_e32 vcc_lo, v[5:6], v[8:9]
	v_cndmask_b32_e32 v4, v6, v9, vcc_lo
	v_cndmask_b32_e32 v3, v5, v8, vcc_lo
	ds_bpermute_b32 v8, v10, v4
	ds_bpermute_b32 v5, v10, v3
	s_and_saveexec_b32 s7, s0
	s_cbranch_execz .LBB27_101
; %bb.100:                              ;   in Loop: Header=BB27_5 Depth=1
	s_waitcnt lgkmcnt(1)
	v_mov_b32_e32 v6, v8
	s_waitcnt lgkmcnt(0)
	v_cmp_lt_f64_e32 vcc_lo, v[3:4], v[5:6]
	v_cndmask_b32_e32 v4, v4, v8, vcc_lo
	v_cndmask_b32_e32 v3, v3, v5, vcc_lo
	ds_write_b64 v31, v[3:4]
.LBB27_101:                             ;   in Loop: Header=BB27_5 Depth=1
	s_or_b32 exec_lo, exec_lo, s7
	s_waitcnt lgkmcnt(0)
	s_waitcnt_vscnt null, 0x0
	s_barrier
	buffer_gl0_inv
	s_and_saveexec_b32 s7, s1
	s_cbranch_execz .LBB27_103
; %bb.102:                              ;   in Loop: Header=BB27_5 Depth=1
	ds_read2_b64 v[3:6], v29 offset1:8
	s_waitcnt lgkmcnt(0)
	v_cmp_lt_f64_e32 vcc_lo, v[3:4], v[5:6]
	v_cndmask_b32_e32 v4, v4, v6, vcc_lo
	v_cndmask_b32_e32 v3, v3, v5, vcc_lo
	ds_write_b64 v29, v[3:4]
.LBB27_103:                             ;   in Loop: Header=BB27_5 Depth=1
	s_or_b32 exec_lo, exec_lo, s7
	s_waitcnt lgkmcnt(0)
	s_barrier
	buffer_gl0_inv
	s_and_saveexec_b32 s7, s2
	s_cbranch_execz .LBB27_105
; %bb.104:                              ;   in Loop: Header=BB27_5 Depth=1
	ds_read2_b64 v[3:6], v29 offset1:4
	s_waitcnt lgkmcnt(0)
	v_cmp_lt_f64_e32 vcc_lo, v[3:4], v[5:6]
	v_cndmask_b32_e32 v4, v4, v6, vcc_lo
	v_cndmask_b32_e32 v3, v3, v5, vcc_lo
	ds_write_b64 v29, v[3:4]
.LBB27_105:                             ;   in Loop: Header=BB27_5 Depth=1
	s_or_b32 exec_lo, exec_lo, s7
	s_waitcnt lgkmcnt(0)
	;; [unrolled: 14-line block ×3, first 2 shown]
	s_barrier
	buffer_gl0_inv
	s_and_saveexec_b32 s7, s4
	s_cbranch_execz .LBB27_109
; %bb.108:                              ;   in Loop: Header=BB27_5 Depth=1
	ds_read_b128 v[3:6], v7
	s_waitcnt lgkmcnt(0)
	v_cmp_lt_f64_e32 vcc_lo, v[3:4], v[5:6]
	v_cndmask_b32_e32 v4, v4, v6, vcc_lo
	v_cndmask_b32_e32 v3, v3, v5, vcc_lo
	ds_write_b64 v7, v[3:4]
.LBB27_109:                             ;   in Loop: Header=BB27_5 Depth=1
	s_or_b32 exec_lo, exec_lo, s7
	s_waitcnt lgkmcnt(0)
	s_barrier
	buffer_gl0_inv
	ds_read_b64 v[3:4], v7
	s_load_dwordx2 s[66:67], s[52:53], 0x0
	s_waitcnt lgkmcnt(0)
	v_div_scale_f64 v[5:6], null, s[66:67], s[66:67], v[3:4]
	v_rcp_f64_e32 v[8:9], v[5:6]
	v_fma_f64 v[10:11], -v[5:6], v[8:9], 1.0
	v_fma_f64 v[8:9], v[8:9], v[10:11], v[8:9]
	v_fma_f64 v[10:11], -v[5:6], v[8:9], 1.0
	v_fma_f64 v[8:9], v[8:9], v[10:11], v[8:9]
	v_div_scale_f64 v[10:11], vcc_lo, v[3:4], s[66:67], v[3:4]
	v_mul_f64 v[12:13], v[10:11], v[8:9]
	v_fma_f64 v[5:6], -v[5:6], v[12:13], v[10:11]
	v_div_fmas_f64 v[5:6], v[5:6], v[8:9], v[12:13]
	v_div_fixup_f64 v[4:5], v[5:6], s[66:67], v[3:4]
	s_and_saveexec_b32 s8, s5
	s_cbranch_execz .LBB27_121
.LBB27_110:                             ;   in Loop: Header=BB27_5 Depth=1
	v_mov_b32_e32 v8, v30
	s_mov_b32 s66, 0
	s_branch .LBB27_112
.LBB27_111:                             ;   in Loop: Header=BB27_112 Depth=2
	s_or_b32 exec_lo, exec_lo, s67
	v_add_nc_u32_e32 v8, 16, v8
	v_cmp_le_u32_e32 vcc_lo, s62, v8
	s_or_b32 s66, vcc_lo, s66
	s_andn2_b32 exec_lo, exec_lo, s66
	s_cbranch_execz .LBB27_121
.LBB27_112:                             ;   Parent Loop BB27_5 Depth=1
                                        ; =>  This Loop Header: Depth=2
                                        ;       Child Loop BB27_115 Depth 3
                                        ;       Child Loop BB27_118 Depth 3
	s_mov_b32 s67, exec_lo
	v_cmpx_gt_i32_e64 s55, v8
	s_cbranch_execz .LBB27_111
; %bb.113:                              ;   in Loop: Header=BB27_112 Depth=2
	v_ashrrev_i32_e32 v9, 31, v8
	s_mov_b32 s68, exec_lo
	v_lshlrev_b64 v[10:11], 2, v[8:9]
	v_add_co_u32 v12, vcc_lo, s20, v10
	v_add_co_ci_u32_e64 v13, null, s21, v11, vcc_lo
	v_add_co_u32 v14, vcc_lo, s22, v10
	v_add_co_ci_u32_e64 v15, null, s23, v11, vcc_lo
	global_load_dword v3, v[12:13], off
	global_load_dword v6, v[14:15], off
	s_waitcnt vmcnt(1)
	v_add_nc_u32_e32 v12, v33, v3
	s_waitcnt vmcnt(0)
	v_subrev_nc_u32_e32 v3, s60, v6
	v_cmpx_lt_i32_e64 v12, v3
	s_cbranch_execz .LBB27_116
; %bb.114:                              ;   in Loop: Header=BB27_112 Depth=2
	v_ashrrev_i32_e32 v13, 31, v12
	s_mov_b32 s69, 0
	v_lshlrev_b64 v[15:16], 3, v[12:13]
	v_add_co_u32 v13, vcc_lo, s34, v15
	v_add_co_ci_u32_e64 v14, null, s35, v16, vcc_lo
	v_add_co_u32 v15, vcc_lo, s26, v15
	v_add_co_ci_u32_e64 v16, null, s27, v16, vcc_lo
	.p2align	6
.LBB27_115:                             ;   Parent Loop BB27_5 Depth=1
                                        ;     Parent Loop BB27_112 Depth=2
                                        ; =>    This Inner Loop Header: Depth=3
	global_load_dwordx2 v[17:18], v[13:14], off
	v_add_nc_u32_e32 v12, 64, v12
	v_add_co_u32 v13, vcc_lo, 0x200, v13
	v_add_co_ci_u32_e64 v14, null, 0, v14, vcc_lo
	v_cmp_ge_i32_e32 vcc_lo, v12, v3
	s_or_b32 s69, vcc_lo, s69
	s_waitcnt vmcnt(0)
	global_store_dwordx2 v[15:16], v[17:18], off
	v_add_co_u32 v15, s7, 0x200, v15
	v_add_co_ci_u32_e64 v16, null, 0, v16, s7
	s_andn2_b32 exec_lo, exec_lo, s69
	s_cbranch_execnz .LBB27_115
.LBB27_116:                             ;   in Loop: Header=BB27_112 Depth=2
	s_or_b32 exec_lo, exec_lo, s68
	v_add_co_u32 v12, vcc_lo, s12, v10
	v_add_co_ci_u32_e64 v13, null, s13, v11, vcc_lo
	v_add_co_u32 v10, vcc_lo, s14, v10
	v_add_co_ci_u32_e64 v11, null, s15, v11, vcc_lo
	global_load_dword v3, v[12:13], off
	global_load_dword v6, v[10:11], off
	s_mov_b32 s68, exec_lo
	s_waitcnt vmcnt(1)
	v_add_nc_u32_e32 v10, v34, v3
	s_waitcnt vmcnt(0)
	v_subrev_nc_u32_e32 v3, s61, v6
	v_cmpx_lt_i32_e64 v10, v3
	s_cbranch_execz .LBB27_119
; %bb.117:                              ;   in Loop: Header=BB27_112 Depth=2
	v_ashrrev_i32_e32 v11, 31, v10
	s_mov_b32 s69, 0
	v_lshlrev_b64 v[13:14], 3, v[10:11]
	v_add_co_u32 v11, vcc_lo, s10, v13
	v_add_co_ci_u32_e64 v12, null, s11, v14, vcc_lo
	v_add_co_u32 v13, vcc_lo, s18, v13
	v_add_co_ci_u32_e64 v14, null, s19, v14, vcc_lo
	.p2align	6
.LBB27_118:                             ;   Parent Loop BB27_5 Depth=1
                                        ;     Parent Loop BB27_112 Depth=2
                                        ; =>    This Inner Loop Header: Depth=3
	global_load_dwordx2 v[15:16], v[11:12], off
	v_add_nc_u32_e32 v10, 64, v10
	v_add_co_u32 v11, vcc_lo, 0x200, v11
	v_add_co_ci_u32_e64 v12, null, 0, v12, vcc_lo
	v_cmp_ge_i32_e32 vcc_lo, v10, v3
	s_or_b32 s69, vcc_lo, s69
	s_waitcnt vmcnt(0)
	global_store_dwordx2 v[13:14], v[15:16], off
	v_add_co_u32 v13, s7, 0x200, v13
	v_add_co_ci_u32_e64 v14, null, 0, v14, s7
	s_andn2_b32 exec_lo, exec_lo, s69
	s_cbranch_execnz .LBB27_118
.LBB27_119:                             ;   in Loop: Header=BB27_112 Depth=2
	s_or_b32 exec_lo, exec_lo, s68
	s_and_b32 exec_lo, exec_lo, s6
	s_cbranch_execz .LBB27_111
; %bb.120:                              ;   in Loop: Header=BB27_112 Depth=2
	v_lshlrev_b64 v[9:10], 3, v[8:9]
	v_add_co_u32 v11, vcc_lo, s50, v9
	v_add_co_ci_u32_e64 v12, null, s51, v10, vcc_lo
	v_add_co_u32 v9, vcc_lo, s48, v9
	v_add_co_ci_u32_e64 v10, null, s49, v10, vcc_lo
	global_load_dwordx2 v[11:12], v[11:12], off
	s_waitcnt vmcnt(0)
	global_store_dwordx2 v[9:10], v[11:12], off
	s_branch .LBB27_111
.LBB27_121:                             ;   in Loop: Header=BB27_5 Depth=1
	s_or_b32 exec_lo, exec_lo, s8
	s_mov_b32 s8, -1
	s_and_b32 vcc_lo, exec_lo, s56
	s_mov_b32 s66, -1
	s_cbranch_vccz .LBB27_131
; %bb.122:                              ;   in Loop: Header=BB27_5 Depth=1
	s_and_b32 vcc_lo, exec_lo, s64
	s_mov_b32 s7, -1
                                        ; implicit-def: $sgpr66
	s_cbranch_vccz .LBB27_128
; %bb.123:                              ;   in Loop: Header=BB27_5 Depth=1
	s_and_b32 vcc_lo, exec_lo, s63
                                        ; implicit-def: $sgpr66
	s_cbranch_vccz .LBB27_125
; %bb.124:                              ;   in Loop: Header=BB27_5 Depth=1
	v_cmp_ge_f64_e64 s66, s[46:47], v[4:5]
	s_mov_b32 s7, 0
.LBB27_125:                             ;   in Loop: Header=BB27_5 Depth=1
	s_andn2_b32 vcc_lo, exec_lo, s7
	s_cbranch_vccnz .LBB27_127
; %bb.126:                              ;   in Loop: Header=BB27_5 Depth=1
	v_cmp_ge_f64_e32 vcc_lo, s[46:47], v[1:2]
	s_andn2_b32 s7, s66, exec_lo
	s_and_b32 s66, vcc_lo, exec_lo
	s_or_b32 s66, s7, s66
.LBB27_127:                             ;   in Loop: Header=BB27_5 Depth=1
	s_mov_b32 s7, 0
.LBB27_128:                             ;   in Loop: Header=BB27_5 Depth=1
	s_andn2_b32 vcc_lo, exec_lo, s7
	s_cbranch_vccnz .LBB27_130
; %bb.129:                              ;   in Loop: Header=BB27_5 Depth=1
	v_cmp_ge_f64_e32 vcc_lo, s[46:47], v[1:2]
	v_cmp_ge_f64_e64 s7, s[46:47], v[4:5]
	s_andn2_b32 s66, s66, exec_lo
	s_and_b32 s7, vcc_lo, s7
	s_and_b32 s7, s7, exec_lo
	s_or_b32 s66, s66, s7
.LBB27_130:                             ;   in Loop: Header=BB27_5 Depth=1
	s_xor_b32 s66, s66, -1
.LBB27_131:                             ;   in Loop: Header=BB27_5 Depth=1
	v_mov_b32_e32 v3, s65
	s_and_saveexec_b32 s7, s66
	s_cbranch_execz .LBB27_4
; %bb.132:                              ;   in Loop: Header=BB27_5 Depth=1
	s_add_i32 s65, s65, 1
	v_mov_b32_e32 v3, s9
	s_cmp_eq_u32 s65, s9
	s_cselect_b32 s8, -1, 0
	s_orn2_b32 s8, s8, exec_lo
	s_branch .LBB27_4
.LBB27_133:
	s_or_b32 exec_lo, exec_lo, s57
	s_or_b32 exec_lo, exec_lo, s58
	s_andn2_b32 vcc_lo, exec_lo, s56
	s_cbranch_vccnz .LBB27_2
.LBB27_134:
	v_or_b32_e32 v6, 32, v28
	v_xor_b32_e32 v7, 16, v28
	s_mov_b32 s0, exec_lo
	v_cmp_gt_i32_e32 vcc_lo, 32, v6
	v_cndmask_b32_e32 v6, v28, v6, vcc_lo
	v_cmp_gt_i32_e32 vcc_lo, 32, v7
	v_lshlrev_b32_e32 v6, 2, v6
	v_cndmask_b32_e32 v7, v28, v7, vcc_lo
	ds_bpermute_b32 v6, v6, v3
	v_lshlrev_b32_e32 v7, 2, v7
	s_waitcnt lgkmcnt(0)
	v_max_i32_e32 v3, v3, v6
	ds_bpermute_b32 v6, v7, v3
	v_xor_b32_e32 v7, 8, v28
	v_cmp_gt_i32_e32 vcc_lo, 32, v7
	v_cndmask_b32_e32 v7, v28, v7, vcc_lo
	v_lshlrev_b32_e32 v7, 2, v7
	s_waitcnt lgkmcnt(0)
	v_max_i32_e32 v3, v3, v6
	ds_bpermute_b32 v6, v7, v3
	v_xor_b32_e32 v7, 4, v28
	v_cmp_gt_i32_e32 vcc_lo, 32, v7
	v_cndmask_b32_e32 v7, v28, v7, vcc_lo
	;; [unrolled: 7-line block ×4, first 2 shown]
	s_waitcnt lgkmcnt(0)
	v_max_i32_e32 v3, v3, v6
	v_lshlrev_b32_e32 v6, 2, v7
	ds_bpermute_b32 v6, v6, v3
	v_cmpx_eq_u32_e32 63, v27
	s_cbranch_execz .LBB27_136
; %bb.135:
	v_lshlrev_b32_e32 v7, 2, v26
	s_waitcnt lgkmcnt(0)
	v_max_i32_e32 v3, v3, v6
	ds_write_b32 v7, v3 offset:128
.LBB27_136:
	s_or_b32 exec_lo, exec_lo, s0
	v_lshlrev_b32_e32 v3, 2, v0
	s_mov_b32 s0, exec_lo
	s_waitcnt lgkmcnt(0)
	s_waitcnt_vscnt null, 0x0
	s_barrier
	buffer_gl0_inv
	v_cmpx_gt_u32_e32 8, v0
	s_cbranch_execz .LBB27_138
; %bb.137:
	ds_read2_b32 v[6:7], v3 offset0:32 offset1:40
	s_waitcnt lgkmcnt(0)
	v_max_i32_e32 v6, v6, v7
	ds_write_b32 v3, v6 offset:128
.LBB27_138:
	s_or_b32 exec_lo, exec_lo, s0
	s_mov_b32 s0, exec_lo
	s_waitcnt lgkmcnt(0)
	s_barrier
	buffer_gl0_inv
	v_cmpx_gt_u32_e32 4, v0
	s_cbranch_execz .LBB27_140
; %bb.139:
	ds_read2_b32 v[6:7], v3 offset0:32 offset1:36
	s_waitcnt lgkmcnt(0)
	v_max_i32_e32 v6, v6, v7
	ds_write_b32 v3, v6 offset:128
.LBB27_140:
	s_or_b32 exec_lo, exec_lo, s0
	s_mov_b32 s0, exec_lo
	s_waitcnt lgkmcnt(0)
	s_barrier
	buffer_gl0_inv
	v_cmpx_gt_u32_e32 2, v0
	s_cbranch_execz .LBB27_142
; %bb.141:
	ds_read2_b32 v[6:7], v3 offset0:32 offset1:34
	s_waitcnt lgkmcnt(0)
	v_max_i32_e32 v6, v6, v7
	ds_write_b32 v3, v6 offset:128
.LBB27_142:
	s_or_b32 exec_lo, exec_lo, s0
	v_cmp_eq_u32_e32 vcc_lo, 0, v0
	s_waitcnt lgkmcnt(0)
	s_barrier
	buffer_gl0_inv
	s_and_saveexec_b32 s0, vcc_lo
	s_cbranch_execz .LBB27_144
; %bb.143:
	v_mov_b32_e32 v3, 0
	ds_read_b64 v[6:7], v3 offset:128
	s_waitcnt lgkmcnt(0)
	v_max_i32_e32 v6, v6, v7
	ds_write_b32 v3, v6 offset:128
.LBB27_144:
	s_or_b32 exec_lo, exec_lo, s0
	s_waitcnt lgkmcnt(0)
	s_barrier
	buffer_gl0_inv
	s_and_saveexec_b32 s0, vcc_lo
	s_cbranch_execz .LBB27_147
; %bb.145:
	v_mbcnt_lo_u32_b32 v3, exec_lo, 0
	v_cmp_eq_u32_e32 vcc_lo, 0, v3
	s_and_b32 exec_lo, exec_lo, vcc_lo
	s_cbranch_execz .LBB27_147
; %bb.146:
	v_mov_b32_e32 v3, 0
	ds_read_b32 v6, v3 offset:128
	s_waitcnt lgkmcnt(0)
	v_add_nc_u32_e32 v6, 1, v6
	global_atomic_smax v3, v6, s[44:45]
.LBB27_147:
	s_or_b32 exec_lo, exec_lo, s0
	v_cmp_eq_u32_e32 vcc_lo, 0, v0
	s_and_b32 s0, vcc_lo, s54
	s_and_saveexec_b32 s1, s0
	s_cbranch_execz .LBB27_154
.LBB27_148:
	v_mov_b32_e32 v6, 0
	v_mov_b32_e32 v7, 0x7ff80000
	s_mov_b32 s0, exec_lo
.LBB27_149:                             ; =>This Inner Loop Header: Depth=1
	s_ff1_i32_b32 s4, s0
	v_max_f64 v[6:7], v[6:7], v[6:7]
	v_readlane_b32 s3, v2, s4
	v_readlane_b32 s2, v1, s4
	v_max_f64 v[8:9], s[2:3], s[2:3]
	s_lshl_b32 s2, 1, s4
	s_andn2_b32 s0, s0, s2
	s_cmp_lg_u32 s0, 0
	v_max_f64 v[6:7], v[6:7], v[8:9]
	s_cbranch_scc1 .LBB27_149
; %bb.150:
	v_mbcnt_lo_u32_b32 v0, exec_lo, 0
	s_mov_b32 s2, 0
	s_mov_b32 s3, exec_lo
	v_cmpx_eq_u32_e32 0, v0
	s_xor_b32 s3, exec_lo, s3
	s_cbranch_execz .LBB27_154
; %bb.151:
	v_mov_b32_e32 v8, 0
	v_max_f64 v[6:7], v[6:7], v[6:7]
	global_load_dwordx2 v[2:3], v8, s[28:29]
.LBB27_152:                             ; =>This Inner Loop Header: Depth=1
	s_waitcnt vmcnt(0)
	v_max_f64 v[0:1], v[2:3], v[2:3]
	v_max_f64 v[0:1], v[0:1], v[6:7]
	global_atomic_cmpswap_x2 v[0:1], v8, v[0:3], s[28:29] glc
	s_waitcnt vmcnt(0)
	v_cmp_eq_u64_e64 s0, v[0:1], v[2:3]
	v_mov_b32_e32 v3, v1
	v_mov_b32_e32 v2, v0
	s_or_b32 s2, s0, s2
	s_andn2_b32 exec_lo, exec_lo, s2
	s_cbranch_execnz .LBB27_152
; %bb.153:
	s_or_b32 exec_lo, exec_lo, s2
.LBB27_154:
	s_or_b32 exec_lo, exec_lo, s1
	s_and_b32 s0, vcc_lo, s33
	s_and_saveexec_b32 s1, s0
	s_cbranch_execz .LBB27_160
; %bb.155:
	v_mov_b32_e32 v0, 0
	v_mov_b32_e32 v1, 0x7ff80000
	s_mov_b32 s0, exec_lo
.LBB27_156:                             ; =>This Inner Loop Header: Depth=1
	s_ff1_i32_b32 s1, s0
	v_max_f64 v[0:1], v[0:1], v[0:1]
	v_readlane_b32 s3, v5, s1
	v_readlane_b32 s2, v4, s1
	s_lshl_b32 s1, 1, s1
	s_andn2_b32 s0, s0, s1
	v_max_f64 v[2:3], s[2:3], s[2:3]
	s_cmp_lg_u32 s0, 0
	v_max_f64 v[0:1], v[0:1], v[2:3]
	s_cbranch_scc1 .LBB27_156
; %bb.157:
	v_mbcnt_lo_u32_b32 v2, exec_lo, 0
	s_mov_b32 s0, 0
	s_mov_b32 s1, exec_lo
	v_cmpx_eq_u32_e32 0, v2
	s_xor_b32 s1, exec_lo, s1
	s_cbranch_execz .LBB27_160
; %bb.158:
	v_mov_b32_e32 v6, 0
	v_max_f64 v[4:5], v[0:1], v[0:1]
	global_load_dwordx2 v[2:3], v6, s[30:31]
.LBB27_159:                             ; =>This Inner Loop Header: Depth=1
	s_waitcnt vmcnt(0)
	v_max_f64 v[0:1], v[2:3], v[2:3]
	v_max_f64 v[0:1], v[0:1], v[4:5]
	global_atomic_cmpswap_x2 v[0:1], v6, v[0:3], s[30:31] glc
	s_waitcnt vmcnt(0)
	v_cmp_eq_u64_e32 vcc_lo, v[0:1], v[2:3]
	v_mov_b32_e32 v3, v1
	v_mov_b32_e32 v2, v0
	s_or_b32 s0, vcc_lo, s0
	s_andn2_b32 exec_lo, exec_lo, s0
	s_cbranch_execnz .LBB27_159
.LBB27_160:
	s_endpgm
	.section	.rodata,"a",@progbits
	.p2align	6, 0x0
	.amdhsa_kernel _ZN9rocsparseL6kernelILi1024ELi64EdiiEEvbbbT3_PS1_NS_15floating_traitsIT1_E6data_tES1_T2_PKS7_S9_PKS1_PKS4_21rocsparse_index_base_S9_S9_SB_PS4_SF_SE_S9_S9_SB_SF_SF_SE_SF_SF_PS6_SG_PKS6_
		.amdhsa_group_segment_fixed_size 192
		.amdhsa_private_segment_fixed_size 0
		.amdhsa_kernarg_size 208
		.amdhsa_user_sgpr_count 6
		.amdhsa_user_sgpr_private_segment_buffer 1
		.amdhsa_user_sgpr_dispatch_ptr 0
		.amdhsa_user_sgpr_queue_ptr 0
		.amdhsa_user_sgpr_kernarg_segment_ptr 1
		.amdhsa_user_sgpr_dispatch_id 0
		.amdhsa_user_sgpr_flat_scratch_init 0
		.amdhsa_user_sgpr_private_segment_size 0
		.amdhsa_wavefront_size32 1
		.amdhsa_uses_dynamic_stack 0
		.amdhsa_system_sgpr_private_segment_wavefront_offset 0
		.amdhsa_system_sgpr_workgroup_id_x 1
		.amdhsa_system_sgpr_workgroup_id_y 0
		.amdhsa_system_sgpr_workgroup_id_z 0
		.amdhsa_system_sgpr_workgroup_info 0
		.amdhsa_system_vgpr_workitem_id 0
		.amdhsa_next_free_vgpr 47
		.amdhsa_next_free_sgpr 80
		.amdhsa_reserve_vcc 1
		.amdhsa_reserve_flat_scratch 0
		.amdhsa_float_round_mode_32 0
		.amdhsa_float_round_mode_16_64 0
		.amdhsa_float_denorm_mode_32 3
		.amdhsa_float_denorm_mode_16_64 3
		.amdhsa_dx10_clamp 1
		.amdhsa_ieee_mode 1
		.amdhsa_fp16_overflow 0
		.amdhsa_workgroup_processor_mode 1
		.amdhsa_memory_ordered 1
		.amdhsa_forward_progress 1
		.amdhsa_shared_vgpr_count 0
		.amdhsa_exception_fp_ieee_invalid_op 0
		.amdhsa_exception_fp_denorm_src 0
		.amdhsa_exception_fp_ieee_div_zero 0
		.amdhsa_exception_fp_ieee_overflow 0
		.amdhsa_exception_fp_ieee_underflow 0
		.amdhsa_exception_fp_ieee_inexact 0
		.amdhsa_exception_int_div_zero 0
	.end_amdhsa_kernel
	.section	.text._ZN9rocsparseL6kernelILi1024ELi64EdiiEEvbbbT3_PS1_NS_15floating_traitsIT1_E6data_tES1_T2_PKS7_S9_PKS1_PKS4_21rocsparse_index_base_S9_S9_SB_PS4_SF_SE_S9_S9_SB_SF_SF_SE_SF_SF_PS6_SG_PKS6_,"axG",@progbits,_ZN9rocsparseL6kernelILi1024ELi64EdiiEEvbbbT3_PS1_NS_15floating_traitsIT1_E6data_tES1_T2_PKS7_S9_PKS1_PKS4_21rocsparse_index_base_S9_S9_SB_PS4_SF_SE_S9_S9_SB_SF_SF_SE_SF_SF_PS6_SG_PKS6_,comdat
.Lfunc_end27:
	.size	_ZN9rocsparseL6kernelILi1024ELi64EdiiEEvbbbT3_PS1_NS_15floating_traitsIT1_E6data_tES1_T2_PKS7_S9_PKS1_PKS4_21rocsparse_index_base_S9_S9_SB_PS4_SF_SE_S9_S9_SB_SF_SF_SE_SF_SF_PS6_SG_PKS6_, .Lfunc_end27-_ZN9rocsparseL6kernelILi1024ELi64EdiiEEvbbbT3_PS1_NS_15floating_traitsIT1_E6data_tES1_T2_PKS7_S9_PKS1_PKS4_21rocsparse_index_base_S9_S9_SB_PS4_SF_SE_S9_S9_SB_SF_SF_SE_SF_SF_PS6_SG_PKS6_
                                        ; -- End function
	.set _ZN9rocsparseL6kernelILi1024ELi64EdiiEEvbbbT3_PS1_NS_15floating_traitsIT1_E6data_tES1_T2_PKS7_S9_PKS1_PKS4_21rocsparse_index_base_S9_S9_SB_PS4_SF_SE_S9_S9_SB_SF_SF_SE_SF_SF_PS6_SG_PKS6_.num_vgpr, 47
	.set _ZN9rocsparseL6kernelILi1024ELi64EdiiEEvbbbT3_PS1_NS_15floating_traitsIT1_E6data_tES1_T2_PKS7_S9_PKS1_PKS4_21rocsparse_index_base_S9_S9_SB_PS4_SF_SE_S9_S9_SB_SF_SF_SE_SF_SF_PS6_SG_PKS6_.num_agpr, 0
	.set _ZN9rocsparseL6kernelILi1024ELi64EdiiEEvbbbT3_PS1_NS_15floating_traitsIT1_E6data_tES1_T2_PKS7_S9_PKS1_PKS4_21rocsparse_index_base_S9_S9_SB_PS4_SF_SE_S9_S9_SB_SF_SF_SE_SF_SF_PS6_SG_PKS6_.numbered_sgpr, 80
	.set _ZN9rocsparseL6kernelILi1024ELi64EdiiEEvbbbT3_PS1_NS_15floating_traitsIT1_E6data_tES1_T2_PKS7_S9_PKS1_PKS4_21rocsparse_index_base_S9_S9_SB_PS4_SF_SE_S9_S9_SB_SF_SF_SE_SF_SF_PS6_SG_PKS6_.num_named_barrier, 0
	.set _ZN9rocsparseL6kernelILi1024ELi64EdiiEEvbbbT3_PS1_NS_15floating_traitsIT1_E6data_tES1_T2_PKS7_S9_PKS1_PKS4_21rocsparse_index_base_S9_S9_SB_PS4_SF_SE_S9_S9_SB_SF_SF_SE_SF_SF_PS6_SG_PKS6_.private_seg_size, 0
	.set _ZN9rocsparseL6kernelILi1024ELi64EdiiEEvbbbT3_PS1_NS_15floating_traitsIT1_E6data_tES1_T2_PKS7_S9_PKS1_PKS4_21rocsparse_index_base_S9_S9_SB_PS4_SF_SE_S9_S9_SB_SF_SF_SE_SF_SF_PS6_SG_PKS6_.uses_vcc, 1
	.set _ZN9rocsparseL6kernelILi1024ELi64EdiiEEvbbbT3_PS1_NS_15floating_traitsIT1_E6data_tES1_T2_PKS7_S9_PKS1_PKS4_21rocsparse_index_base_S9_S9_SB_PS4_SF_SE_S9_S9_SB_SF_SF_SE_SF_SF_PS6_SG_PKS6_.uses_flat_scratch, 0
	.set _ZN9rocsparseL6kernelILi1024ELi64EdiiEEvbbbT3_PS1_NS_15floating_traitsIT1_E6data_tES1_T2_PKS7_S9_PKS1_PKS4_21rocsparse_index_base_S9_S9_SB_PS4_SF_SE_S9_S9_SB_SF_SF_SE_SF_SF_PS6_SG_PKS6_.has_dyn_sized_stack, 0
	.set _ZN9rocsparseL6kernelILi1024ELi64EdiiEEvbbbT3_PS1_NS_15floating_traitsIT1_E6data_tES1_T2_PKS7_S9_PKS1_PKS4_21rocsparse_index_base_S9_S9_SB_PS4_SF_SE_S9_S9_SB_SF_SF_SE_SF_SF_PS6_SG_PKS6_.has_recursion, 0
	.set _ZN9rocsparseL6kernelILi1024ELi64EdiiEEvbbbT3_PS1_NS_15floating_traitsIT1_E6data_tES1_T2_PKS7_S9_PKS1_PKS4_21rocsparse_index_base_S9_S9_SB_PS4_SF_SE_S9_S9_SB_SF_SF_SE_SF_SF_PS6_SG_PKS6_.has_indirect_call, 0
	.section	.AMDGPU.csdata,"",@progbits
; Kernel info:
; codeLenInByte = 6384
; TotalNumSgprs: 82
; NumVgprs: 47
; ScratchSize: 0
; MemoryBound: 1
; FloatMode: 240
; IeeeMode: 1
; LDSByteSize: 192 bytes/workgroup (compile time only)
; SGPRBlocks: 0
; VGPRBlocks: 5
; NumSGPRsForWavesPerEU: 82
; NumVGPRsForWavesPerEU: 47
; Occupancy: 16
; WaveLimiterHint : 1
; COMPUTE_PGM_RSRC2:SCRATCH_EN: 0
; COMPUTE_PGM_RSRC2:USER_SGPR: 6
; COMPUTE_PGM_RSRC2:TRAP_HANDLER: 0
; COMPUTE_PGM_RSRC2:TGID_X_EN: 1
; COMPUTE_PGM_RSRC2:TGID_Y_EN: 0
; COMPUTE_PGM_RSRC2:TGID_Z_EN: 0
; COMPUTE_PGM_RSRC2:TIDIG_COMP_CNT: 0
	.section	.text._ZN9rocsparseL14kernel_freerunILi1024ELi1E21rocsparse_complex_numIfEiiEEvT3_S3_T2_PKS4_S6_PKS3_PKT1_21rocsparse_index_base_S6_S6_S8_PS9_SD_SC_S6_S6_S8_SD_SD_SC_SD_SD_,"axG",@progbits,_ZN9rocsparseL14kernel_freerunILi1024ELi1E21rocsparse_complex_numIfEiiEEvT3_S3_T2_PKS4_S6_PKS3_PKT1_21rocsparse_index_base_S6_S6_S8_PS9_SD_SC_S6_S6_S8_SD_SD_SC_SD_SD_,comdat
	.globl	_ZN9rocsparseL14kernel_freerunILi1024ELi1E21rocsparse_complex_numIfEiiEEvT3_S3_T2_PKS4_S6_PKS3_PKT1_21rocsparse_index_base_S6_S6_S8_PS9_SD_SC_S6_S6_S8_SD_SD_SC_SD_SD_ ; -- Begin function _ZN9rocsparseL14kernel_freerunILi1024ELi1E21rocsparse_complex_numIfEiiEEvT3_S3_T2_PKS4_S6_PKS3_PKT1_21rocsparse_index_base_S6_S6_S8_PS9_SD_SC_S6_S6_S8_SD_SD_SC_SD_SD_
	.p2align	8
	.type	_ZN9rocsparseL14kernel_freerunILi1024ELi1E21rocsparse_complex_numIfEiiEEvT3_S3_T2_PKS4_S6_PKS3_PKT1_21rocsparse_index_base_S6_S6_S8_PS9_SD_SC_S6_S6_S8_SD_SD_SC_SD_SD_,@function
_ZN9rocsparseL14kernel_freerunILi1024ELi1E21rocsparse_complex_numIfEiiEEvT3_S3_T2_PKS4_S6_PKS3_PKT1_21rocsparse_index_base_S6_S6_S8_PS9_SD_SC_S6_S6_S8_SD_SD_SC_SD_SD_: ; @_ZN9rocsparseL14kernel_freerunILi1024ELi1E21rocsparse_complex_numIfEiiEEvT3_S3_T2_PKS4_S6_PKS3_PKT1_21rocsparse_index_base_S6_S6_S8_PS9_SD_SC_S6_S6_S8_SD_SD_SC_SD_SD_
; %bb.0:
	s_load_dwordx2 s[34:35], s[4:5], 0x0
	s_lshl_b32 s40, s6, 10
	s_mov_b32 s33, 0
	v_or_b32_e32 v0, s40, v0
	s_waitcnt lgkmcnt(0)
	v_cmp_gt_i32_e32 vcc_lo, s35, v0
	s_cmp_gt_i32 s34, 0
	s_cselect_b32 s0, -1, 0
	s_and_b32 s0, vcc_lo, s0
	s_and_saveexec_b32 s1, s0
	s_cbranch_execz .LBB28_68
; %bb.1:
	s_clause 0x1
	s_load_dwordx8 s[8:15], s[4:5], 0x38
	s_load_dwordx8 s[16:23], s[4:5], 0x10
	v_ashrrev_i32_e32 v1, 31, v0
	s_addk_i32 s40, 0x400
	v_cmp_gt_u32_e64 s0, s40, v0
	v_lshlrev_b64 v[1:2], 2, v[0:1]
	s_waitcnt lgkmcnt(0)
	v_add_co_u32 v3, vcc_lo, s8, v1
	v_add_co_ci_u32_e64 v4, null, s9, v2, vcc_lo
	v_add_co_u32 v5, vcc_lo, s10, v1
	v_add_co_ci_u32_e64 v6, null, s11, v2, vcc_lo
	global_load_dword v7, v[3:4], off
	v_add_co_u32 v3, vcc_lo, s16, v1
	v_add_co_ci_u32_e64 v4, null, s17, v2, vcc_lo
	v_add_co_u32 v1, vcc_lo, s18, v1
	v_add_co_ci_u32_e64 v2, null, s19, v2, vcc_lo
	global_load_dword v5, v[5:6], off
	global_load_dword v6, v[3:4], off
	global_load_dword v8, v[1:2], off
	s_clause 0x6
	s_load_dword s38, s[4:5], 0x60
	s_load_dword s39, s[4:5], 0x30
	s_load_dwordx2 s[6:7], s[4:5], 0x58
	s_load_dwordx4 s[16:19], s[4:5], 0x98
	s_load_dwordx8 s[24:31], s[4:5], 0x68
	s_load_dwordx2 s[36:37], s[4:5], 0x88
	s_load_dword s5, s[4:5], 0x90
	s_waitcnt vmcnt(3) lgkmcnt(0)
	v_subrev_nc_u32_e32 v1, s38, v7
	v_ashrrev_i32_e32 v2, 31, v1
	s_waitcnt vmcnt(2)
	v_sub_nc_u32_e32 v13, v5, v7
	s_waitcnt vmcnt(1)
	v_subrev_nc_u32_e32 v14, s39, v6
	v_lshlrev_b64 v[3:4], 2, v[1:2]
	s_waitcnt vmcnt(0)
	v_cmp_lt_i32_e64 s1, v6, v8
	v_lshlrev_b64 v[5:6], 3, v[1:2]
	v_subrev_nc_u32_e32 v15, s39, v8
	v_cmp_lt_i32_e64 s2, 0, v13
	v_add_co_u32 v16, vcc_lo, s12, v3
	v_add_co_ci_u32_e64 v17, null, s13, v4, vcc_lo
	v_add_co_u32 v18, vcc_lo, s14, v5
	v_add_co_ci_u32_e64 v19, null, s15, v6, vcc_lo
	v_mov_b32_e32 v3, 0
	s_branch .LBB28_3
.LBB28_2:                               ;   in Loop: Header=BB28_3 Depth=1
	s_or_b32 exec_lo, exec_lo, s4
	s_add_i32 s33, s33, 1
	s_cmp_eq_u32 s33, s34
	s_cbranch_scc1 .LBB28_68
.LBB28_3:                               ; =>This Loop Header: Depth=1
                                        ;     Child Loop BB28_6 Depth 2
                                        ;       Child Loop BB28_10 Depth 3
                                        ;       Child Loop BB28_40 Depth 3
	;; [unrolled: 1-line block ×3, first 2 shown]
                                        ;     Child Loop BB28_61 Depth 2
                                        ;       Child Loop BB28_64 Depth 3
                                        ;       Child Loop BB28_67 Depth 3
	s_and_saveexec_b32 s41, s1
	s_cbranch_execz .LBB28_57
; %bb.4:                                ;   in Loop: Header=BB28_3 Depth=1
	v_mov_b32_e32 v4, v14
	s_mov_b32 s42, 0
	s_branch .LBB28_6
.LBB28_5:                               ;   in Loop: Header=BB28_6 Depth=2
	s_or_b32 exec_lo, exec_lo, s4
	v_add_nc_u32_e32 v4, 1, v4
	v_cmp_ge_i32_e32 vcc_lo, v4, v15
	s_or_b32 s42, vcc_lo, s42
	s_andn2_b32 exec_lo, exec_lo, s42
	s_cbranch_execz .LBB28_57
.LBB28_6:                               ;   Parent Loop BB28_3 Depth=1
                                        ; =>  This Loop Header: Depth=2
                                        ;       Child Loop BB28_10 Depth 3
                                        ;       Child Loop BB28_40 Depth 3
                                        ;       Child Loop BB28_50 Depth 3
	v_ashrrev_i32_e32 v5, 31, v4
	v_mov_b32_e32 v12, 0
	v_lshlrev_b64 v[6:7], 2, v[4:5]
	v_add_co_u32 v6, vcc_lo, s20, v6
	v_add_co_ci_u32_e64 v7, null, s21, v7, vcc_lo
	global_load_dword v2, v[6:7], off
	s_waitcnt vmcnt(0)
	v_subrev_nc_u32_e32 v6, s39, v2
	v_mov_b32_e32 v2, 0
	v_ashrrev_i32_e32 v7, 31, v6
	v_lshlrev_b64 v[8:9], 2, v[6:7]
	v_add_co_u32 v10, vcc_lo, s24, v8
	v_add_co_ci_u32_e64 v11, null, s25, v9, vcc_lo
	v_add_co_u32 v8, vcc_lo, s26, v8
	v_add_co_ci_u32_e64 v9, null, s27, v9, vcc_lo
	global_load_dword v10, v[10:11], off
	global_load_dword v9, v[8:9], off
	v_mov_b32_e32 v11, 0
	s_waitcnt vmcnt(1)
	v_subrev_nc_u32_e32 v8, s5, v10
	s_waitcnt vmcnt(0)
	v_sub_nc_u32_e32 v20, v9, v10
	v_mov_b32_e32 v9, v2
	s_and_saveexec_b32 s4, s2
	s_cbranch_execz .LBB28_14
; %bb.7:                                ;   in Loop: Header=BB28_6 Depth=2
	v_ashrrev_i32_e32 v9, 31, v8
	v_mov_b32_e32 v11, 0
	v_mov_b32_e32 v2, 0
	;; [unrolled: 1-line block ×3, first 2 shown]
	s_mov_b32 s43, 0
	v_lshlrev_b64 v[21:22], 2, v[8:9]
	v_lshlrev_b64 v[9:10], 3, v[8:9]
                                        ; implicit-def: $sgpr44
	v_add_co_u32 v21, vcc_lo, s28, v21
	v_add_co_ci_u32_e64 v22, null, s29, v22, vcc_lo
	v_add_co_u32 v23, vcc_lo, s30, v9
	v_add_co_ci_u32_e64 v24, null, s31, v10, vcc_lo
	v_mov_b32_e32 v9, 0
	s_branch .LBB28_10
.LBB28_8:                               ;   in Loop: Header=BB28_10 Depth=3
	s_or_b32 exec_lo, exec_lo, s3
	v_cmp_le_i32_e32 vcc_lo, v25, v26
	v_cmp_ge_i32_e64 s3, v25, v26
	v_add_co_ci_u32_e64 v2, null, 0, v2, vcc_lo
	v_add_co_ci_u32_e64 v9, null, 0, v9, s3
	s_andn2_b32 s3, s44, exec_lo
	v_cmp_ge_i32_e32 vcc_lo, v2, v13
	s_and_b32 s44, vcc_lo, exec_lo
	s_or_b32 s44, s3, s44
.LBB28_9:                               ;   in Loop: Header=BB28_10 Depth=3
	s_or_b32 exec_lo, exec_lo, s45
	s_and_b32 s3, exec_lo, s44
	s_or_b32 s43, s3, s43
	s_andn2_b32 exec_lo, exec_lo, s43
	s_cbranch_execz .LBB28_13
.LBB28_10:                              ;   Parent Loop BB28_3 Depth=1
                                        ;     Parent Loop BB28_6 Depth=2
                                        ; =>    This Inner Loop Header: Depth=3
	s_or_b32 s44, s44, exec_lo
	s_mov_b32 s45, exec_lo
	v_cmpx_lt_i32_e64 v9, v20
	s_cbranch_execz .LBB28_9
; %bb.11:                               ;   in Loop: Header=BB28_10 Depth=3
	v_mov_b32_e32 v10, v3
	v_lshlrev_b64 v[25:26], 2, v[2:3]
	s_mov_b32 s3, exec_lo
	v_lshlrev_b64 v[27:28], 2, v[9:10]
	v_add_co_u32 v25, vcc_lo, v16, v25
	v_add_co_ci_u32_e64 v26, null, v17, v26, vcc_lo
	v_add_co_u32 v27, vcc_lo, v21, v27
	v_add_co_ci_u32_e64 v28, null, v22, v28, vcc_lo
	global_load_dword v25, v[25:26], off
	global_load_dword v26, v[27:28], off
	s_waitcnt vmcnt(1)
	v_subrev_nc_u32_e32 v25, s38, v25
	s_waitcnt vmcnt(0)
	v_subrev_nc_u32_e32 v26, s5, v26
	v_cmpx_eq_u32_e64 v25, v26
	s_cbranch_execz .LBB28_8
; %bb.12:                               ;   in Loop: Header=BB28_10 Depth=3
	v_lshlrev_b64 v[27:28], 3, v[2:3]
	v_lshlrev_b64 v[29:30], 3, v[9:10]
	v_add_co_u32 v27, vcc_lo, v18, v27
	v_add_co_ci_u32_e64 v28, null, v19, v28, vcc_lo
	v_add_co_u32 v29, vcc_lo, v23, v29
	v_add_co_ci_u32_e64 v30, null, v24, v30, vcc_lo
	global_load_dwordx2 v[27:28], v[27:28], off
	global_load_dwordx2 v[29:30], v[29:30], off
	s_waitcnt vmcnt(0)
	v_fmac_f32_e32 v11, v27, v29
	v_fmac_f32_e32 v12, v28, v29
	v_fma_f32 v11, -v28, v30, v11
	v_fmac_f32_e32 v12, v27, v30
	s_branch .LBB28_8
.LBB28_13:                              ;   in Loop: Header=BB28_6 Depth=2
	s_or_b32 exec_lo, exec_lo, s43
.LBB28_14:                              ;   in Loop: Header=BB28_6 Depth=2
	s_or_b32 exec_lo, exec_lo, s4
	v_lshlrev_b64 v[21:22], 3, v[4:5]
	v_cmp_le_i32_e64 s3, v0, v6
	s_mov_b32 s43, exec_lo
	v_add_co_u32 v21, vcc_lo, s22, v21
	v_add_co_ci_u32_e64 v22, null, s23, v22, vcc_lo
	global_load_dwordx2 v[21:22], v[21:22], off
	s_waitcnt vmcnt(0)
	v_sub_f32_e32 v21, v21, v11
	v_sub_f32_e32 v12, v22, v12
	v_cmpx_gt_i32_e64 v0, v6
	s_cbranch_execz .LBB28_24
; %bb.15:                               ;   in Loop: Header=BB28_6 Depth=2
	v_lshlrev_b64 v[10:11], 3, v[6:7]
                                        ; implicit-def: $vgpr23
	s_mov_b32 s4, exec_lo
	v_add_co_u32 v10, vcc_lo, s16, v10
	v_add_co_ci_u32_e64 v11, null, s17, v11, vcc_lo
	global_load_dwordx2 v[10:11], v[10:11], off
	s_waitcnt vmcnt(0)
	v_cmp_gt_f32_e32 vcc_lo, 0, v10
	v_cndmask_b32_e64 v5, v10, -v10, vcc_lo
	v_cmp_gt_f32_e32 vcc_lo, 0, v11
	v_cndmask_b32_e64 v22, v11, -v11, vcc_lo
	v_cmpx_ngt_f32_e32 v5, v22
	s_xor_b32 s44, exec_lo, s4
	s_cbranch_execz .LBB28_19
; %bb.16:                               ;   in Loop: Header=BB28_6 Depth=2
	v_mov_b32_e32 v23, 0
	s_mov_b32 s45, exec_lo
	v_cmpx_neq_f32_e32 0, v11
	s_cbranch_execz .LBB28_18
; %bb.17:                               ;   in Loop: Header=BB28_6 Depth=2
	v_div_scale_f32 v23, null, v22, v22, v5
	v_div_scale_f32 v26, vcc_lo, v5, v22, v5
	v_rcp_f32_e32 v24, v23
	v_fma_f32 v25, -v23, v24, 1.0
	v_fmac_f32_e32 v24, v25, v24
	v_mul_f32_e32 v25, v26, v24
	v_fma_f32 v27, -v23, v25, v26
	v_fmac_f32_e32 v25, v27, v24
	v_fma_f32 v23, -v23, v25, v26
	v_div_fmas_f32 v23, v23, v24, v25
	v_div_fixup_f32 v5, v23, v22, v5
	v_fma_f32 v5, v5, v5, 1.0
	v_mul_f32_e32 v23, 0x4f800000, v5
	v_cmp_gt_f32_e32 vcc_lo, 0xf800000, v5
	v_cndmask_b32_e32 v5, v5, v23, vcc_lo
	v_sqrt_f32_e32 v23, v5
	v_add_nc_u32_e32 v24, -1, v23
	v_add_nc_u32_e32 v25, 1, v23
	v_fma_f32 v26, -v24, v23, v5
	v_fma_f32 v27, -v25, v23, v5
	v_cmp_ge_f32_e64 s4, 0, v26
	v_cndmask_b32_e64 v23, v23, v24, s4
	v_cmp_lt_f32_e64 s4, 0, v27
	v_cndmask_b32_e64 v23, v23, v25, s4
	v_mul_f32_e32 v24, 0x37800000, v23
	v_cndmask_b32_e32 v23, v23, v24, vcc_lo
	v_cmp_class_f32_e64 vcc_lo, v5, 0x260
	v_cndmask_b32_e32 v5, v23, v5, vcc_lo
	v_mul_f32_e32 v23, v22, v5
.LBB28_18:                              ;   in Loop: Header=BB28_6 Depth=2
	s_or_b32 exec_lo, exec_lo, s45
                                        ; implicit-def: $vgpr5
                                        ; implicit-def: $vgpr22
.LBB28_19:                              ;   in Loop: Header=BB28_6 Depth=2
	s_andn2_saveexec_b32 s44, s44
	s_cbranch_execz .LBB28_21
; %bb.20:                               ;   in Loop: Header=BB28_6 Depth=2
	v_div_scale_f32 v23, null, v5, v5, v22
	v_div_scale_f32 v26, vcc_lo, v22, v5, v22
	v_rcp_f32_e32 v24, v23
	v_fma_f32 v25, -v23, v24, 1.0
	v_fmac_f32_e32 v24, v25, v24
	v_mul_f32_e32 v25, v26, v24
	v_fma_f32 v27, -v23, v25, v26
	v_fmac_f32_e32 v25, v27, v24
	v_fma_f32 v23, -v23, v25, v26
	v_div_fmas_f32 v23, v23, v24, v25
	v_div_fixup_f32 v22, v23, v5, v22
	v_fma_f32 v22, v22, v22, 1.0
	v_mul_f32_e32 v23, 0x4f800000, v22
	v_cmp_gt_f32_e32 vcc_lo, 0xf800000, v22
	v_cndmask_b32_e32 v22, v22, v23, vcc_lo
	v_sqrt_f32_e32 v23, v22
	v_add_nc_u32_e32 v24, -1, v23
	v_add_nc_u32_e32 v25, 1, v23
	v_fma_f32 v26, -v24, v23, v22
	v_fma_f32 v27, -v25, v23, v22
	v_cmp_ge_f32_e64 s4, 0, v26
	v_cndmask_b32_e64 v23, v23, v24, s4
	v_cmp_lt_f32_e64 s4, 0, v27
	v_cndmask_b32_e64 v23, v23, v25, s4
	v_mul_f32_e32 v24, 0x37800000, v23
	v_cndmask_b32_e32 v23, v23, v24, vcc_lo
	v_cmp_class_f32_e64 vcc_lo, v22, 0x260
	v_cndmask_b32_e32 v22, v23, v22, vcc_lo
	v_mul_f32_e32 v23, v5, v22
.LBB28_21:                              ;   in Loop: Header=BB28_6 Depth=2
	s_or_b32 exec_lo, exec_lo, s44
	v_mov_b32_e32 v5, 0
	v_mov_b32_e32 v22, 0
	s_mov_b32 s4, exec_lo
	v_cmpx_lt_f32_e32 0, v23
	s_cbranch_execz .LBB28_23
; %bb.22:                               ;   in Loop: Header=BB28_6 Depth=2
	v_mul_f32_e32 v5, v11, v11
	v_fmac_f32_e32 v5, v10, v10
	v_div_scale_f32 v22, null, v5, v5, 1.0
	v_div_scale_f32 v25, vcc_lo, 1.0, v5, 1.0
	v_rcp_f32_e32 v23, v22
	v_fma_f32 v24, -v22, v23, 1.0
	v_fmac_f32_e32 v23, v24, v23
	v_mul_f32_e32 v24, v25, v23
	v_fma_f32 v26, -v22, v24, v25
	v_fmac_f32_e32 v24, v26, v23
	v_fma_f32 v22, -v22, v24, v25
	v_mul_f32_e32 v25, v12, v11
	v_mul_f32_e64 v11, v11, -v21
	v_div_fmas_f32 v22, v22, v23, v24
	v_fmac_f32_e32 v25, v21, v10
	v_fmac_f32_e32 v11, v12, v10
	v_div_fixup_f32 v21, v22, v5, 1.0
	v_mul_f32_e32 v5, v25, v21
	v_mul_f32_e32 v22, v11, v21
.LBB28_23:                              ;   in Loop: Header=BB28_6 Depth=2
	s_or_b32 exec_lo, exec_lo, s4
	v_mov_b32_e32 v21, v5
	v_mov_b32_e32 v12, v22
.LBB28_24:                              ;   in Loop: Header=BB28_6 Depth=2
	s_or_b32 exec_lo, exec_lo, s43
	v_cmp_gt_f32_e32 vcc_lo, 0, v21
                                        ; implicit-def: $vgpr11
	s_mov_b32 s4, exec_lo
	v_cndmask_b32_e64 v5, v21, -v21, vcc_lo
	v_cmp_gt_f32_e32 vcc_lo, 0, v12
	v_cndmask_b32_e64 v10, v12, -v12, vcc_lo
	v_cmpx_ngt_f32_e32 v5, v10
	s_xor_b32 s43, exec_lo, s4
	s_cbranch_execnz .LBB28_27
; %bb.25:                               ;   in Loop: Header=BB28_6 Depth=2
	s_andn2_saveexec_b32 s43, s43
	s_cbranch_execnz .LBB28_30
.LBB28_26:                              ;   in Loop: Header=BB28_6 Depth=2
	s_or_b32 exec_lo, exec_lo, s43
	v_cmp_class_f32_e64 s43, v11, 0x1f8
	s_and_saveexec_b32 s4, s43
	s_cbranch_execz .LBB28_5
	s_branch .LBB28_31
.LBB28_27:                              ;   in Loop: Header=BB28_6 Depth=2
	v_mov_b32_e32 v11, 0
	s_mov_b32 s44, exec_lo
	v_cmpx_neq_f32_e32 0, v12
	s_cbranch_execz .LBB28_29
; %bb.28:                               ;   in Loop: Header=BB28_6 Depth=2
	v_div_scale_f32 v11, null, v10, v10, v5
	v_div_scale_f32 v24, vcc_lo, v5, v10, v5
	v_rcp_f32_e32 v22, v11
	v_fma_f32 v23, -v11, v22, 1.0
	v_fmac_f32_e32 v22, v23, v22
	v_mul_f32_e32 v23, v24, v22
	v_fma_f32 v25, -v11, v23, v24
	v_fmac_f32_e32 v23, v25, v22
	v_fma_f32 v11, -v11, v23, v24
	v_div_fmas_f32 v11, v11, v22, v23
	v_div_fixup_f32 v5, v11, v10, v5
	v_fma_f32 v5, v5, v5, 1.0
	v_mul_f32_e32 v11, 0x4f800000, v5
	v_cmp_gt_f32_e32 vcc_lo, 0xf800000, v5
	v_cndmask_b32_e32 v5, v5, v11, vcc_lo
	v_sqrt_f32_e32 v11, v5
	v_add_nc_u32_e32 v22, -1, v11
	v_add_nc_u32_e32 v23, 1, v11
	v_fma_f32 v24, -v22, v11, v5
	v_fma_f32 v25, -v23, v11, v5
	v_cmp_ge_f32_e64 s4, 0, v24
	v_cndmask_b32_e64 v11, v11, v22, s4
	v_cmp_lt_f32_e64 s4, 0, v25
	v_cndmask_b32_e64 v11, v11, v23, s4
	v_mul_f32_e32 v22, 0x37800000, v11
	v_cndmask_b32_e32 v11, v11, v22, vcc_lo
	v_cmp_class_f32_e64 vcc_lo, v5, 0x260
	v_cndmask_b32_e32 v5, v11, v5, vcc_lo
	v_mul_f32_e32 v11, v10, v5
.LBB28_29:                              ;   in Loop: Header=BB28_6 Depth=2
	s_or_b32 exec_lo, exec_lo, s44
                                        ; implicit-def: $vgpr5
                                        ; implicit-def: $vgpr10
	s_andn2_saveexec_b32 s43, s43
	s_cbranch_execz .LBB28_26
.LBB28_30:                              ;   in Loop: Header=BB28_6 Depth=2
	v_div_scale_f32 v11, null, v5, v5, v10
	v_div_scale_f32 v24, vcc_lo, v10, v5, v10
	v_rcp_f32_e32 v22, v11
	v_fma_f32 v23, -v11, v22, 1.0
	v_fmac_f32_e32 v22, v23, v22
	v_mul_f32_e32 v23, v24, v22
	v_fma_f32 v25, -v11, v23, v24
	v_fmac_f32_e32 v23, v25, v22
	v_fma_f32 v11, -v11, v23, v24
	v_div_fmas_f32 v11, v11, v22, v23
	v_div_fixup_f32 v10, v11, v5, v10
	v_fma_f32 v10, v10, v10, 1.0
	v_mul_f32_e32 v11, 0x4f800000, v10
	v_cmp_gt_f32_e32 vcc_lo, 0xf800000, v10
	v_cndmask_b32_e32 v10, v10, v11, vcc_lo
	v_sqrt_f32_e32 v11, v10
	v_add_nc_u32_e32 v22, -1, v11
	v_add_nc_u32_e32 v23, 1, v11
	v_fma_f32 v24, -v22, v11, v10
	v_fma_f32 v25, -v23, v11, v10
	v_cmp_ge_f32_e64 s4, 0, v24
	v_cndmask_b32_e64 v11, v11, v22, s4
	v_cmp_lt_f32_e64 s4, 0, v25
	v_cndmask_b32_e64 v11, v11, v23, s4
	v_mul_f32_e32 v22, 0x37800000, v11
	v_cndmask_b32_e32 v11, v11, v22, vcc_lo
	v_cmp_class_f32_e64 vcc_lo, v10, 0x260
	v_cndmask_b32_e32 v10, v11, v10, vcc_lo
	v_mul_f32_e32 v11, v5, v10
	s_or_b32 exec_lo, exec_lo, s43
	v_cmp_class_f32_e64 s43, v11, 0x1f8
	s_and_saveexec_b32 s4, s43
	s_cbranch_execz .LBB28_5
.LBB28_31:                              ;   in Loop: Header=BB28_6 Depth=2
	s_mov_b32 s43, 0
                                        ; implicit-def: $vgpr10_vgpr11
	s_and_saveexec_b32 s44, s3
	s_xor_b32 s3, exec_lo, s44
	s_cbranch_execnz .LBB28_34
; %bb.32:                               ;   in Loop: Header=BB28_6 Depth=2
	s_andn2_saveexec_b32 s3, s3
	s_cbranch_execnz .LBB28_47
.LBB28_33:                              ;   in Loop: Header=BB28_6 Depth=2
	s_or_b32 exec_lo, exec_lo, s3
	s_and_b32 exec_lo, exec_lo, s43
	s_cbranch_execz .LBB28_5
	s_branch .LBB28_56
.LBB28_34:                              ;   in Loop: Header=BB28_6 Depth=2
	s_mov_b32 s44, exec_lo
                                        ; implicit-def: $vgpr10_vgpr11
	v_cmpx_ge_i32_e64 v0, v6
	s_xor_b32 s44, exec_lo, s44
	s_cbranch_execz .LBB28_36
; %bb.35:                               ;   in Loop: Header=BB28_6 Depth=2
	v_lshlrev_b64 v[5:6], 3, v[6:7]
	s_mov_b32 s43, exec_lo
                                        ; implicit-def: $vgpr9
                                        ; implicit-def: $vgpr20
                                        ; implicit-def: $vgpr8
	v_add_co_u32 v10, vcc_lo, s18, v5
	v_add_co_ci_u32_e64 v11, null, s19, v6, vcc_lo
	global_store_dword v[10:11], v21, off
                                        ; implicit-def: $vgpr21
.LBB28_36:                              ;   in Loop: Header=BB28_6 Depth=2
	s_andn2_saveexec_b32 s44, s44
	s_cbranch_execz .LBB28_46
; %bb.37:                               ;   in Loop: Header=BB28_6 Depth=2
	s_mov_b32 s46, s43
	s_mov_b32 s45, exec_lo
                                        ; implicit-def: $vgpr10_vgpr11
	v_cmpx_lt_i32_e64 v9, v20
	s_cbranch_execz .LBB28_45
; %bb.38:                               ;   in Loop: Header=BB28_6 Depth=2
	s_mov_b32 s47, 0
                                        ; implicit-def: $sgpr46
                                        ; implicit-def: $sgpr49
                                        ; implicit-def: $sgpr48
	s_inst_prefetch 0x1
	s_branch .LBB28_40
	.p2align	6
.LBB28_39:                              ;   in Loop: Header=BB28_40 Depth=3
	s_or_b32 exec_lo, exec_lo, s50
	s_and_b32 s50, exec_lo, s49
	s_or_b32 s47, s50, s47
	s_andn2_b32 s46, s46, exec_lo
	s_and_b32 s50, s48, exec_lo
	s_or_b32 s46, s46, s50
	s_andn2_b32 exec_lo, exec_lo, s47
	s_cbranch_execz .LBB28_42
.LBB28_40:                              ;   Parent Loop BB28_3 Depth=1
                                        ;     Parent Loop BB28_6 Depth=2
                                        ; =>    This Inner Loop Header: Depth=3
	v_add_nc_u32_e32 v5, v8, v9
	s_or_b32 s48, s48, exec_lo
	s_or_b32 s49, s49, exec_lo
	s_mov_b32 s50, exec_lo
	v_ashrrev_i32_e32 v6, 31, v5
	v_lshlrev_b64 v[10:11], 2, v[5:6]
	v_add_co_u32 v10, vcc_lo, s28, v10
	v_add_co_ci_u32_e64 v11, null, s29, v11, vcc_lo
	global_load_dword v2, v[10:11], off
	s_waitcnt vmcnt(0)
	v_subrev_nc_u32_e32 v2, s5, v2
	v_cmpx_ne_u32_e64 v2, v0
	s_cbranch_execz .LBB28_39
; %bb.41:                               ;   in Loop: Header=BB28_40 Depth=3
	v_add_nc_u32_e32 v9, 1, v9
	s_andn2_b32 s49, s49, exec_lo
	s_andn2_b32 s48, s48, exec_lo
	v_cmp_ge_i32_e32 vcc_lo, v9, v20
	s_and_b32 s51, vcc_lo, exec_lo
	s_or_b32 s49, s49, s51
	s_branch .LBB28_39
.LBB28_42:                              ;   in Loop: Header=BB28_6 Depth=2
	s_inst_prefetch 0x2
	s_or_b32 exec_lo, exec_lo, s47
	s_mov_b32 s47, s43
                                        ; implicit-def: $vgpr10_vgpr11
	s_and_saveexec_b32 s48, s46
	s_xor_b32 s46, exec_lo, s48
	s_cbranch_execz .LBB28_44
; %bb.43:                               ;   in Loop: Header=BB28_6 Depth=2
	v_lshlrev_b64 v[5:6], 3, v[5:6]
	s_or_b32 s47, s43, exec_lo
	v_add_co_u32 v10, vcc_lo, s36, v5
	v_add_co_ci_u32_e64 v11, null, s37, v6, vcc_lo
	global_store_dword v[10:11], v21, off
.LBB28_44:                              ;   in Loop: Header=BB28_6 Depth=2
	s_or_b32 exec_lo, exec_lo, s46
	s_andn2_b32 s46, s43, exec_lo
	s_and_b32 s47, s47, exec_lo
	s_or_b32 s46, s46, s47
.LBB28_45:                              ;   in Loop: Header=BB28_6 Depth=2
	s_or_b32 exec_lo, exec_lo, s45
	s_andn2_b32 s43, s43, exec_lo
	s_and_b32 s45, s46, exec_lo
	s_or_b32 s43, s43, s45
.LBB28_46:                              ;   in Loop: Header=BB28_6 Depth=2
	s_or_b32 exec_lo, exec_lo, s44
	s_and_b32 s43, s43, exec_lo
                                        ; implicit-def: $vgpr21
                                        ; implicit-def: $vgpr6_vgpr7
	s_andn2_saveexec_b32 s3, s3
	s_cbranch_execz .LBB28_33
.LBB28_47:                              ;   in Loop: Header=BB28_6 Depth=2
	s_mov_b32 s45, s43
	s_mov_b32 s44, exec_lo
                                        ; implicit-def: $vgpr10_vgpr11
	v_cmpx_lt_i32_e64 v2, v13
	s_cbranch_execz .LBB28_55
; %bb.48:                               ;   in Loop: Header=BB28_6 Depth=2
	s_mov_b32 s46, 0
                                        ; implicit-def: $sgpr45
                                        ; implicit-def: $sgpr48
                                        ; implicit-def: $sgpr47
	s_inst_prefetch 0x1
	s_branch .LBB28_50
	.p2align	6
.LBB28_49:                              ;   in Loop: Header=BB28_50 Depth=3
	s_or_b32 exec_lo, exec_lo, s49
	s_and_b32 s49, exec_lo, s48
	s_or_b32 s46, s49, s46
	s_andn2_b32 s45, s45, exec_lo
	s_and_b32 s49, s47, exec_lo
	s_or_b32 s45, s45, s49
	s_andn2_b32 exec_lo, exec_lo, s46
	s_cbranch_execz .LBB28_52
.LBB28_50:                              ;   Parent Loop BB28_3 Depth=1
                                        ;     Parent Loop BB28_6 Depth=2
                                        ; =>    This Inner Loop Header: Depth=3
	v_add_nc_u32_e32 v7, v1, v2
	s_or_b32 s47, s47, exec_lo
	s_or_b32 s48, s48, exec_lo
	s_mov_b32 s49, exec_lo
	v_ashrrev_i32_e32 v8, 31, v7
	v_lshlrev_b64 v[9:10], 2, v[7:8]
	v_add_co_u32 v9, vcc_lo, s12, v9
	v_add_co_ci_u32_e64 v10, null, s13, v10, vcc_lo
	global_load_dword v5, v[9:10], off
	s_waitcnt vmcnt(0)
	v_subrev_nc_u32_e32 v5, s38, v5
	v_cmpx_ne_u32_e64 v5, v6
	s_cbranch_execz .LBB28_49
; %bb.51:                               ;   in Loop: Header=BB28_50 Depth=3
	v_add_nc_u32_e32 v2, 1, v2
	s_andn2_b32 s48, s48, exec_lo
	s_andn2_b32 s47, s47, exec_lo
	v_cmp_ge_i32_e32 vcc_lo, v2, v13
	s_and_b32 s50, vcc_lo, exec_lo
	s_or_b32 s48, s48, s50
	s_branch .LBB28_49
.LBB28_52:                              ;   in Loop: Header=BB28_6 Depth=2
	s_inst_prefetch 0x2
	s_or_b32 exec_lo, exec_lo, s46
	s_mov_b32 s46, s43
                                        ; implicit-def: $vgpr10_vgpr11
	s_and_saveexec_b32 s47, s45
	s_xor_b32 s45, exec_lo, s47
	s_cbranch_execz .LBB28_54
; %bb.53:                               ;   in Loop: Header=BB28_6 Depth=2
	v_lshlrev_b64 v[5:6], 3, v[7:8]
	s_or_b32 s46, s43, exec_lo
	v_add_co_u32 v10, vcc_lo, s6, v5
	v_add_co_ci_u32_e64 v11, null, s7, v6, vcc_lo
	global_store_dword v[10:11], v21, off
.LBB28_54:                              ;   in Loop: Header=BB28_6 Depth=2
	s_or_b32 exec_lo, exec_lo, s45
	s_andn2_b32 s45, s43, exec_lo
	s_and_b32 s46, s46, exec_lo
	s_or_b32 s45, s45, s46
.LBB28_55:                              ;   in Loop: Header=BB28_6 Depth=2
	s_or_b32 exec_lo, exec_lo, s44
	s_andn2_b32 s43, s43, exec_lo
	s_and_b32 s44, s45, exec_lo
	s_or_b32 s43, s43, s44
	s_or_b32 exec_lo, exec_lo, s3
	s_and_b32 exec_lo, exec_lo, s43
	s_cbranch_execz .LBB28_5
.LBB28_56:                              ;   in Loop: Header=BB28_6 Depth=2
	global_store_dword v[10:11], v12, off offset:4
	s_branch .LBB28_5
.LBB28_57:                              ;   in Loop: Header=BB28_3 Depth=1
	s_or_b32 exec_lo, exec_lo, s41
	s_and_saveexec_b32 s4, s0
	s_cbranch_execz .LBB28_2
; %bb.58:                               ;   in Loop: Header=BB28_3 Depth=1
	v_mov_b32_e32 v4, v0
	s_mov_b32 s41, 0
	s_branch .LBB28_61
.LBB28_59:                              ;   in Loop: Header=BB28_61 Depth=2
	s_or_b32 exec_lo, exec_lo, s43
	v_lshlrev_b64 v[5:6], 3, v[4:5]
	v_add_co_u32 v7, vcc_lo, s18, v5
	v_add_co_ci_u32_e64 v8, null, s19, v6, vcc_lo
	v_add_co_u32 v5, vcc_lo, s16, v5
	v_add_co_ci_u32_e64 v6, null, s17, v6, vcc_lo
	global_load_dwordx2 v[7:8], v[7:8], off
	s_waitcnt vmcnt(0)
	global_store_dwordx2 v[5:6], v[7:8], off
.LBB28_60:                              ;   in Loop: Header=BB28_61 Depth=2
	s_or_b32 exec_lo, exec_lo, s42
	v_add_nc_u32_e32 v4, 0x400, v4
	v_cmp_le_u32_e32 vcc_lo, s40, v4
	s_or_b32 s41, vcc_lo, s41
	s_andn2_b32 exec_lo, exec_lo, s41
	s_cbranch_execz .LBB28_2
.LBB28_61:                              ;   Parent Loop BB28_3 Depth=1
                                        ; =>  This Loop Header: Depth=2
                                        ;       Child Loop BB28_64 Depth 3
                                        ;       Child Loop BB28_67 Depth 3
	s_mov_b32 s42, exec_lo
	v_cmpx_gt_i32_e64 s35, v4
	s_cbranch_execz .LBB28_60
; %bb.62:                               ;   in Loop: Header=BB28_61 Depth=2
	v_ashrrev_i32_e32 v5, 31, v4
	s_mov_b32 s43, exec_lo
	v_lshlrev_b64 v[6:7], 2, v[4:5]
	v_add_co_u32 v8, vcc_lo, s8, v6
	v_add_co_ci_u32_e64 v9, null, s9, v7, vcc_lo
	v_add_co_u32 v10, vcc_lo, s10, v6
	v_add_co_ci_u32_e64 v11, null, s11, v7, vcc_lo
	global_load_dword v8, v[8:9], off
	global_load_dword v2, v[10:11], off
	s_waitcnt vmcnt(0)
	v_cmpx_lt_i32_e64 v8, v2
	s_cbranch_execz .LBB28_65
; %bb.63:                               ;   in Loop: Header=BB28_61 Depth=2
	v_subrev_nc_u32_e32 v8, s38, v8
	v_subrev_nc_u32_e32 v2, s38, v2
	s_mov_b32 s44, 0
	v_ashrrev_i32_e32 v9, 31, v8
	v_lshlrev_b64 v[11:12], 3, v[8:9]
	v_add_co_u32 v9, vcc_lo, s6, v11
	v_add_co_ci_u32_e64 v10, null, s7, v12, vcc_lo
	v_add_co_u32 v11, vcc_lo, s14, v11
	v_add_co_ci_u32_e64 v12, null, s15, v12, vcc_lo
	.p2align	6
.LBB28_64:                              ;   Parent Loop BB28_3 Depth=1
                                        ;     Parent Loop BB28_61 Depth=2
                                        ; =>    This Inner Loop Header: Depth=3
	global_load_dwordx2 v[20:21], v[9:10], off
	v_add_nc_u32_e32 v8, 1, v8
	v_add_co_u32 v9, vcc_lo, v9, 8
	v_add_co_ci_u32_e64 v10, null, 0, v10, vcc_lo
	v_cmp_ge_i32_e32 vcc_lo, v8, v2
	s_or_b32 s44, vcc_lo, s44
	s_waitcnt vmcnt(0)
	global_store_dwordx2 v[11:12], v[20:21], off
	v_add_co_u32 v11, s3, v11, 8
	v_add_co_ci_u32_e64 v12, null, 0, v12, s3
	s_andn2_b32 exec_lo, exec_lo, s44
	s_cbranch_execnz .LBB28_64
.LBB28_65:                              ;   in Loop: Header=BB28_61 Depth=2
	s_or_b32 exec_lo, exec_lo, s43
	v_add_co_u32 v8, vcc_lo, s24, v6
	v_add_co_ci_u32_e64 v9, null, s25, v7, vcc_lo
	v_add_co_u32 v10, vcc_lo, s26, v6
	v_add_co_ci_u32_e64 v11, null, s27, v7, vcc_lo
	global_load_dword v6, v[8:9], off
	global_load_dword v2, v[10:11], off
	s_mov_b32 s43, exec_lo
	s_waitcnt vmcnt(0)
	v_cmpx_lt_i32_e64 v6, v2
	s_cbranch_execz .LBB28_59
; %bb.66:                               ;   in Loop: Header=BB28_61 Depth=2
	v_subrev_nc_u32_e32 v6, s5, v6
	v_subrev_nc_u32_e32 v2, s5, v2
	s_mov_b32 s44, 0
	v_ashrrev_i32_e32 v7, 31, v6
	v_lshlrev_b64 v[9:10], 3, v[6:7]
	v_add_co_u32 v7, vcc_lo, s36, v9
	v_add_co_ci_u32_e64 v8, null, s37, v10, vcc_lo
	v_add_co_u32 v9, vcc_lo, s30, v9
	v_add_co_ci_u32_e64 v10, null, s31, v10, vcc_lo
	.p2align	6
.LBB28_67:                              ;   Parent Loop BB28_3 Depth=1
                                        ;     Parent Loop BB28_61 Depth=2
                                        ; =>    This Inner Loop Header: Depth=3
	global_load_dwordx2 v[11:12], v[7:8], off
	v_add_nc_u32_e32 v6, 1, v6
	v_add_co_u32 v7, vcc_lo, v7, 8
	v_add_co_ci_u32_e64 v8, null, 0, v8, vcc_lo
	v_cmp_ge_i32_e32 vcc_lo, v6, v2
	s_or_b32 s44, vcc_lo, s44
	s_waitcnt vmcnt(0)
	global_store_dwordx2 v[9:10], v[11:12], off
	v_add_co_u32 v9, s3, v9, 8
	v_add_co_ci_u32_e64 v10, null, 0, v10, s3
	s_andn2_b32 exec_lo, exec_lo, s44
	s_cbranch_execnz .LBB28_67
	s_branch .LBB28_59
.LBB28_68:
	s_endpgm
	.section	.rodata,"a",@progbits
	.p2align	6, 0x0
	.amdhsa_kernel _ZN9rocsparseL14kernel_freerunILi1024ELi1E21rocsparse_complex_numIfEiiEEvT3_S3_T2_PKS4_S6_PKS3_PKT1_21rocsparse_index_base_S6_S6_S8_PS9_SD_SC_S6_S6_S8_SD_SD_SC_SD_SD_
		.amdhsa_group_segment_fixed_size 0
		.amdhsa_private_segment_fixed_size 0
		.amdhsa_kernarg_size 168
		.amdhsa_user_sgpr_count 6
		.amdhsa_user_sgpr_private_segment_buffer 1
		.amdhsa_user_sgpr_dispatch_ptr 0
		.amdhsa_user_sgpr_queue_ptr 0
		.amdhsa_user_sgpr_kernarg_segment_ptr 1
		.amdhsa_user_sgpr_dispatch_id 0
		.amdhsa_user_sgpr_flat_scratch_init 0
		.amdhsa_user_sgpr_private_segment_size 0
		.amdhsa_wavefront_size32 1
		.amdhsa_uses_dynamic_stack 0
		.amdhsa_system_sgpr_private_segment_wavefront_offset 0
		.amdhsa_system_sgpr_workgroup_id_x 1
		.amdhsa_system_sgpr_workgroup_id_y 0
		.amdhsa_system_sgpr_workgroup_id_z 0
		.amdhsa_system_sgpr_workgroup_info 0
		.amdhsa_system_vgpr_workitem_id 0
		.amdhsa_next_free_vgpr 31
		.amdhsa_next_free_sgpr 52
		.amdhsa_reserve_vcc 1
		.amdhsa_reserve_flat_scratch 0
		.amdhsa_float_round_mode_32 0
		.amdhsa_float_round_mode_16_64 0
		.amdhsa_float_denorm_mode_32 3
		.amdhsa_float_denorm_mode_16_64 3
		.amdhsa_dx10_clamp 1
		.amdhsa_ieee_mode 1
		.amdhsa_fp16_overflow 0
		.amdhsa_workgroup_processor_mode 1
		.amdhsa_memory_ordered 1
		.amdhsa_forward_progress 1
		.amdhsa_shared_vgpr_count 0
		.amdhsa_exception_fp_ieee_invalid_op 0
		.amdhsa_exception_fp_denorm_src 0
		.amdhsa_exception_fp_ieee_div_zero 0
		.amdhsa_exception_fp_ieee_overflow 0
		.amdhsa_exception_fp_ieee_underflow 0
		.amdhsa_exception_fp_ieee_inexact 0
		.amdhsa_exception_int_div_zero 0
	.end_amdhsa_kernel
	.section	.text._ZN9rocsparseL14kernel_freerunILi1024ELi1E21rocsparse_complex_numIfEiiEEvT3_S3_T2_PKS4_S6_PKS3_PKT1_21rocsparse_index_base_S6_S6_S8_PS9_SD_SC_S6_S6_S8_SD_SD_SC_SD_SD_,"axG",@progbits,_ZN9rocsparseL14kernel_freerunILi1024ELi1E21rocsparse_complex_numIfEiiEEvT3_S3_T2_PKS4_S6_PKS3_PKT1_21rocsparse_index_base_S6_S6_S8_PS9_SD_SC_S6_S6_S8_SD_SD_SC_SD_SD_,comdat
.Lfunc_end28:
	.size	_ZN9rocsparseL14kernel_freerunILi1024ELi1E21rocsparse_complex_numIfEiiEEvT3_S3_T2_PKS4_S6_PKS3_PKT1_21rocsparse_index_base_S6_S6_S8_PS9_SD_SC_S6_S6_S8_SD_SD_SC_SD_SD_, .Lfunc_end28-_ZN9rocsparseL14kernel_freerunILi1024ELi1E21rocsparse_complex_numIfEiiEEvT3_S3_T2_PKS4_S6_PKS3_PKT1_21rocsparse_index_base_S6_S6_S8_PS9_SD_SC_S6_S6_S8_SD_SD_SC_SD_SD_
                                        ; -- End function
	.set _ZN9rocsparseL14kernel_freerunILi1024ELi1E21rocsparse_complex_numIfEiiEEvT3_S3_T2_PKS4_S6_PKS3_PKT1_21rocsparse_index_base_S6_S6_S8_PS9_SD_SC_S6_S6_S8_SD_SD_SC_SD_SD_.num_vgpr, 31
	.set _ZN9rocsparseL14kernel_freerunILi1024ELi1E21rocsparse_complex_numIfEiiEEvT3_S3_T2_PKS4_S6_PKS3_PKT1_21rocsparse_index_base_S6_S6_S8_PS9_SD_SC_S6_S6_S8_SD_SD_SC_SD_SD_.num_agpr, 0
	.set _ZN9rocsparseL14kernel_freerunILi1024ELi1E21rocsparse_complex_numIfEiiEEvT3_S3_T2_PKS4_S6_PKS3_PKT1_21rocsparse_index_base_S6_S6_S8_PS9_SD_SC_S6_S6_S8_SD_SD_SC_SD_SD_.numbered_sgpr, 52
	.set _ZN9rocsparseL14kernel_freerunILi1024ELi1E21rocsparse_complex_numIfEiiEEvT3_S3_T2_PKS4_S6_PKS3_PKT1_21rocsparse_index_base_S6_S6_S8_PS9_SD_SC_S6_S6_S8_SD_SD_SC_SD_SD_.num_named_barrier, 0
	.set _ZN9rocsparseL14kernel_freerunILi1024ELi1E21rocsparse_complex_numIfEiiEEvT3_S3_T2_PKS4_S6_PKS3_PKT1_21rocsparse_index_base_S6_S6_S8_PS9_SD_SC_S6_S6_S8_SD_SD_SC_SD_SD_.private_seg_size, 0
	.set _ZN9rocsparseL14kernel_freerunILi1024ELi1E21rocsparse_complex_numIfEiiEEvT3_S3_T2_PKS4_S6_PKS3_PKT1_21rocsparse_index_base_S6_S6_S8_PS9_SD_SC_S6_S6_S8_SD_SD_SC_SD_SD_.uses_vcc, 1
	.set _ZN9rocsparseL14kernel_freerunILi1024ELi1E21rocsparse_complex_numIfEiiEEvT3_S3_T2_PKS4_S6_PKS3_PKT1_21rocsparse_index_base_S6_S6_S8_PS9_SD_SC_S6_S6_S8_SD_SD_SC_SD_SD_.uses_flat_scratch, 0
	.set _ZN9rocsparseL14kernel_freerunILi1024ELi1E21rocsparse_complex_numIfEiiEEvT3_S3_T2_PKS4_S6_PKS3_PKT1_21rocsparse_index_base_S6_S6_S8_PS9_SD_SC_S6_S6_S8_SD_SD_SC_SD_SD_.has_dyn_sized_stack, 0
	.set _ZN9rocsparseL14kernel_freerunILi1024ELi1E21rocsparse_complex_numIfEiiEEvT3_S3_T2_PKS4_S6_PKS3_PKT1_21rocsparse_index_base_S6_S6_S8_PS9_SD_SC_S6_S6_S8_SD_SD_SC_SD_SD_.has_recursion, 0
	.set _ZN9rocsparseL14kernel_freerunILi1024ELi1E21rocsparse_complex_numIfEiiEEvT3_S3_T2_PKS4_S6_PKS3_PKT1_21rocsparse_index_base_S6_S6_S8_PS9_SD_SC_S6_S6_S8_SD_SD_SC_SD_SD_.has_indirect_call, 0
	.section	.AMDGPU.csdata,"",@progbits
; Kernel info:
; codeLenInByte = 3536
; TotalNumSgprs: 54
; NumVgprs: 31
; ScratchSize: 0
; MemoryBound: 0
; FloatMode: 240
; IeeeMode: 1
; LDSByteSize: 0 bytes/workgroup (compile time only)
; SGPRBlocks: 0
; VGPRBlocks: 3
; NumSGPRsForWavesPerEU: 54
; NumVGPRsForWavesPerEU: 31
; Occupancy: 16
; WaveLimiterHint : 1
; COMPUTE_PGM_RSRC2:SCRATCH_EN: 0
; COMPUTE_PGM_RSRC2:USER_SGPR: 6
; COMPUTE_PGM_RSRC2:TRAP_HANDLER: 0
; COMPUTE_PGM_RSRC2:TGID_X_EN: 1
; COMPUTE_PGM_RSRC2:TGID_Y_EN: 0
; COMPUTE_PGM_RSRC2:TGID_Z_EN: 0
; COMPUTE_PGM_RSRC2:TIDIG_COMP_CNT: 0
	.section	.text._ZN9rocsparseL14kernel_freerunILi1024ELi2E21rocsparse_complex_numIfEiiEEvT3_S3_T2_PKS4_S6_PKS3_PKT1_21rocsparse_index_base_S6_S6_S8_PS9_SD_SC_S6_S6_S8_SD_SD_SC_SD_SD_,"axG",@progbits,_ZN9rocsparseL14kernel_freerunILi1024ELi2E21rocsparse_complex_numIfEiiEEvT3_S3_T2_PKS4_S6_PKS3_PKT1_21rocsparse_index_base_S6_S6_S8_PS9_SD_SC_S6_S6_S8_SD_SD_SC_SD_SD_,comdat
	.globl	_ZN9rocsparseL14kernel_freerunILi1024ELi2E21rocsparse_complex_numIfEiiEEvT3_S3_T2_PKS4_S6_PKS3_PKT1_21rocsparse_index_base_S6_S6_S8_PS9_SD_SC_S6_S6_S8_SD_SD_SC_SD_SD_ ; -- Begin function _ZN9rocsparseL14kernel_freerunILi1024ELi2E21rocsparse_complex_numIfEiiEEvT3_S3_T2_PKS4_S6_PKS3_PKT1_21rocsparse_index_base_S6_S6_S8_PS9_SD_SC_S6_S6_S8_SD_SD_SC_SD_SD_
	.p2align	8
	.type	_ZN9rocsparseL14kernel_freerunILi1024ELi2E21rocsparse_complex_numIfEiiEEvT3_S3_T2_PKS4_S6_PKS3_PKT1_21rocsparse_index_base_S6_S6_S8_PS9_SD_SC_S6_S6_S8_SD_SD_SC_SD_SD_,@function
_ZN9rocsparseL14kernel_freerunILi1024ELi2E21rocsparse_complex_numIfEiiEEvT3_S3_T2_PKS4_S6_PKS3_PKT1_21rocsparse_index_base_S6_S6_S8_PS9_SD_SC_S6_S6_S8_SD_SD_SC_SD_SD_: ; @_ZN9rocsparseL14kernel_freerunILi1024ELi2E21rocsparse_complex_numIfEiiEEvT3_S3_T2_PKS4_S6_PKS3_PKT1_21rocsparse_index_base_S6_S6_S8_PS9_SD_SC_S6_S6_S8_SD_SD_SC_SD_SD_
; %bb.0:
	s_load_dwordx2 s[34:35], s[4:5], 0x0
	v_lshrrev_b32_e32 v1, 1, v0
	s_lshl_b32 s0, s6, 10
	s_mov_b32 s33, 0
	v_or_b32_e32 v12, s0, v1
	s_waitcnt lgkmcnt(0)
	v_cmp_gt_i32_e32 vcc_lo, s35, v12
	s_cmp_gt_i32 s34, 0
	s_cselect_b32 s1, -1, 0
	s_and_b32 s1, vcc_lo, s1
	s_and_saveexec_b32 s2, s1
	s_cbranch_execz .LBB29_72
; %bb.1:
	s_clause 0x8
	s_load_dword s42, s[4:5], 0x30
	s_load_dword s43, s[4:5], 0x60
	;; [unrolled: 1-line block ×3, first 2 shown]
	s_load_dwordx2 s[6:7], s[4:5], 0x88
	s_load_dwordx2 s[40:41], s[4:5], 0x58
	s_load_dwordx4 s[36:39], s[4:5], 0x98
	s_load_dwordx8 s[8:15], s[4:5], 0x68
	s_load_dwordx8 s[16:23], s[4:5], 0x38
	;; [unrolled: 1-line block ×3, first 2 shown]
	v_and_b32_e32 v0, 1, v0
	s_add_i32 s5, s0, 0x400
	v_mov_b32_e32 v1, 0
	v_cmp_gt_u32_e64 s0, s5, v12
	v_cmp_eq_u32_e64 s1, 0, v0
	s_waitcnt lgkmcnt(0)
	v_subrev_nc_u32_e32 v13, s42, v0
	v_subrev_nc_u32_e32 v14, s43, v0
	;; [unrolled: 1-line block ×3, first 2 shown]
	s_branch .LBB29_3
.LBB29_2:                               ;   in Loop: Header=BB29_3 Depth=1
	s_or_b32 exec_lo, exec_lo, s3
	s_add_i32 s33, s33, 1
	s_cmp_eq_u32 s33, s34
	s_cbranch_scc1 .LBB29_72
.LBB29_3:                               ; =>This Loop Header: Depth=1
                                        ;     Child Loop BB29_5 Depth 2
                                        ;       Child Loop BB29_9 Depth 3
                                        ;         Child Loop BB29_13 Depth 4
                                        ;         Child Loop BB29_43 Depth 4
	;; [unrolled: 1-line block ×3, first 2 shown]
                                        ;     Child Loop BB29_63 Depth 2
                                        ;       Child Loop BB29_66 Depth 3
                                        ;       Child Loop BB29_69 Depth 3
	s_mov_b32 s2, 0
	s_mov_b32 s45, -1
	s_branch .LBB29_5
.LBB29_4:                               ;   in Loop: Header=BB29_5 Depth=2
	s_or_b32 exec_lo, exec_lo, s46
	s_xor_b32 s3, s45, -1
	s_movk_i32 s2, 0x200
	s_and_b32 vcc_lo, exec_lo, s3
	s_mov_b32 s45, 0
	s_cbranch_vccnz .LBB29_60
.LBB29_5:                               ;   Parent Loop BB29_3 Depth=1
                                        ; =>  This Loop Header: Depth=2
                                        ;       Child Loop BB29_9 Depth 3
                                        ;         Child Loop BB29_13 Depth 4
                                        ;         Child Loop BB29_43 Depth 4
	;; [unrolled: 1-line block ×3, first 2 shown]
	v_or_b32_e32 v2, s2, v12
	s_mov_b32 s46, exec_lo
	v_cmpx_gt_i32_e64 s35, v2
	s_cbranch_execz .LBB29_4
; %bb.6:                                ;   in Loop: Header=BB29_5 Depth=2
	v_ashrrev_i32_e32 v3, 31, v2
	v_lshlrev_b64 v[4:5], 2, v[2:3]
	v_add_co_u32 v6, vcc_lo, s24, v4
	v_add_co_ci_u32_e64 v7, null, s25, v5, vcc_lo
	v_add_co_u32 v8, vcc_lo, s26, v4
	v_add_co_ci_u32_e64 v9, null, s27, v5, vcc_lo
	global_load_dword v0, v[6:7], off
	global_load_dword v6, v[8:9], off
	s_waitcnt vmcnt(1)
	v_add_nc_u32_e32 v3, v13, v0
	s_waitcnt vmcnt(0)
	v_subrev_nc_u32_e32 v16, s42, v6
	v_cmp_lt_i32_e32 vcc_lo, v3, v16
	s_and_b32 exec_lo, exec_lo, vcc_lo
	s_cbranch_execz .LBB29_4
; %bb.7:                                ;   in Loop: Header=BB29_5 Depth=2
	v_add_co_u32 v6, vcc_lo, s16, v4
	v_add_co_ci_u32_e64 v7, null, s17, v5, vcc_lo
	v_add_co_u32 v4, vcc_lo, s18, v4
	v_add_co_ci_u32_e64 v5, null, s19, v5, vcc_lo
	global_load_dword v0, v[6:7], off
	s_mov_b32 s47, 0
	global_load_dword v4, v[4:5], off
	s_waitcnt vmcnt(1)
	v_subrev_nc_u32_e32 v5, s43, v0
	s_waitcnt vmcnt(0)
	v_sub_nc_u32_e32 v17, v4, v0
	v_ashrrev_i32_e32 v6, 31, v5
	v_cmp_lt_i32_e64 s2, 0, v17
	v_lshlrev_b64 v[7:8], 2, v[5:6]
	v_lshlrev_b64 v[9:10], 3, v[5:6]
	v_add_co_u32 v18, vcc_lo, s20, v7
	v_add_co_ci_u32_e64 v19, null, s21, v8, vcc_lo
	v_add_co_u32 v20, vcc_lo, s22, v9
	v_add_co_ci_u32_e64 v21, null, s23, v10, vcc_lo
	s_branch .LBB29_9
.LBB29_8:                               ;   in Loop: Header=BB29_9 Depth=3
	s_or_b32 exec_lo, exec_lo, s4
	v_add_nc_u32_e32 v3, 2, v3
	v_cmp_ge_i32_e32 vcc_lo, v3, v16
	s_or_b32 s47, vcc_lo, s47
	s_andn2_b32 exec_lo, exec_lo, s47
	s_cbranch_execz .LBB29_4
.LBB29_9:                               ;   Parent Loop BB29_3 Depth=1
                                        ;     Parent Loop BB29_5 Depth=2
                                        ; =>    This Loop Header: Depth=3
                                        ;         Child Loop BB29_13 Depth 4
                                        ;         Child Loop BB29_43 Depth 4
	;; [unrolled: 1-line block ×3, first 2 shown]
	v_ashrrev_i32_e32 v4, 31, v3
	v_mov_b32_e32 v24, 0
	v_lshlrev_b64 v[6:7], 2, v[3:4]
	v_add_co_u32 v6, vcc_lo, s28, v6
	v_add_co_ci_u32_e64 v7, null, s29, v7, vcc_lo
	global_load_dword v0, v[6:7], off
	s_waitcnt vmcnt(0)
	v_subrev_nc_u32_e32 v6, s42, v0
	v_mov_b32_e32 v0, 0
	v_ashrrev_i32_e32 v7, 31, v6
	v_lshlrev_b64 v[8:9], 2, v[6:7]
	v_add_co_u32 v10, vcc_lo, s8, v8
	v_add_co_ci_u32_e64 v11, null, s9, v9, vcc_lo
	v_add_co_u32 v8, vcc_lo, s10, v8
	v_add_co_ci_u32_e64 v9, null, s11, v9, vcc_lo
	global_load_dword v10, v[10:11], off
	global_load_dword v9, v[8:9], off
	v_mov_b32_e32 v11, 0
	s_waitcnt vmcnt(1)
	v_subrev_nc_u32_e32 v8, s44, v10
	s_waitcnt vmcnt(0)
	v_sub_nc_u32_e32 v22, v9, v10
	v_mov_b32_e32 v9, v0
	s_and_saveexec_b32 s4, s2
	s_cbranch_execz .LBB29_17
; %bb.10:                               ;   in Loop: Header=BB29_9 Depth=3
	v_ashrrev_i32_e32 v9, 31, v8
	v_mov_b32_e32 v11, 0
	v_mov_b32_e32 v0, 0
	s_mov_b32 s48, 0
                                        ; implicit-def: $sgpr49
	v_lshlrev_b64 v[23:24], 2, v[8:9]
	v_lshlrev_b64 v[9:10], 3, v[8:9]
	v_add_co_u32 v23, vcc_lo, s12, v23
	v_add_co_ci_u32_e64 v25, null, s13, v24, vcc_lo
	v_add_co_u32 v26, vcc_lo, s14, v9
	v_add_co_ci_u32_e64 v27, null, s15, v10, vcc_lo
	v_mov_b32_e32 v9, 0
	v_mov_b32_e32 v24, 0
	s_branch .LBB29_13
.LBB29_11:                              ;   in Loop: Header=BB29_13 Depth=4
	s_or_b32 exec_lo, exec_lo, s3
	v_cmp_le_i32_e32 vcc_lo, v28, v29
	v_cmp_ge_i32_e64 s3, v28, v29
	v_add_co_ci_u32_e64 v0, null, 0, v0, vcc_lo
	v_add_co_ci_u32_e64 v9, null, 0, v9, s3
	s_andn2_b32 s3, s49, exec_lo
	v_cmp_ge_i32_e32 vcc_lo, v0, v17
	s_and_b32 s49, vcc_lo, exec_lo
	s_or_b32 s49, s3, s49
.LBB29_12:                              ;   in Loop: Header=BB29_13 Depth=4
	s_or_b32 exec_lo, exec_lo, s50
	s_and_b32 s3, exec_lo, s49
	s_or_b32 s48, s3, s48
	s_andn2_b32 exec_lo, exec_lo, s48
	s_cbranch_execz .LBB29_16
.LBB29_13:                              ;   Parent Loop BB29_3 Depth=1
                                        ;     Parent Loop BB29_5 Depth=2
                                        ;       Parent Loop BB29_9 Depth=3
                                        ; =>      This Inner Loop Header: Depth=4
	s_or_b32 s49, s49, exec_lo
	s_mov_b32 s50, exec_lo
	v_cmpx_lt_i32_e64 v9, v22
	s_cbranch_execz .LBB29_12
; %bb.14:                               ;   in Loop: Header=BB29_13 Depth=4
	v_mov_b32_e32 v10, v1
	v_lshlrev_b64 v[28:29], 2, v[0:1]
	s_mov_b32 s3, exec_lo
	v_lshlrev_b64 v[30:31], 2, v[9:10]
	v_add_co_u32 v28, vcc_lo, v18, v28
	v_add_co_ci_u32_e64 v29, null, v19, v29, vcc_lo
	v_add_co_u32 v30, vcc_lo, v23, v30
	v_add_co_ci_u32_e64 v31, null, v25, v31, vcc_lo
	global_load_dword v28, v[28:29], off
	global_load_dword v29, v[30:31], off
	s_waitcnt vmcnt(1)
	v_subrev_nc_u32_e32 v28, s43, v28
	s_waitcnt vmcnt(0)
	v_subrev_nc_u32_e32 v29, s44, v29
	v_cmpx_eq_u32_e64 v28, v29
	s_cbranch_execz .LBB29_11
; %bb.15:                               ;   in Loop: Header=BB29_13 Depth=4
	v_lshlrev_b64 v[30:31], 3, v[0:1]
	v_lshlrev_b64 v[32:33], 3, v[9:10]
	v_add_co_u32 v30, vcc_lo, v20, v30
	v_add_co_ci_u32_e64 v31, null, v21, v31, vcc_lo
	v_add_co_u32 v32, vcc_lo, v26, v32
	v_add_co_ci_u32_e64 v33, null, v27, v33, vcc_lo
	global_load_dwordx2 v[30:31], v[30:31], off
	global_load_dwordx2 v[32:33], v[32:33], off
	s_waitcnt vmcnt(0)
	v_fmac_f32_e32 v11, v30, v32
	v_fmac_f32_e32 v24, v31, v32
	v_fma_f32 v11, -v31, v33, v11
	v_fmac_f32_e32 v24, v30, v33
	s_branch .LBB29_11
.LBB29_16:                              ;   in Loop: Header=BB29_9 Depth=3
	s_or_b32 exec_lo, exec_lo, s48
.LBB29_17:                              ;   in Loop: Header=BB29_9 Depth=3
	s_or_b32 exec_lo, exec_lo, s4
	v_lshlrev_b64 v[25:26], 3, v[3:4]
	v_cmp_le_i32_e64 s3, v2, v6
	s_mov_b32 s48, exec_lo
	v_add_co_u32 v25, vcc_lo, s30, v25
	v_add_co_ci_u32_e64 v26, null, s31, v26, vcc_lo
	global_load_dwordx2 v[25:26], v[25:26], off
	s_waitcnt vmcnt(0)
	v_sub_f32_e32 v23, v25, v11
	v_sub_f32_e32 v4, v26, v24
	v_cmpx_gt_i32_e64 v2, v6
	s_cbranch_execz .LBB29_27
; %bb.18:                               ;   in Loop: Header=BB29_9 Depth=3
	v_lshlrev_b64 v[10:11], 3, v[6:7]
                                        ; implicit-def: $vgpr26
	s_mov_b32 s4, exec_lo
	v_add_co_u32 v10, vcc_lo, s36, v10
	v_add_co_ci_u32_e64 v11, null, s37, v11, vcc_lo
	global_load_dwordx2 v[10:11], v[10:11], off
	s_waitcnt vmcnt(0)
	v_cmp_gt_f32_e32 vcc_lo, 0, v10
	v_cndmask_b32_e64 v24, v10, -v10, vcc_lo
	v_cmp_gt_f32_e32 vcc_lo, 0, v11
	v_cndmask_b32_e64 v25, v11, -v11, vcc_lo
	v_cmpx_ngt_f32_e32 v24, v25
	s_xor_b32 s49, exec_lo, s4
	s_cbranch_execz .LBB29_22
; %bb.19:                               ;   in Loop: Header=BB29_9 Depth=3
	v_mov_b32_e32 v26, 0
	s_mov_b32 s50, exec_lo
	v_cmpx_neq_f32_e32 0, v11
	s_cbranch_execz .LBB29_21
; %bb.20:                               ;   in Loop: Header=BB29_9 Depth=3
	v_div_scale_f32 v26, null, v25, v25, v24
	v_div_scale_f32 v29, vcc_lo, v24, v25, v24
	v_rcp_f32_e32 v27, v26
	v_fma_f32 v28, -v26, v27, 1.0
	v_fmac_f32_e32 v27, v28, v27
	v_mul_f32_e32 v28, v29, v27
	v_fma_f32 v30, -v26, v28, v29
	v_fmac_f32_e32 v28, v30, v27
	v_fma_f32 v26, -v26, v28, v29
	v_div_fmas_f32 v26, v26, v27, v28
	v_div_fixup_f32 v24, v26, v25, v24
	v_fma_f32 v24, v24, v24, 1.0
	v_mul_f32_e32 v26, 0x4f800000, v24
	v_cmp_gt_f32_e32 vcc_lo, 0xf800000, v24
	v_cndmask_b32_e32 v24, v24, v26, vcc_lo
	v_sqrt_f32_e32 v26, v24
	v_add_nc_u32_e32 v27, -1, v26
	v_add_nc_u32_e32 v28, 1, v26
	v_fma_f32 v29, -v27, v26, v24
	v_fma_f32 v30, -v28, v26, v24
	v_cmp_ge_f32_e64 s4, 0, v29
	v_cndmask_b32_e64 v26, v26, v27, s4
	v_cmp_lt_f32_e64 s4, 0, v30
	v_cndmask_b32_e64 v26, v26, v28, s4
	v_mul_f32_e32 v27, 0x37800000, v26
	v_cndmask_b32_e32 v26, v26, v27, vcc_lo
	v_cmp_class_f32_e64 vcc_lo, v24, 0x260
	v_cndmask_b32_e32 v24, v26, v24, vcc_lo
	v_mul_f32_e32 v26, v25, v24
.LBB29_21:                              ;   in Loop: Header=BB29_9 Depth=3
	s_or_b32 exec_lo, exec_lo, s50
                                        ; implicit-def: $vgpr24
                                        ; implicit-def: $vgpr25
.LBB29_22:                              ;   in Loop: Header=BB29_9 Depth=3
	s_andn2_saveexec_b32 s49, s49
	s_cbranch_execz .LBB29_24
; %bb.23:                               ;   in Loop: Header=BB29_9 Depth=3
	v_div_scale_f32 v26, null, v24, v24, v25
	v_div_scale_f32 v29, vcc_lo, v25, v24, v25
	v_rcp_f32_e32 v27, v26
	v_fma_f32 v28, -v26, v27, 1.0
	v_fmac_f32_e32 v27, v28, v27
	v_mul_f32_e32 v28, v29, v27
	v_fma_f32 v30, -v26, v28, v29
	v_fmac_f32_e32 v28, v30, v27
	v_fma_f32 v26, -v26, v28, v29
	v_div_fmas_f32 v26, v26, v27, v28
	v_div_fixup_f32 v25, v26, v24, v25
	v_fma_f32 v25, v25, v25, 1.0
	v_mul_f32_e32 v26, 0x4f800000, v25
	v_cmp_gt_f32_e32 vcc_lo, 0xf800000, v25
	v_cndmask_b32_e32 v25, v25, v26, vcc_lo
	v_sqrt_f32_e32 v26, v25
	v_add_nc_u32_e32 v27, -1, v26
	v_add_nc_u32_e32 v28, 1, v26
	v_fma_f32 v29, -v27, v26, v25
	v_fma_f32 v30, -v28, v26, v25
	v_cmp_ge_f32_e64 s4, 0, v29
	v_cndmask_b32_e64 v26, v26, v27, s4
	v_cmp_lt_f32_e64 s4, 0, v30
	v_cndmask_b32_e64 v26, v26, v28, s4
	v_mul_f32_e32 v27, 0x37800000, v26
	v_cndmask_b32_e32 v26, v26, v27, vcc_lo
	v_cmp_class_f32_e64 vcc_lo, v25, 0x260
	v_cndmask_b32_e32 v25, v26, v25, vcc_lo
	v_mul_f32_e32 v26, v24, v25
.LBB29_24:                              ;   in Loop: Header=BB29_9 Depth=3
	s_or_b32 exec_lo, exec_lo, s49
	v_mov_b32_e32 v24, 0
	v_mov_b32_e32 v25, 0
	s_mov_b32 s4, exec_lo
	v_cmpx_lt_f32_e32 0, v26
	s_cbranch_execz .LBB29_26
; %bb.25:                               ;   in Loop: Header=BB29_9 Depth=3
	v_mul_f32_e32 v24, v11, v11
	v_fmac_f32_e32 v24, v10, v10
	v_div_scale_f32 v25, null, v24, v24, 1.0
	v_div_scale_f32 v28, vcc_lo, 1.0, v24, 1.0
	v_rcp_f32_e32 v26, v25
	v_fma_f32 v27, -v25, v26, 1.0
	v_fmac_f32_e32 v26, v27, v26
	v_mul_f32_e32 v27, v28, v26
	v_fma_f32 v29, -v25, v27, v28
	v_fmac_f32_e32 v27, v29, v26
	v_fma_f32 v25, -v25, v27, v28
	v_mul_f32_e32 v28, v4, v11
	v_mul_f32_e64 v11, v11, -v23
	v_div_fmas_f32 v25, v25, v26, v27
	v_fmac_f32_e32 v28, v23, v10
	v_fmac_f32_e32 v11, v4, v10
	v_div_fixup_f32 v23, v25, v24, 1.0
	v_mul_f32_e32 v24, v28, v23
	v_mul_f32_e32 v25, v11, v23
.LBB29_26:                              ;   in Loop: Header=BB29_9 Depth=3
	s_or_b32 exec_lo, exec_lo, s4
	v_mov_b32_e32 v23, v24
	v_mov_b32_e32 v4, v25
.LBB29_27:                              ;   in Loop: Header=BB29_9 Depth=3
	s_or_b32 exec_lo, exec_lo, s48
	v_cmp_gt_f32_e32 vcc_lo, 0, v23
                                        ; implicit-def: $vgpr24
	s_mov_b32 s4, exec_lo
	v_cndmask_b32_e64 v10, v23, -v23, vcc_lo
	v_cmp_gt_f32_e32 vcc_lo, 0, v4
	v_cndmask_b32_e64 v11, v4, -v4, vcc_lo
	v_cmpx_ngt_f32_e32 v10, v11
	s_xor_b32 s48, exec_lo, s4
	s_cbranch_execnz .LBB29_30
; %bb.28:                               ;   in Loop: Header=BB29_9 Depth=3
	s_andn2_saveexec_b32 s48, s48
	s_cbranch_execnz .LBB29_33
.LBB29_29:                              ;   in Loop: Header=BB29_9 Depth=3
	s_or_b32 exec_lo, exec_lo, s48
	v_cmp_class_f32_e64 s48, v24, 0x1f8
	s_and_saveexec_b32 s4, s48
	s_cbranch_execz .LBB29_8
	s_branch .LBB29_34
.LBB29_30:                              ;   in Loop: Header=BB29_9 Depth=3
	v_mov_b32_e32 v24, 0
	s_mov_b32 s49, exec_lo
	v_cmpx_neq_f32_e32 0, v4
	s_cbranch_execz .LBB29_32
; %bb.31:                               ;   in Loop: Header=BB29_9 Depth=3
	v_div_scale_f32 v24, null, v11, v11, v10
	v_div_scale_f32 v27, vcc_lo, v10, v11, v10
	v_rcp_f32_e32 v25, v24
	v_fma_f32 v26, -v24, v25, 1.0
	v_fmac_f32_e32 v25, v26, v25
	v_mul_f32_e32 v26, v27, v25
	v_fma_f32 v28, -v24, v26, v27
	v_fmac_f32_e32 v26, v28, v25
	v_fma_f32 v24, -v24, v26, v27
	v_div_fmas_f32 v24, v24, v25, v26
	v_div_fixup_f32 v10, v24, v11, v10
	v_fma_f32 v10, v10, v10, 1.0
	v_mul_f32_e32 v24, 0x4f800000, v10
	v_cmp_gt_f32_e32 vcc_lo, 0xf800000, v10
	v_cndmask_b32_e32 v10, v10, v24, vcc_lo
	v_sqrt_f32_e32 v24, v10
	v_add_nc_u32_e32 v25, -1, v24
	v_add_nc_u32_e32 v26, 1, v24
	v_fma_f32 v27, -v25, v24, v10
	v_fma_f32 v28, -v26, v24, v10
	v_cmp_ge_f32_e64 s4, 0, v27
	v_cndmask_b32_e64 v24, v24, v25, s4
	v_cmp_lt_f32_e64 s4, 0, v28
	v_cndmask_b32_e64 v24, v24, v26, s4
	v_mul_f32_e32 v25, 0x37800000, v24
	v_cndmask_b32_e32 v24, v24, v25, vcc_lo
	v_cmp_class_f32_e64 vcc_lo, v10, 0x260
	v_cndmask_b32_e32 v10, v24, v10, vcc_lo
	v_mul_f32_e32 v24, v11, v10
.LBB29_32:                              ;   in Loop: Header=BB29_9 Depth=3
	s_or_b32 exec_lo, exec_lo, s49
                                        ; implicit-def: $vgpr10
                                        ; implicit-def: $vgpr11
	s_andn2_saveexec_b32 s48, s48
	s_cbranch_execz .LBB29_29
.LBB29_33:                              ;   in Loop: Header=BB29_9 Depth=3
	v_div_scale_f32 v24, null, v10, v10, v11
	v_div_scale_f32 v27, vcc_lo, v11, v10, v11
	v_rcp_f32_e32 v25, v24
	v_fma_f32 v26, -v24, v25, 1.0
	v_fmac_f32_e32 v25, v26, v25
	v_mul_f32_e32 v26, v27, v25
	v_fma_f32 v28, -v24, v26, v27
	v_fmac_f32_e32 v26, v28, v25
	v_fma_f32 v24, -v24, v26, v27
	v_div_fmas_f32 v24, v24, v25, v26
	v_div_fixup_f32 v11, v24, v10, v11
	v_fma_f32 v11, v11, v11, 1.0
	v_mul_f32_e32 v24, 0x4f800000, v11
	v_cmp_gt_f32_e32 vcc_lo, 0xf800000, v11
	v_cndmask_b32_e32 v11, v11, v24, vcc_lo
	v_sqrt_f32_e32 v24, v11
	v_add_nc_u32_e32 v25, -1, v24
	v_add_nc_u32_e32 v26, 1, v24
	v_fma_f32 v27, -v25, v24, v11
	v_fma_f32 v28, -v26, v24, v11
	v_cmp_ge_f32_e64 s4, 0, v27
	v_cndmask_b32_e64 v24, v24, v25, s4
	v_cmp_lt_f32_e64 s4, 0, v28
	v_cndmask_b32_e64 v24, v24, v26, s4
	v_mul_f32_e32 v25, 0x37800000, v24
	v_cndmask_b32_e32 v24, v24, v25, vcc_lo
	v_cmp_class_f32_e64 vcc_lo, v11, 0x260
	v_cndmask_b32_e32 v11, v24, v11, vcc_lo
	v_mul_f32_e32 v24, v10, v11
	s_or_b32 exec_lo, exec_lo, s48
	v_cmp_class_f32_e64 s48, v24, 0x1f8
	s_and_saveexec_b32 s4, s48
	s_cbranch_execz .LBB29_8
.LBB29_34:                              ;   in Loop: Header=BB29_9 Depth=3
	s_mov_b32 s48, 0
                                        ; implicit-def: $vgpr10_vgpr11
	s_and_saveexec_b32 s49, s3
	s_xor_b32 s3, exec_lo, s49
	s_cbranch_execnz .LBB29_37
; %bb.35:                               ;   in Loop: Header=BB29_9 Depth=3
	s_andn2_saveexec_b32 s3, s3
	s_cbranch_execnz .LBB29_50
.LBB29_36:                              ;   in Loop: Header=BB29_9 Depth=3
	s_or_b32 exec_lo, exec_lo, s3
	s_and_b32 exec_lo, exec_lo, s48
	s_cbranch_execz .LBB29_8
	s_branch .LBB29_59
.LBB29_37:                              ;   in Loop: Header=BB29_9 Depth=3
	s_mov_b32 s49, exec_lo
                                        ; implicit-def: $vgpr10_vgpr11
	v_cmpx_ge_i32_e64 v2, v6
	s_xor_b32 s49, exec_lo, s49
	s_cbranch_execz .LBB29_39
; %bb.38:                               ;   in Loop: Header=BB29_9 Depth=3
	v_lshlrev_b64 v[6:7], 3, v[6:7]
	s_mov_b32 s48, exec_lo
                                        ; implicit-def: $vgpr9
                                        ; implicit-def: $vgpr22
                                        ; implicit-def: $vgpr8
	v_add_co_u32 v10, vcc_lo, s38, v6
	v_add_co_ci_u32_e64 v11, null, s39, v7, vcc_lo
	global_store_dword v[10:11], v23, off
                                        ; implicit-def: $vgpr23
.LBB29_39:                              ;   in Loop: Header=BB29_9 Depth=3
	s_andn2_saveexec_b32 s49, s49
	s_cbranch_execz .LBB29_49
; %bb.40:                               ;   in Loop: Header=BB29_9 Depth=3
	s_mov_b32 s51, s48
	s_mov_b32 s50, exec_lo
                                        ; implicit-def: $vgpr10_vgpr11
	v_cmpx_lt_i32_e64 v9, v22
	s_cbranch_execz .LBB29_48
; %bb.41:                               ;   in Loop: Header=BB29_9 Depth=3
	s_mov_b32 s52, 0
                                        ; implicit-def: $sgpr51
                                        ; implicit-def: $sgpr54
                                        ; implicit-def: $sgpr53
	s_inst_prefetch 0x1
	s_branch .LBB29_43
	.p2align	6
.LBB29_42:                              ;   in Loop: Header=BB29_43 Depth=4
	s_or_b32 exec_lo, exec_lo, s55
	s_and_b32 s55, exec_lo, s54
	s_or_b32 s52, s55, s52
	s_andn2_b32 s51, s51, exec_lo
	s_and_b32 s55, s53, exec_lo
	s_or_b32 s51, s51, s55
	s_andn2_b32 exec_lo, exec_lo, s52
	s_cbranch_execz .LBB29_45
.LBB29_43:                              ;   Parent Loop BB29_3 Depth=1
                                        ;     Parent Loop BB29_5 Depth=2
                                        ;       Parent Loop BB29_9 Depth=3
                                        ; =>      This Inner Loop Header: Depth=4
	v_add_nc_u32_e32 v6, v8, v9
	s_or_b32 s53, s53, exec_lo
	s_or_b32 s54, s54, exec_lo
	s_mov_b32 s55, exec_lo
	v_ashrrev_i32_e32 v7, 31, v6
	v_lshlrev_b64 v[10:11], 2, v[6:7]
	v_add_co_u32 v10, vcc_lo, s12, v10
	v_add_co_ci_u32_e64 v11, null, s13, v11, vcc_lo
	global_load_dword v0, v[10:11], off
	s_waitcnt vmcnt(0)
	v_subrev_nc_u32_e32 v0, s44, v0
	v_cmpx_ne_u32_e64 v0, v2
	s_cbranch_execz .LBB29_42
; %bb.44:                               ;   in Loop: Header=BB29_43 Depth=4
	v_add_nc_u32_e32 v9, 1, v9
	s_andn2_b32 s54, s54, exec_lo
	s_andn2_b32 s53, s53, exec_lo
	v_cmp_ge_i32_e32 vcc_lo, v9, v22
	s_and_b32 s56, vcc_lo, exec_lo
	s_or_b32 s54, s54, s56
	s_branch .LBB29_42
.LBB29_45:                              ;   in Loop: Header=BB29_9 Depth=3
	s_inst_prefetch 0x2
	s_or_b32 exec_lo, exec_lo, s52
	s_mov_b32 s52, s48
                                        ; implicit-def: $vgpr10_vgpr11
	s_and_saveexec_b32 s53, s51
	s_xor_b32 s51, exec_lo, s53
	s_cbranch_execz .LBB29_47
; %bb.46:                               ;   in Loop: Header=BB29_9 Depth=3
	v_lshlrev_b64 v[6:7], 3, v[6:7]
	s_or_b32 s52, s48, exec_lo
	v_add_co_u32 v10, vcc_lo, s6, v6
	v_add_co_ci_u32_e64 v11, null, s7, v7, vcc_lo
	global_store_dword v[10:11], v23, off
.LBB29_47:                              ;   in Loop: Header=BB29_9 Depth=3
	s_or_b32 exec_lo, exec_lo, s51
	s_andn2_b32 s51, s48, exec_lo
	s_and_b32 s52, s52, exec_lo
	s_or_b32 s51, s51, s52
.LBB29_48:                              ;   in Loop: Header=BB29_9 Depth=3
	s_or_b32 exec_lo, exec_lo, s50
	s_andn2_b32 s48, s48, exec_lo
	s_and_b32 s50, s51, exec_lo
	s_or_b32 s48, s48, s50
.LBB29_49:                              ;   in Loop: Header=BB29_9 Depth=3
	s_or_b32 exec_lo, exec_lo, s49
	s_and_b32 s48, s48, exec_lo
                                        ; implicit-def: $vgpr23
                                        ; implicit-def: $vgpr6_vgpr7
	s_andn2_saveexec_b32 s3, s3
	s_cbranch_execz .LBB29_36
.LBB29_50:                              ;   in Loop: Header=BB29_9 Depth=3
	s_mov_b32 s50, s48
	s_mov_b32 s49, exec_lo
                                        ; implicit-def: $vgpr10_vgpr11
	v_cmpx_lt_i32_e64 v0, v17
	s_cbranch_execz .LBB29_58
; %bb.51:                               ;   in Loop: Header=BB29_9 Depth=3
	s_mov_b32 s51, 0
                                        ; implicit-def: $sgpr50
                                        ; implicit-def: $sgpr53
                                        ; implicit-def: $sgpr52
	s_inst_prefetch 0x1
	s_branch .LBB29_53
	.p2align	6
.LBB29_52:                              ;   in Loop: Header=BB29_53 Depth=4
	s_or_b32 exec_lo, exec_lo, s54
	s_and_b32 s54, exec_lo, s53
	s_or_b32 s51, s54, s51
	s_andn2_b32 s50, s50, exec_lo
	s_and_b32 s54, s52, exec_lo
	s_or_b32 s50, s50, s54
	s_andn2_b32 exec_lo, exec_lo, s51
	s_cbranch_execz .LBB29_55
.LBB29_53:                              ;   Parent Loop BB29_3 Depth=1
                                        ;     Parent Loop BB29_5 Depth=2
                                        ;       Parent Loop BB29_9 Depth=3
                                        ; =>      This Inner Loop Header: Depth=4
	v_add_nc_u32_e32 v7, v5, v0
	s_or_b32 s52, s52, exec_lo
	s_or_b32 s53, s53, exec_lo
	s_mov_b32 s54, exec_lo
	v_ashrrev_i32_e32 v8, 31, v7
	v_lshlrev_b64 v[9:10], 2, v[7:8]
	v_add_co_u32 v9, vcc_lo, s20, v9
	v_add_co_ci_u32_e64 v10, null, s21, v10, vcc_lo
	global_load_dword v9, v[9:10], off
	s_waitcnt vmcnt(0)
	v_subrev_nc_u32_e32 v9, s43, v9
	v_cmpx_ne_u32_e64 v9, v6
	s_cbranch_execz .LBB29_52
; %bb.54:                               ;   in Loop: Header=BB29_53 Depth=4
	v_add_nc_u32_e32 v0, 1, v0
	s_andn2_b32 s53, s53, exec_lo
	s_andn2_b32 s52, s52, exec_lo
	v_cmp_ge_i32_e32 vcc_lo, v0, v17
	s_and_b32 s55, vcc_lo, exec_lo
	s_or_b32 s53, s53, s55
	s_branch .LBB29_52
.LBB29_55:                              ;   in Loop: Header=BB29_9 Depth=3
	s_inst_prefetch 0x2
	s_or_b32 exec_lo, exec_lo, s51
	s_mov_b32 s51, s48
                                        ; implicit-def: $vgpr10_vgpr11
	s_and_saveexec_b32 s52, s50
	s_xor_b32 s50, exec_lo, s52
	s_cbranch_execz .LBB29_57
; %bb.56:                               ;   in Loop: Header=BB29_9 Depth=3
	v_lshlrev_b64 v[6:7], 3, v[7:8]
	s_or_b32 s51, s48, exec_lo
	v_add_co_u32 v10, vcc_lo, s40, v6
	v_add_co_ci_u32_e64 v11, null, s41, v7, vcc_lo
	global_store_dword v[10:11], v23, off
.LBB29_57:                              ;   in Loop: Header=BB29_9 Depth=3
	s_or_b32 exec_lo, exec_lo, s50
	s_andn2_b32 s50, s48, exec_lo
	s_and_b32 s51, s51, exec_lo
	s_or_b32 s50, s50, s51
.LBB29_58:                              ;   in Loop: Header=BB29_9 Depth=3
	s_or_b32 exec_lo, exec_lo, s49
	s_andn2_b32 s48, s48, exec_lo
	s_and_b32 s49, s50, exec_lo
	s_or_b32 s48, s48, s49
	s_or_b32 exec_lo, exec_lo, s3
	s_and_b32 exec_lo, exec_lo, s48
	s_cbranch_execz .LBB29_8
.LBB29_59:                              ;   in Loop: Header=BB29_9 Depth=3
	global_store_dword v[10:11], v4, off offset:4
	s_branch .LBB29_8
.LBB29_60:                              ;   in Loop: Header=BB29_3 Depth=1
	s_and_saveexec_b32 s3, s0
	s_cbranch_execz .LBB29_2
; %bb.61:                               ;   in Loop: Header=BB29_3 Depth=1
	v_mov_b32_e32 v2, v12
	s_mov_b32 s4, 0
	s_branch .LBB29_63
.LBB29_62:                              ;   in Loop: Header=BB29_63 Depth=2
	s_or_b32 exec_lo, exec_lo, s45
	v_add_nc_u32_e32 v2, 0x200, v2
	v_cmp_le_u32_e32 vcc_lo, s5, v2
	s_or_b32 s4, vcc_lo, s4
	s_andn2_b32 exec_lo, exec_lo, s4
	s_cbranch_execz .LBB29_2
.LBB29_63:                              ;   Parent Loop BB29_3 Depth=1
                                        ; =>  This Loop Header: Depth=2
                                        ;       Child Loop BB29_66 Depth 3
                                        ;       Child Loop BB29_69 Depth 3
	s_mov_b32 s45, exec_lo
	v_cmpx_gt_i32_e64 s35, v2
	s_cbranch_execz .LBB29_62
; %bb.64:                               ;   in Loop: Header=BB29_63 Depth=2
	v_ashrrev_i32_e32 v3, 31, v2
	s_mov_b32 s46, exec_lo
	v_lshlrev_b64 v[4:5], 2, v[2:3]
	v_add_co_u32 v6, vcc_lo, s16, v4
	v_add_co_ci_u32_e64 v7, null, s17, v5, vcc_lo
	v_add_co_u32 v8, vcc_lo, s18, v4
	v_add_co_ci_u32_e64 v9, null, s19, v5, vcc_lo
	global_load_dword v0, v[6:7], off
	global_load_dword v7, v[8:9], off
	s_waitcnt vmcnt(1)
	v_add_nc_u32_e32 v6, v14, v0
	s_waitcnt vmcnt(0)
	v_subrev_nc_u32_e32 v0, s43, v7
	v_cmpx_lt_i32_e64 v6, v0
	s_cbranch_execz .LBB29_67
; %bb.65:                               ;   in Loop: Header=BB29_63 Depth=2
	v_ashrrev_i32_e32 v7, 31, v6
	s_mov_b32 s47, 0
	v_lshlrev_b64 v[9:10], 3, v[6:7]
	v_add_co_u32 v7, vcc_lo, s40, v9
	v_add_co_ci_u32_e64 v8, null, s41, v10, vcc_lo
	v_add_co_u32 v9, vcc_lo, s22, v9
	v_add_co_ci_u32_e64 v10, null, s23, v10, vcc_lo
	.p2align	6
.LBB29_66:                              ;   Parent Loop BB29_3 Depth=1
                                        ;     Parent Loop BB29_63 Depth=2
                                        ; =>    This Inner Loop Header: Depth=3
	global_load_dwordx2 v[16:17], v[7:8], off
	v_add_nc_u32_e32 v6, 2, v6
	v_add_co_u32 v7, vcc_lo, v7, 16
	v_add_co_ci_u32_e64 v8, null, 0, v8, vcc_lo
	v_cmp_ge_i32_e32 vcc_lo, v6, v0
	s_or_b32 s47, vcc_lo, s47
	s_waitcnt vmcnt(0)
	global_store_dwordx2 v[9:10], v[16:17], off
	v_add_co_u32 v9, s2, v9, 16
	v_add_co_ci_u32_e64 v10, null, 0, v10, s2
	s_andn2_b32 exec_lo, exec_lo, s47
	s_cbranch_execnz .LBB29_66
.LBB29_67:                              ;   in Loop: Header=BB29_63 Depth=2
	s_or_b32 exec_lo, exec_lo, s46
	v_add_co_u32 v6, vcc_lo, s8, v4
	v_add_co_ci_u32_e64 v7, null, s9, v5, vcc_lo
	v_add_co_u32 v4, vcc_lo, s10, v4
	v_add_co_ci_u32_e64 v5, null, s11, v5, vcc_lo
	global_load_dword v0, v[6:7], off
	global_load_dword v5, v[4:5], off
	s_mov_b32 s46, exec_lo
	s_waitcnt vmcnt(1)
	v_add_nc_u32_e32 v4, v15, v0
	s_waitcnt vmcnt(0)
	v_subrev_nc_u32_e32 v0, s44, v5
	v_cmpx_lt_i32_e64 v4, v0
	s_cbranch_execz .LBB29_70
; %bb.68:                               ;   in Loop: Header=BB29_63 Depth=2
	v_ashrrev_i32_e32 v5, 31, v4
	s_mov_b32 s47, 0
	v_lshlrev_b64 v[7:8], 3, v[4:5]
	v_add_co_u32 v5, vcc_lo, s6, v7
	v_add_co_ci_u32_e64 v6, null, s7, v8, vcc_lo
	v_add_co_u32 v7, vcc_lo, s14, v7
	v_add_co_ci_u32_e64 v8, null, s15, v8, vcc_lo
	.p2align	6
.LBB29_69:                              ;   Parent Loop BB29_3 Depth=1
                                        ;     Parent Loop BB29_63 Depth=2
                                        ; =>    This Inner Loop Header: Depth=3
	global_load_dwordx2 v[9:10], v[5:6], off
	v_add_nc_u32_e32 v4, 2, v4
	v_add_co_u32 v5, vcc_lo, v5, 16
	v_add_co_ci_u32_e64 v6, null, 0, v6, vcc_lo
	v_cmp_ge_i32_e32 vcc_lo, v4, v0
	s_or_b32 s47, vcc_lo, s47
	s_waitcnt vmcnt(0)
	global_store_dwordx2 v[7:8], v[9:10], off
	v_add_co_u32 v7, s2, v7, 16
	v_add_co_ci_u32_e64 v8, null, 0, v8, s2
	s_andn2_b32 exec_lo, exec_lo, s47
	s_cbranch_execnz .LBB29_69
.LBB29_70:                              ;   in Loop: Header=BB29_63 Depth=2
	s_or_b32 exec_lo, exec_lo, s46
	s_and_b32 exec_lo, exec_lo, s1
	s_cbranch_execz .LBB29_62
; %bb.71:                               ;   in Loop: Header=BB29_63 Depth=2
	v_lshlrev_b64 v[3:4], 3, v[2:3]
	v_add_co_u32 v5, vcc_lo, s38, v3
	v_add_co_ci_u32_e64 v6, null, s39, v4, vcc_lo
	v_add_co_u32 v3, vcc_lo, s36, v3
	v_add_co_ci_u32_e64 v4, null, s37, v4, vcc_lo
	global_load_dwordx2 v[5:6], v[5:6], off
	s_waitcnt vmcnt(0)
	global_store_dwordx2 v[3:4], v[5:6], off
	s_branch .LBB29_62
.LBB29_72:
	s_endpgm
	.section	.rodata,"a",@progbits
	.p2align	6, 0x0
	.amdhsa_kernel _ZN9rocsparseL14kernel_freerunILi1024ELi2E21rocsparse_complex_numIfEiiEEvT3_S3_T2_PKS4_S6_PKS3_PKT1_21rocsparse_index_base_S6_S6_S8_PS9_SD_SC_S6_S6_S8_SD_SD_SC_SD_SD_
		.amdhsa_group_segment_fixed_size 0
		.amdhsa_private_segment_fixed_size 0
		.amdhsa_kernarg_size 168
		.amdhsa_user_sgpr_count 6
		.amdhsa_user_sgpr_private_segment_buffer 1
		.amdhsa_user_sgpr_dispatch_ptr 0
		.amdhsa_user_sgpr_queue_ptr 0
		.amdhsa_user_sgpr_kernarg_segment_ptr 1
		.amdhsa_user_sgpr_dispatch_id 0
		.amdhsa_user_sgpr_flat_scratch_init 0
		.amdhsa_user_sgpr_private_segment_size 0
		.amdhsa_wavefront_size32 1
		.amdhsa_uses_dynamic_stack 0
		.amdhsa_system_sgpr_private_segment_wavefront_offset 0
		.amdhsa_system_sgpr_workgroup_id_x 1
		.amdhsa_system_sgpr_workgroup_id_y 0
		.amdhsa_system_sgpr_workgroup_id_z 0
		.amdhsa_system_sgpr_workgroup_info 0
		.amdhsa_system_vgpr_workitem_id 0
		.amdhsa_next_free_vgpr 34
		.amdhsa_next_free_sgpr 57
		.amdhsa_reserve_vcc 1
		.amdhsa_reserve_flat_scratch 0
		.amdhsa_float_round_mode_32 0
		.amdhsa_float_round_mode_16_64 0
		.amdhsa_float_denorm_mode_32 3
		.amdhsa_float_denorm_mode_16_64 3
		.amdhsa_dx10_clamp 1
		.amdhsa_ieee_mode 1
		.amdhsa_fp16_overflow 0
		.amdhsa_workgroup_processor_mode 1
		.amdhsa_memory_ordered 1
		.amdhsa_forward_progress 1
		.amdhsa_shared_vgpr_count 0
		.amdhsa_exception_fp_ieee_invalid_op 0
		.amdhsa_exception_fp_denorm_src 0
		.amdhsa_exception_fp_ieee_div_zero 0
		.amdhsa_exception_fp_ieee_overflow 0
		.amdhsa_exception_fp_ieee_underflow 0
		.amdhsa_exception_fp_ieee_inexact 0
		.amdhsa_exception_int_div_zero 0
	.end_amdhsa_kernel
	.section	.text._ZN9rocsparseL14kernel_freerunILi1024ELi2E21rocsparse_complex_numIfEiiEEvT3_S3_T2_PKS4_S6_PKS3_PKT1_21rocsparse_index_base_S6_S6_S8_PS9_SD_SC_S6_S6_S8_SD_SD_SC_SD_SD_,"axG",@progbits,_ZN9rocsparseL14kernel_freerunILi1024ELi2E21rocsparse_complex_numIfEiiEEvT3_S3_T2_PKS4_S6_PKS3_PKT1_21rocsparse_index_base_S6_S6_S8_PS9_SD_SC_S6_S6_S8_SD_SD_SC_SD_SD_,comdat
.Lfunc_end29:
	.size	_ZN9rocsparseL14kernel_freerunILi1024ELi2E21rocsparse_complex_numIfEiiEEvT3_S3_T2_PKS4_S6_PKS3_PKT1_21rocsparse_index_base_S6_S6_S8_PS9_SD_SC_S6_S6_S8_SD_SD_SC_SD_SD_, .Lfunc_end29-_ZN9rocsparseL14kernel_freerunILi1024ELi2E21rocsparse_complex_numIfEiiEEvT3_S3_T2_PKS4_S6_PKS3_PKT1_21rocsparse_index_base_S6_S6_S8_PS9_SD_SC_S6_S6_S8_SD_SD_SC_SD_SD_
                                        ; -- End function
	.set _ZN9rocsparseL14kernel_freerunILi1024ELi2E21rocsparse_complex_numIfEiiEEvT3_S3_T2_PKS4_S6_PKS3_PKT1_21rocsparse_index_base_S6_S6_S8_PS9_SD_SC_S6_S6_S8_SD_SD_SC_SD_SD_.num_vgpr, 34
	.set _ZN9rocsparseL14kernel_freerunILi1024ELi2E21rocsparse_complex_numIfEiiEEvT3_S3_T2_PKS4_S6_PKS3_PKT1_21rocsparse_index_base_S6_S6_S8_PS9_SD_SC_S6_S6_S8_SD_SD_SC_SD_SD_.num_agpr, 0
	.set _ZN9rocsparseL14kernel_freerunILi1024ELi2E21rocsparse_complex_numIfEiiEEvT3_S3_T2_PKS4_S6_PKS3_PKT1_21rocsparse_index_base_S6_S6_S8_PS9_SD_SC_S6_S6_S8_SD_SD_SC_SD_SD_.numbered_sgpr, 57
	.set _ZN9rocsparseL14kernel_freerunILi1024ELi2E21rocsparse_complex_numIfEiiEEvT3_S3_T2_PKS4_S6_PKS3_PKT1_21rocsparse_index_base_S6_S6_S8_PS9_SD_SC_S6_S6_S8_SD_SD_SC_SD_SD_.num_named_barrier, 0
	.set _ZN9rocsparseL14kernel_freerunILi1024ELi2E21rocsparse_complex_numIfEiiEEvT3_S3_T2_PKS4_S6_PKS3_PKT1_21rocsparse_index_base_S6_S6_S8_PS9_SD_SC_S6_S6_S8_SD_SD_SC_SD_SD_.private_seg_size, 0
	.set _ZN9rocsparseL14kernel_freerunILi1024ELi2E21rocsparse_complex_numIfEiiEEvT3_S3_T2_PKS4_S6_PKS3_PKT1_21rocsparse_index_base_S6_S6_S8_PS9_SD_SC_S6_S6_S8_SD_SD_SC_SD_SD_.uses_vcc, 1
	.set _ZN9rocsparseL14kernel_freerunILi1024ELi2E21rocsparse_complex_numIfEiiEEvT3_S3_T2_PKS4_S6_PKS3_PKT1_21rocsparse_index_base_S6_S6_S8_PS9_SD_SC_S6_S6_S8_SD_SD_SC_SD_SD_.uses_flat_scratch, 0
	.set _ZN9rocsparseL14kernel_freerunILi1024ELi2E21rocsparse_complex_numIfEiiEEvT3_S3_T2_PKS4_S6_PKS3_PKT1_21rocsparse_index_base_S6_S6_S8_PS9_SD_SC_S6_S6_S8_SD_SD_SC_SD_SD_.has_dyn_sized_stack, 0
	.set _ZN9rocsparseL14kernel_freerunILi1024ELi2E21rocsparse_complex_numIfEiiEEvT3_S3_T2_PKS4_S6_PKS3_PKT1_21rocsparse_index_base_S6_S6_S8_PS9_SD_SC_S6_S6_S8_SD_SD_SC_SD_SD_.has_recursion, 0
	.set _ZN9rocsparseL14kernel_freerunILi1024ELi2E21rocsparse_complex_numIfEiiEEvT3_S3_T2_PKS4_S6_PKS3_PKT1_21rocsparse_index_base_S6_S6_S8_PS9_SD_SC_S6_S6_S8_SD_SD_SC_SD_SD_.has_indirect_call, 0
	.section	.AMDGPU.csdata,"",@progbits
; Kernel info:
; codeLenInByte = 3608
; TotalNumSgprs: 59
; NumVgprs: 34
; ScratchSize: 0
; MemoryBound: 0
; FloatMode: 240
; IeeeMode: 1
; LDSByteSize: 0 bytes/workgroup (compile time only)
; SGPRBlocks: 0
; VGPRBlocks: 4
; NumSGPRsForWavesPerEU: 59
; NumVGPRsForWavesPerEU: 34
; Occupancy: 16
; WaveLimiterHint : 1
; COMPUTE_PGM_RSRC2:SCRATCH_EN: 0
; COMPUTE_PGM_RSRC2:USER_SGPR: 6
; COMPUTE_PGM_RSRC2:TRAP_HANDLER: 0
; COMPUTE_PGM_RSRC2:TGID_X_EN: 1
; COMPUTE_PGM_RSRC2:TGID_Y_EN: 0
; COMPUTE_PGM_RSRC2:TGID_Z_EN: 0
; COMPUTE_PGM_RSRC2:TIDIG_COMP_CNT: 0
	.section	.text._ZN9rocsparseL14kernel_freerunILi1024ELi4E21rocsparse_complex_numIfEiiEEvT3_S3_T2_PKS4_S6_PKS3_PKT1_21rocsparse_index_base_S6_S6_S8_PS9_SD_SC_S6_S6_S8_SD_SD_SC_SD_SD_,"axG",@progbits,_ZN9rocsparseL14kernel_freerunILi1024ELi4E21rocsparse_complex_numIfEiiEEvT3_S3_T2_PKS4_S6_PKS3_PKT1_21rocsparse_index_base_S6_S6_S8_PS9_SD_SC_S6_S6_S8_SD_SD_SC_SD_SD_,comdat
	.globl	_ZN9rocsparseL14kernel_freerunILi1024ELi4E21rocsparse_complex_numIfEiiEEvT3_S3_T2_PKS4_S6_PKS3_PKT1_21rocsparse_index_base_S6_S6_S8_PS9_SD_SC_S6_S6_S8_SD_SD_SC_SD_SD_ ; -- Begin function _ZN9rocsparseL14kernel_freerunILi1024ELi4E21rocsparse_complex_numIfEiiEEvT3_S3_T2_PKS4_S6_PKS3_PKT1_21rocsparse_index_base_S6_S6_S8_PS9_SD_SC_S6_S6_S8_SD_SD_SC_SD_SD_
	.p2align	8
	.type	_ZN9rocsparseL14kernel_freerunILi1024ELi4E21rocsparse_complex_numIfEiiEEvT3_S3_T2_PKS4_S6_PKS3_PKT1_21rocsparse_index_base_S6_S6_S8_PS9_SD_SC_S6_S6_S8_SD_SD_SC_SD_SD_,@function
_ZN9rocsparseL14kernel_freerunILi1024ELi4E21rocsparse_complex_numIfEiiEEvT3_S3_T2_PKS4_S6_PKS3_PKT1_21rocsparse_index_base_S6_S6_S8_PS9_SD_SC_S6_S6_S8_SD_SD_SC_SD_SD_: ; @_ZN9rocsparseL14kernel_freerunILi1024ELi4E21rocsparse_complex_numIfEiiEEvT3_S3_T2_PKS4_S6_PKS3_PKT1_21rocsparse_index_base_S6_S6_S8_PS9_SD_SC_S6_S6_S8_SD_SD_SC_SD_SD_
; %bb.0:
	s_load_dwordx2 s[34:35], s[4:5], 0x0
	v_lshrrev_b32_e32 v1, 2, v0
	s_lshl_b32 s0, s6, 10
	s_mov_b32 s33, 0
	v_or_b32_e32 v12, s0, v1
	s_waitcnt lgkmcnt(0)
	v_cmp_gt_i32_e32 vcc_lo, s35, v12
	s_cmp_gt_i32 s34, 0
	s_cselect_b32 s1, -1, 0
	s_and_b32 s1, vcc_lo, s1
	s_and_saveexec_b32 s2, s1
	s_cbranch_execz .LBB30_72
; %bb.1:
	s_clause 0x8
	s_load_dword s42, s[4:5], 0x30
	s_load_dword s43, s[4:5], 0x60
	s_load_dword s44, s[4:5], 0x90
	s_load_dwordx2 s[6:7], s[4:5], 0x88
	s_load_dwordx2 s[40:41], s[4:5], 0x58
	s_load_dwordx4 s[36:39], s[4:5], 0x98
	s_load_dwordx8 s[8:15], s[4:5], 0x68
	s_load_dwordx8 s[16:23], s[4:5], 0x38
	;; [unrolled: 1-line block ×3, first 2 shown]
	v_and_b32_e32 v0, 3, v0
	s_add_i32 s5, s0, 0x400
	v_mov_b32_e32 v1, 0
	v_cmp_gt_u32_e64 s0, s5, v12
	v_cmp_eq_u32_e64 s1, 0, v0
	s_waitcnt lgkmcnt(0)
	v_subrev_nc_u32_e32 v13, s42, v0
	v_subrev_nc_u32_e32 v14, s43, v0
	;; [unrolled: 1-line block ×3, first 2 shown]
	s_branch .LBB30_3
.LBB30_2:                               ;   in Loop: Header=BB30_3 Depth=1
	s_or_b32 exec_lo, exec_lo, s3
	s_add_i32 s33, s33, 1
	s_cmp_eq_u32 s33, s34
	s_cbranch_scc1 .LBB30_72
.LBB30_3:                               ; =>This Loop Header: Depth=1
                                        ;     Child Loop BB30_5 Depth 2
                                        ;       Child Loop BB30_9 Depth 3
                                        ;         Child Loop BB30_13 Depth 4
                                        ;         Child Loop BB30_43 Depth 4
	;; [unrolled: 1-line block ×3, first 2 shown]
                                        ;     Child Loop BB30_63 Depth 2
                                        ;       Child Loop BB30_66 Depth 3
                                        ;       Child Loop BB30_69 Depth 3
	s_mov_b32 s45, 0
	s_branch .LBB30_5
.LBB30_4:                               ;   in Loop: Header=BB30_5 Depth=2
	s_or_b32 exec_lo, exec_lo, s46
	s_add_i32 s45, s45, 1
	s_cmp_eq_u32 s45, 4
	s_cbranch_scc1 .LBB30_60
.LBB30_5:                               ;   Parent Loop BB30_3 Depth=1
                                        ; =>  This Loop Header: Depth=2
                                        ;       Child Loop BB30_9 Depth 3
                                        ;         Child Loop BB30_13 Depth 4
                                        ;         Child Loop BB30_43 Depth 4
	;; [unrolled: 1-line block ×3, first 2 shown]
	v_lshl_add_u32 v2, s45, 8, v12
	s_mov_b32 s46, exec_lo
	v_cmpx_gt_i32_e64 s35, v2
	s_cbranch_execz .LBB30_4
; %bb.6:                                ;   in Loop: Header=BB30_5 Depth=2
	v_ashrrev_i32_e32 v3, 31, v2
	v_lshlrev_b64 v[4:5], 2, v[2:3]
	v_add_co_u32 v6, vcc_lo, s24, v4
	v_add_co_ci_u32_e64 v7, null, s25, v5, vcc_lo
	v_add_co_u32 v8, vcc_lo, s26, v4
	v_add_co_ci_u32_e64 v9, null, s27, v5, vcc_lo
	global_load_dword v0, v[6:7], off
	global_load_dword v6, v[8:9], off
	s_waitcnt vmcnt(1)
	v_add_nc_u32_e32 v3, v13, v0
	s_waitcnt vmcnt(0)
	v_subrev_nc_u32_e32 v16, s42, v6
	v_cmp_lt_i32_e32 vcc_lo, v3, v16
	s_and_b32 exec_lo, exec_lo, vcc_lo
	s_cbranch_execz .LBB30_4
; %bb.7:                                ;   in Loop: Header=BB30_5 Depth=2
	v_add_co_u32 v6, vcc_lo, s16, v4
	v_add_co_ci_u32_e64 v7, null, s17, v5, vcc_lo
	v_add_co_u32 v4, vcc_lo, s18, v4
	v_add_co_ci_u32_e64 v5, null, s19, v5, vcc_lo
	global_load_dword v0, v[6:7], off
	s_mov_b32 s47, 0
	global_load_dword v4, v[4:5], off
	s_waitcnt vmcnt(1)
	v_subrev_nc_u32_e32 v5, s43, v0
	s_waitcnt vmcnt(0)
	v_sub_nc_u32_e32 v17, v4, v0
	v_ashrrev_i32_e32 v6, 31, v5
	v_cmp_lt_i32_e64 s2, 0, v17
	v_lshlrev_b64 v[7:8], 2, v[5:6]
	v_lshlrev_b64 v[9:10], 3, v[5:6]
	v_add_co_u32 v18, vcc_lo, s20, v7
	v_add_co_ci_u32_e64 v19, null, s21, v8, vcc_lo
	v_add_co_u32 v20, vcc_lo, s22, v9
	v_add_co_ci_u32_e64 v21, null, s23, v10, vcc_lo
	s_branch .LBB30_9
.LBB30_8:                               ;   in Loop: Header=BB30_9 Depth=3
	s_or_b32 exec_lo, exec_lo, s4
	v_add_nc_u32_e32 v3, 4, v3
	v_cmp_ge_i32_e32 vcc_lo, v3, v16
	s_or_b32 s47, vcc_lo, s47
	s_andn2_b32 exec_lo, exec_lo, s47
	s_cbranch_execz .LBB30_4
.LBB30_9:                               ;   Parent Loop BB30_3 Depth=1
                                        ;     Parent Loop BB30_5 Depth=2
                                        ; =>    This Loop Header: Depth=3
                                        ;         Child Loop BB30_13 Depth 4
                                        ;         Child Loop BB30_43 Depth 4
                                        ;         Child Loop BB30_53 Depth 4
	v_ashrrev_i32_e32 v4, 31, v3
	v_mov_b32_e32 v24, 0
	v_lshlrev_b64 v[6:7], 2, v[3:4]
	v_add_co_u32 v6, vcc_lo, s28, v6
	v_add_co_ci_u32_e64 v7, null, s29, v7, vcc_lo
	global_load_dword v0, v[6:7], off
	s_waitcnt vmcnt(0)
	v_subrev_nc_u32_e32 v6, s42, v0
	v_mov_b32_e32 v0, 0
	v_ashrrev_i32_e32 v7, 31, v6
	v_lshlrev_b64 v[8:9], 2, v[6:7]
	v_add_co_u32 v10, vcc_lo, s8, v8
	v_add_co_ci_u32_e64 v11, null, s9, v9, vcc_lo
	v_add_co_u32 v8, vcc_lo, s10, v8
	v_add_co_ci_u32_e64 v9, null, s11, v9, vcc_lo
	global_load_dword v10, v[10:11], off
	global_load_dword v9, v[8:9], off
	v_mov_b32_e32 v11, 0
	s_waitcnt vmcnt(1)
	v_subrev_nc_u32_e32 v8, s44, v10
	s_waitcnt vmcnt(0)
	v_sub_nc_u32_e32 v22, v9, v10
	v_mov_b32_e32 v9, v0
	s_and_saveexec_b32 s4, s2
	s_cbranch_execz .LBB30_17
; %bb.10:                               ;   in Loop: Header=BB30_9 Depth=3
	v_ashrrev_i32_e32 v9, 31, v8
	v_mov_b32_e32 v11, 0
	v_mov_b32_e32 v0, 0
	s_mov_b32 s48, 0
                                        ; implicit-def: $sgpr49
	v_lshlrev_b64 v[23:24], 2, v[8:9]
	v_lshlrev_b64 v[9:10], 3, v[8:9]
	v_add_co_u32 v23, vcc_lo, s12, v23
	v_add_co_ci_u32_e64 v25, null, s13, v24, vcc_lo
	v_add_co_u32 v26, vcc_lo, s14, v9
	v_add_co_ci_u32_e64 v27, null, s15, v10, vcc_lo
	v_mov_b32_e32 v9, 0
	v_mov_b32_e32 v24, 0
	s_branch .LBB30_13
.LBB30_11:                              ;   in Loop: Header=BB30_13 Depth=4
	s_or_b32 exec_lo, exec_lo, s3
	v_cmp_le_i32_e32 vcc_lo, v28, v29
	v_cmp_ge_i32_e64 s3, v28, v29
	v_add_co_ci_u32_e64 v0, null, 0, v0, vcc_lo
	v_add_co_ci_u32_e64 v9, null, 0, v9, s3
	s_andn2_b32 s3, s49, exec_lo
	v_cmp_ge_i32_e32 vcc_lo, v0, v17
	s_and_b32 s49, vcc_lo, exec_lo
	s_or_b32 s49, s3, s49
.LBB30_12:                              ;   in Loop: Header=BB30_13 Depth=4
	s_or_b32 exec_lo, exec_lo, s50
	s_and_b32 s3, exec_lo, s49
	s_or_b32 s48, s3, s48
	s_andn2_b32 exec_lo, exec_lo, s48
	s_cbranch_execz .LBB30_16
.LBB30_13:                              ;   Parent Loop BB30_3 Depth=1
                                        ;     Parent Loop BB30_5 Depth=2
                                        ;       Parent Loop BB30_9 Depth=3
                                        ; =>      This Inner Loop Header: Depth=4
	s_or_b32 s49, s49, exec_lo
	s_mov_b32 s50, exec_lo
	v_cmpx_lt_i32_e64 v9, v22
	s_cbranch_execz .LBB30_12
; %bb.14:                               ;   in Loop: Header=BB30_13 Depth=4
	v_mov_b32_e32 v10, v1
	v_lshlrev_b64 v[28:29], 2, v[0:1]
	s_mov_b32 s3, exec_lo
	v_lshlrev_b64 v[30:31], 2, v[9:10]
	v_add_co_u32 v28, vcc_lo, v18, v28
	v_add_co_ci_u32_e64 v29, null, v19, v29, vcc_lo
	v_add_co_u32 v30, vcc_lo, v23, v30
	v_add_co_ci_u32_e64 v31, null, v25, v31, vcc_lo
	global_load_dword v28, v[28:29], off
	global_load_dword v29, v[30:31], off
	s_waitcnt vmcnt(1)
	v_subrev_nc_u32_e32 v28, s43, v28
	s_waitcnt vmcnt(0)
	v_subrev_nc_u32_e32 v29, s44, v29
	v_cmpx_eq_u32_e64 v28, v29
	s_cbranch_execz .LBB30_11
; %bb.15:                               ;   in Loop: Header=BB30_13 Depth=4
	v_lshlrev_b64 v[30:31], 3, v[0:1]
	v_lshlrev_b64 v[32:33], 3, v[9:10]
	v_add_co_u32 v30, vcc_lo, v20, v30
	v_add_co_ci_u32_e64 v31, null, v21, v31, vcc_lo
	v_add_co_u32 v32, vcc_lo, v26, v32
	v_add_co_ci_u32_e64 v33, null, v27, v33, vcc_lo
	global_load_dwordx2 v[30:31], v[30:31], off
	global_load_dwordx2 v[32:33], v[32:33], off
	s_waitcnt vmcnt(0)
	v_fmac_f32_e32 v11, v30, v32
	v_fmac_f32_e32 v24, v31, v32
	v_fma_f32 v11, -v31, v33, v11
	v_fmac_f32_e32 v24, v30, v33
	s_branch .LBB30_11
.LBB30_16:                              ;   in Loop: Header=BB30_9 Depth=3
	s_or_b32 exec_lo, exec_lo, s48
.LBB30_17:                              ;   in Loop: Header=BB30_9 Depth=3
	s_or_b32 exec_lo, exec_lo, s4
	v_lshlrev_b64 v[25:26], 3, v[3:4]
	v_cmp_le_i32_e64 s3, v2, v6
	s_mov_b32 s48, exec_lo
	v_add_co_u32 v25, vcc_lo, s30, v25
	v_add_co_ci_u32_e64 v26, null, s31, v26, vcc_lo
	global_load_dwordx2 v[25:26], v[25:26], off
	s_waitcnt vmcnt(0)
	v_sub_f32_e32 v23, v25, v11
	v_sub_f32_e32 v4, v26, v24
	v_cmpx_gt_i32_e64 v2, v6
	s_cbranch_execz .LBB30_27
; %bb.18:                               ;   in Loop: Header=BB30_9 Depth=3
	v_lshlrev_b64 v[10:11], 3, v[6:7]
                                        ; implicit-def: $vgpr26
	s_mov_b32 s4, exec_lo
	v_add_co_u32 v10, vcc_lo, s36, v10
	v_add_co_ci_u32_e64 v11, null, s37, v11, vcc_lo
	global_load_dwordx2 v[10:11], v[10:11], off
	s_waitcnt vmcnt(0)
	v_cmp_gt_f32_e32 vcc_lo, 0, v10
	v_cndmask_b32_e64 v24, v10, -v10, vcc_lo
	v_cmp_gt_f32_e32 vcc_lo, 0, v11
	v_cndmask_b32_e64 v25, v11, -v11, vcc_lo
	v_cmpx_ngt_f32_e32 v24, v25
	s_xor_b32 s49, exec_lo, s4
	s_cbranch_execz .LBB30_22
; %bb.19:                               ;   in Loop: Header=BB30_9 Depth=3
	v_mov_b32_e32 v26, 0
	s_mov_b32 s50, exec_lo
	v_cmpx_neq_f32_e32 0, v11
	s_cbranch_execz .LBB30_21
; %bb.20:                               ;   in Loop: Header=BB30_9 Depth=3
	v_div_scale_f32 v26, null, v25, v25, v24
	v_div_scale_f32 v29, vcc_lo, v24, v25, v24
	v_rcp_f32_e32 v27, v26
	v_fma_f32 v28, -v26, v27, 1.0
	v_fmac_f32_e32 v27, v28, v27
	v_mul_f32_e32 v28, v29, v27
	v_fma_f32 v30, -v26, v28, v29
	v_fmac_f32_e32 v28, v30, v27
	v_fma_f32 v26, -v26, v28, v29
	v_div_fmas_f32 v26, v26, v27, v28
	v_div_fixup_f32 v24, v26, v25, v24
	v_fma_f32 v24, v24, v24, 1.0
	v_mul_f32_e32 v26, 0x4f800000, v24
	v_cmp_gt_f32_e32 vcc_lo, 0xf800000, v24
	v_cndmask_b32_e32 v24, v24, v26, vcc_lo
	v_sqrt_f32_e32 v26, v24
	v_add_nc_u32_e32 v27, -1, v26
	v_add_nc_u32_e32 v28, 1, v26
	v_fma_f32 v29, -v27, v26, v24
	v_fma_f32 v30, -v28, v26, v24
	v_cmp_ge_f32_e64 s4, 0, v29
	v_cndmask_b32_e64 v26, v26, v27, s4
	v_cmp_lt_f32_e64 s4, 0, v30
	v_cndmask_b32_e64 v26, v26, v28, s4
	v_mul_f32_e32 v27, 0x37800000, v26
	v_cndmask_b32_e32 v26, v26, v27, vcc_lo
	v_cmp_class_f32_e64 vcc_lo, v24, 0x260
	v_cndmask_b32_e32 v24, v26, v24, vcc_lo
	v_mul_f32_e32 v26, v25, v24
.LBB30_21:                              ;   in Loop: Header=BB30_9 Depth=3
	s_or_b32 exec_lo, exec_lo, s50
                                        ; implicit-def: $vgpr24
                                        ; implicit-def: $vgpr25
.LBB30_22:                              ;   in Loop: Header=BB30_9 Depth=3
	s_andn2_saveexec_b32 s49, s49
	s_cbranch_execz .LBB30_24
; %bb.23:                               ;   in Loop: Header=BB30_9 Depth=3
	v_div_scale_f32 v26, null, v24, v24, v25
	v_div_scale_f32 v29, vcc_lo, v25, v24, v25
	v_rcp_f32_e32 v27, v26
	v_fma_f32 v28, -v26, v27, 1.0
	v_fmac_f32_e32 v27, v28, v27
	v_mul_f32_e32 v28, v29, v27
	v_fma_f32 v30, -v26, v28, v29
	v_fmac_f32_e32 v28, v30, v27
	v_fma_f32 v26, -v26, v28, v29
	v_div_fmas_f32 v26, v26, v27, v28
	v_div_fixup_f32 v25, v26, v24, v25
	v_fma_f32 v25, v25, v25, 1.0
	v_mul_f32_e32 v26, 0x4f800000, v25
	v_cmp_gt_f32_e32 vcc_lo, 0xf800000, v25
	v_cndmask_b32_e32 v25, v25, v26, vcc_lo
	v_sqrt_f32_e32 v26, v25
	v_add_nc_u32_e32 v27, -1, v26
	v_add_nc_u32_e32 v28, 1, v26
	v_fma_f32 v29, -v27, v26, v25
	v_fma_f32 v30, -v28, v26, v25
	v_cmp_ge_f32_e64 s4, 0, v29
	v_cndmask_b32_e64 v26, v26, v27, s4
	v_cmp_lt_f32_e64 s4, 0, v30
	v_cndmask_b32_e64 v26, v26, v28, s4
	v_mul_f32_e32 v27, 0x37800000, v26
	v_cndmask_b32_e32 v26, v26, v27, vcc_lo
	v_cmp_class_f32_e64 vcc_lo, v25, 0x260
	v_cndmask_b32_e32 v25, v26, v25, vcc_lo
	v_mul_f32_e32 v26, v24, v25
.LBB30_24:                              ;   in Loop: Header=BB30_9 Depth=3
	s_or_b32 exec_lo, exec_lo, s49
	v_mov_b32_e32 v24, 0
	v_mov_b32_e32 v25, 0
	s_mov_b32 s4, exec_lo
	v_cmpx_lt_f32_e32 0, v26
	s_cbranch_execz .LBB30_26
; %bb.25:                               ;   in Loop: Header=BB30_9 Depth=3
	v_mul_f32_e32 v24, v11, v11
	v_fmac_f32_e32 v24, v10, v10
	v_div_scale_f32 v25, null, v24, v24, 1.0
	v_div_scale_f32 v28, vcc_lo, 1.0, v24, 1.0
	v_rcp_f32_e32 v26, v25
	v_fma_f32 v27, -v25, v26, 1.0
	v_fmac_f32_e32 v26, v27, v26
	v_mul_f32_e32 v27, v28, v26
	v_fma_f32 v29, -v25, v27, v28
	v_fmac_f32_e32 v27, v29, v26
	v_fma_f32 v25, -v25, v27, v28
	v_mul_f32_e32 v28, v4, v11
	v_mul_f32_e64 v11, v11, -v23
	v_div_fmas_f32 v25, v25, v26, v27
	v_fmac_f32_e32 v28, v23, v10
	v_fmac_f32_e32 v11, v4, v10
	v_div_fixup_f32 v23, v25, v24, 1.0
	v_mul_f32_e32 v24, v28, v23
	v_mul_f32_e32 v25, v11, v23
.LBB30_26:                              ;   in Loop: Header=BB30_9 Depth=3
	s_or_b32 exec_lo, exec_lo, s4
	v_mov_b32_e32 v23, v24
	v_mov_b32_e32 v4, v25
.LBB30_27:                              ;   in Loop: Header=BB30_9 Depth=3
	s_or_b32 exec_lo, exec_lo, s48
	v_cmp_gt_f32_e32 vcc_lo, 0, v23
                                        ; implicit-def: $vgpr24
	s_mov_b32 s4, exec_lo
	v_cndmask_b32_e64 v10, v23, -v23, vcc_lo
	v_cmp_gt_f32_e32 vcc_lo, 0, v4
	v_cndmask_b32_e64 v11, v4, -v4, vcc_lo
	v_cmpx_ngt_f32_e32 v10, v11
	s_xor_b32 s48, exec_lo, s4
	s_cbranch_execnz .LBB30_30
; %bb.28:                               ;   in Loop: Header=BB30_9 Depth=3
	s_andn2_saveexec_b32 s48, s48
	s_cbranch_execnz .LBB30_33
.LBB30_29:                              ;   in Loop: Header=BB30_9 Depth=3
	s_or_b32 exec_lo, exec_lo, s48
	v_cmp_class_f32_e64 s48, v24, 0x1f8
	s_and_saveexec_b32 s4, s48
	s_cbranch_execz .LBB30_8
	s_branch .LBB30_34
.LBB30_30:                              ;   in Loop: Header=BB30_9 Depth=3
	v_mov_b32_e32 v24, 0
	s_mov_b32 s49, exec_lo
	v_cmpx_neq_f32_e32 0, v4
	s_cbranch_execz .LBB30_32
; %bb.31:                               ;   in Loop: Header=BB30_9 Depth=3
	v_div_scale_f32 v24, null, v11, v11, v10
	v_div_scale_f32 v27, vcc_lo, v10, v11, v10
	v_rcp_f32_e32 v25, v24
	v_fma_f32 v26, -v24, v25, 1.0
	v_fmac_f32_e32 v25, v26, v25
	v_mul_f32_e32 v26, v27, v25
	v_fma_f32 v28, -v24, v26, v27
	v_fmac_f32_e32 v26, v28, v25
	v_fma_f32 v24, -v24, v26, v27
	v_div_fmas_f32 v24, v24, v25, v26
	v_div_fixup_f32 v10, v24, v11, v10
	v_fma_f32 v10, v10, v10, 1.0
	v_mul_f32_e32 v24, 0x4f800000, v10
	v_cmp_gt_f32_e32 vcc_lo, 0xf800000, v10
	v_cndmask_b32_e32 v10, v10, v24, vcc_lo
	v_sqrt_f32_e32 v24, v10
	v_add_nc_u32_e32 v25, -1, v24
	v_add_nc_u32_e32 v26, 1, v24
	v_fma_f32 v27, -v25, v24, v10
	v_fma_f32 v28, -v26, v24, v10
	v_cmp_ge_f32_e64 s4, 0, v27
	v_cndmask_b32_e64 v24, v24, v25, s4
	v_cmp_lt_f32_e64 s4, 0, v28
	v_cndmask_b32_e64 v24, v24, v26, s4
	v_mul_f32_e32 v25, 0x37800000, v24
	v_cndmask_b32_e32 v24, v24, v25, vcc_lo
	v_cmp_class_f32_e64 vcc_lo, v10, 0x260
	v_cndmask_b32_e32 v10, v24, v10, vcc_lo
	v_mul_f32_e32 v24, v11, v10
.LBB30_32:                              ;   in Loop: Header=BB30_9 Depth=3
	s_or_b32 exec_lo, exec_lo, s49
                                        ; implicit-def: $vgpr10
                                        ; implicit-def: $vgpr11
	s_andn2_saveexec_b32 s48, s48
	s_cbranch_execz .LBB30_29
.LBB30_33:                              ;   in Loop: Header=BB30_9 Depth=3
	v_div_scale_f32 v24, null, v10, v10, v11
	v_div_scale_f32 v27, vcc_lo, v11, v10, v11
	v_rcp_f32_e32 v25, v24
	v_fma_f32 v26, -v24, v25, 1.0
	v_fmac_f32_e32 v25, v26, v25
	v_mul_f32_e32 v26, v27, v25
	v_fma_f32 v28, -v24, v26, v27
	v_fmac_f32_e32 v26, v28, v25
	v_fma_f32 v24, -v24, v26, v27
	v_div_fmas_f32 v24, v24, v25, v26
	v_div_fixup_f32 v11, v24, v10, v11
	v_fma_f32 v11, v11, v11, 1.0
	v_mul_f32_e32 v24, 0x4f800000, v11
	v_cmp_gt_f32_e32 vcc_lo, 0xf800000, v11
	v_cndmask_b32_e32 v11, v11, v24, vcc_lo
	v_sqrt_f32_e32 v24, v11
	v_add_nc_u32_e32 v25, -1, v24
	v_add_nc_u32_e32 v26, 1, v24
	v_fma_f32 v27, -v25, v24, v11
	v_fma_f32 v28, -v26, v24, v11
	v_cmp_ge_f32_e64 s4, 0, v27
	v_cndmask_b32_e64 v24, v24, v25, s4
	v_cmp_lt_f32_e64 s4, 0, v28
	v_cndmask_b32_e64 v24, v24, v26, s4
	v_mul_f32_e32 v25, 0x37800000, v24
	v_cndmask_b32_e32 v24, v24, v25, vcc_lo
	v_cmp_class_f32_e64 vcc_lo, v11, 0x260
	v_cndmask_b32_e32 v11, v24, v11, vcc_lo
	v_mul_f32_e32 v24, v10, v11
	s_or_b32 exec_lo, exec_lo, s48
	v_cmp_class_f32_e64 s48, v24, 0x1f8
	s_and_saveexec_b32 s4, s48
	s_cbranch_execz .LBB30_8
.LBB30_34:                              ;   in Loop: Header=BB30_9 Depth=3
	s_mov_b32 s48, 0
                                        ; implicit-def: $vgpr10_vgpr11
	s_and_saveexec_b32 s49, s3
	s_xor_b32 s3, exec_lo, s49
	s_cbranch_execnz .LBB30_37
; %bb.35:                               ;   in Loop: Header=BB30_9 Depth=3
	s_andn2_saveexec_b32 s3, s3
	s_cbranch_execnz .LBB30_50
.LBB30_36:                              ;   in Loop: Header=BB30_9 Depth=3
	s_or_b32 exec_lo, exec_lo, s3
	s_and_b32 exec_lo, exec_lo, s48
	s_cbranch_execz .LBB30_8
	s_branch .LBB30_59
.LBB30_37:                              ;   in Loop: Header=BB30_9 Depth=3
	s_mov_b32 s49, exec_lo
                                        ; implicit-def: $vgpr10_vgpr11
	v_cmpx_ge_i32_e64 v2, v6
	s_xor_b32 s49, exec_lo, s49
	s_cbranch_execz .LBB30_39
; %bb.38:                               ;   in Loop: Header=BB30_9 Depth=3
	v_lshlrev_b64 v[6:7], 3, v[6:7]
	s_mov_b32 s48, exec_lo
                                        ; implicit-def: $vgpr9
                                        ; implicit-def: $vgpr22
                                        ; implicit-def: $vgpr8
	v_add_co_u32 v10, vcc_lo, s38, v6
	v_add_co_ci_u32_e64 v11, null, s39, v7, vcc_lo
	global_store_dword v[10:11], v23, off
                                        ; implicit-def: $vgpr23
.LBB30_39:                              ;   in Loop: Header=BB30_9 Depth=3
	s_andn2_saveexec_b32 s49, s49
	s_cbranch_execz .LBB30_49
; %bb.40:                               ;   in Loop: Header=BB30_9 Depth=3
	s_mov_b32 s51, s48
	s_mov_b32 s50, exec_lo
                                        ; implicit-def: $vgpr10_vgpr11
	v_cmpx_lt_i32_e64 v9, v22
	s_cbranch_execz .LBB30_48
; %bb.41:                               ;   in Loop: Header=BB30_9 Depth=3
	s_mov_b32 s52, 0
                                        ; implicit-def: $sgpr51
                                        ; implicit-def: $sgpr54
                                        ; implicit-def: $sgpr53
	s_inst_prefetch 0x1
	s_branch .LBB30_43
	.p2align	6
.LBB30_42:                              ;   in Loop: Header=BB30_43 Depth=4
	s_or_b32 exec_lo, exec_lo, s55
	s_and_b32 s55, exec_lo, s54
	s_or_b32 s52, s55, s52
	s_andn2_b32 s51, s51, exec_lo
	s_and_b32 s55, s53, exec_lo
	s_or_b32 s51, s51, s55
	s_andn2_b32 exec_lo, exec_lo, s52
	s_cbranch_execz .LBB30_45
.LBB30_43:                              ;   Parent Loop BB30_3 Depth=1
                                        ;     Parent Loop BB30_5 Depth=2
                                        ;       Parent Loop BB30_9 Depth=3
                                        ; =>      This Inner Loop Header: Depth=4
	v_add_nc_u32_e32 v6, v8, v9
	s_or_b32 s53, s53, exec_lo
	s_or_b32 s54, s54, exec_lo
	s_mov_b32 s55, exec_lo
	v_ashrrev_i32_e32 v7, 31, v6
	v_lshlrev_b64 v[10:11], 2, v[6:7]
	v_add_co_u32 v10, vcc_lo, s12, v10
	v_add_co_ci_u32_e64 v11, null, s13, v11, vcc_lo
	global_load_dword v0, v[10:11], off
	s_waitcnt vmcnt(0)
	v_subrev_nc_u32_e32 v0, s44, v0
	v_cmpx_ne_u32_e64 v0, v2
	s_cbranch_execz .LBB30_42
; %bb.44:                               ;   in Loop: Header=BB30_43 Depth=4
	v_add_nc_u32_e32 v9, 1, v9
	s_andn2_b32 s54, s54, exec_lo
	s_andn2_b32 s53, s53, exec_lo
	v_cmp_ge_i32_e32 vcc_lo, v9, v22
	s_and_b32 s56, vcc_lo, exec_lo
	s_or_b32 s54, s54, s56
	s_branch .LBB30_42
.LBB30_45:                              ;   in Loop: Header=BB30_9 Depth=3
	s_inst_prefetch 0x2
	s_or_b32 exec_lo, exec_lo, s52
	s_mov_b32 s52, s48
                                        ; implicit-def: $vgpr10_vgpr11
	s_and_saveexec_b32 s53, s51
	s_xor_b32 s51, exec_lo, s53
	s_cbranch_execz .LBB30_47
; %bb.46:                               ;   in Loop: Header=BB30_9 Depth=3
	v_lshlrev_b64 v[6:7], 3, v[6:7]
	s_or_b32 s52, s48, exec_lo
	v_add_co_u32 v10, vcc_lo, s6, v6
	v_add_co_ci_u32_e64 v11, null, s7, v7, vcc_lo
	global_store_dword v[10:11], v23, off
.LBB30_47:                              ;   in Loop: Header=BB30_9 Depth=3
	s_or_b32 exec_lo, exec_lo, s51
	s_andn2_b32 s51, s48, exec_lo
	s_and_b32 s52, s52, exec_lo
	s_or_b32 s51, s51, s52
.LBB30_48:                              ;   in Loop: Header=BB30_9 Depth=3
	s_or_b32 exec_lo, exec_lo, s50
	s_andn2_b32 s48, s48, exec_lo
	s_and_b32 s50, s51, exec_lo
	s_or_b32 s48, s48, s50
.LBB30_49:                              ;   in Loop: Header=BB30_9 Depth=3
	s_or_b32 exec_lo, exec_lo, s49
	s_and_b32 s48, s48, exec_lo
                                        ; implicit-def: $vgpr23
                                        ; implicit-def: $vgpr6_vgpr7
	s_andn2_saveexec_b32 s3, s3
	s_cbranch_execz .LBB30_36
.LBB30_50:                              ;   in Loop: Header=BB30_9 Depth=3
	s_mov_b32 s50, s48
	s_mov_b32 s49, exec_lo
                                        ; implicit-def: $vgpr10_vgpr11
	v_cmpx_lt_i32_e64 v0, v17
	s_cbranch_execz .LBB30_58
; %bb.51:                               ;   in Loop: Header=BB30_9 Depth=3
	s_mov_b32 s51, 0
                                        ; implicit-def: $sgpr50
                                        ; implicit-def: $sgpr53
                                        ; implicit-def: $sgpr52
	s_inst_prefetch 0x1
	s_branch .LBB30_53
	.p2align	6
.LBB30_52:                              ;   in Loop: Header=BB30_53 Depth=4
	s_or_b32 exec_lo, exec_lo, s54
	s_and_b32 s54, exec_lo, s53
	s_or_b32 s51, s54, s51
	s_andn2_b32 s50, s50, exec_lo
	s_and_b32 s54, s52, exec_lo
	s_or_b32 s50, s50, s54
	s_andn2_b32 exec_lo, exec_lo, s51
	s_cbranch_execz .LBB30_55
.LBB30_53:                              ;   Parent Loop BB30_3 Depth=1
                                        ;     Parent Loop BB30_5 Depth=2
                                        ;       Parent Loop BB30_9 Depth=3
                                        ; =>      This Inner Loop Header: Depth=4
	v_add_nc_u32_e32 v7, v5, v0
	s_or_b32 s52, s52, exec_lo
	s_or_b32 s53, s53, exec_lo
	s_mov_b32 s54, exec_lo
	v_ashrrev_i32_e32 v8, 31, v7
	v_lshlrev_b64 v[9:10], 2, v[7:8]
	v_add_co_u32 v9, vcc_lo, s20, v9
	v_add_co_ci_u32_e64 v10, null, s21, v10, vcc_lo
	global_load_dword v9, v[9:10], off
	s_waitcnt vmcnt(0)
	v_subrev_nc_u32_e32 v9, s43, v9
	v_cmpx_ne_u32_e64 v9, v6
	s_cbranch_execz .LBB30_52
; %bb.54:                               ;   in Loop: Header=BB30_53 Depth=4
	v_add_nc_u32_e32 v0, 1, v0
	s_andn2_b32 s53, s53, exec_lo
	s_andn2_b32 s52, s52, exec_lo
	v_cmp_ge_i32_e32 vcc_lo, v0, v17
	s_and_b32 s55, vcc_lo, exec_lo
	s_or_b32 s53, s53, s55
	s_branch .LBB30_52
.LBB30_55:                              ;   in Loop: Header=BB30_9 Depth=3
	s_inst_prefetch 0x2
	s_or_b32 exec_lo, exec_lo, s51
	s_mov_b32 s51, s48
                                        ; implicit-def: $vgpr10_vgpr11
	s_and_saveexec_b32 s52, s50
	s_xor_b32 s50, exec_lo, s52
	s_cbranch_execz .LBB30_57
; %bb.56:                               ;   in Loop: Header=BB30_9 Depth=3
	v_lshlrev_b64 v[6:7], 3, v[7:8]
	s_or_b32 s51, s48, exec_lo
	v_add_co_u32 v10, vcc_lo, s40, v6
	v_add_co_ci_u32_e64 v11, null, s41, v7, vcc_lo
	global_store_dword v[10:11], v23, off
.LBB30_57:                              ;   in Loop: Header=BB30_9 Depth=3
	s_or_b32 exec_lo, exec_lo, s50
	s_andn2_b32 s50, s48, exec_lo
	s_and_b32 s51, s51, exec_lo
	s_or_b32 s50, s50, s51
.LBB30_58:                              ;   in Loop: Header=BB30_9 Depth=3
	s_or_b32 exec_lo, exec_lo, s49
	s_andn2_b32 s48, s48, exec_lo
	s_and_b32 s49, s50, exec_lo
	s_or_b32 s48, s48, s49
	s_or_b32 exec_lo, exec_lo, s3
	s_and_b32 exec_lo, exec_lo, s48
	s_cbranch_execz .LBB30_8
.LBB30_59:                              ;   in Loop: Header=BB30_9 Depth=3
	global_store_dword v[10:11], v4, off offset:4
	s_branch .LBB30_8
.LBB30_60:                              ;   in Loop: Header=BB30_3 Depth=1
	s_and_saveexec_b32 s3, s0
	s_cbranch_execz .LBB30_2
; %bb.61:                               ;   in Loop: Header=BB30_3 Depth=1
	v_mov_b32_e32 v2, v12
	s_mov_b32 s4, 0
	s_branch .LBB30_63
.LBB30_62:                              ;   in Loop: Header=BB30_63 Depth=2
	s_or_b32 exec_lo, exec_lo, s45
	v_add_nc_u32_e32 v2, 0x100, v2
	v_cmp_le_u32_e32 vcc_lo, s5, v2
	s_or_b32 s4, vcc_lo, s4
	s_andn2_b32 exec_lo, exec_lo, s4
	s_cbranch_execz .LBB30_2
.LBB30_63:                              ;   Parent Loop BB30_3 Depth=1
                                        ; =>  This Loop Header: Depth=2
                                        ;       Child Loop BB30_66 Depth 3
                                        ;       Child Loop BB30_69 Depth 3
	s_mov_b32 s45, exec_lo
	v_cmpx_gt_i32_e64 s35, v2
	s_cbranch_execz .LBB30_62
; %bb.64:                               ;   in Loop: Header=BB30_63 Depth=2
	v_ashrrev_i32_e32 v3, 31, v2
	s_mov_b32 s46, exec_lo
	v_lshlrev_b64 v[4:5], 2, v[2:3]
	v_add_co_u32 v6, vcc_lo, s16, v4
	v_add_co_ci_u32_e64 v7, null, s17, v5, vcc_lo
	v_add_co_u32 v8, vcc_lo, s18, v4
	v_add_co_ci_u32_e64 v9, null, s19, v5, vcc_lo
	global_load_dword v0, v[6:7], off
	global_load_dword v7, v[8:9], off
	s_waitcnt vmcnt(1)
	v_add_nc_u32_e32 v6, v14, v0
	s_waitcnt vmcnt(0)
	v_subrev_nc_u32_e32 v0, s43, v7
	v_cmpx_lt_i32_e64 v6, v0
	s_cbranch_execz .LBB30_67
; %bb.65:                               ;   in Loop: Header=BB30_63 Depth=2
	v_ashrrev_i32_e32 v7, 31, v6
	s_mov_b32 s47, 0
	v_lshlrev_b64 v[9:10], 3, v[6:7]
	v_add_co_u32 v7, vcc_lo, s40, v9
	v_add_co_ci_u32_e64 v8, null, s41, v10, vcc_lo
	v_add_co_u32 v9, vcc_lo, s22, v9
	v_add_co_ci_u32_e64 v10, null, s23, v10, vcc_lo
	.p2align	6
.LBB30_66:                              ;   Parent Loop BB30_3 Depth=1
                                        ;     Parent Loop BB30_63 Depth=2
                                        ; =>    This Inner Loop Header: Depth=3
	global_load_dwordx2 v[16:17], v[7:8], off
	v_add_nc_u32_e32 v6, 4, v6
	v_add_co_u32 v7, vcc_lo, v7, 32
	v_add_co_ci_u32_e64 v8, null, 0, v8, vcc_lo
	v_cmp_ge_i32_e32 vcc_lo, v6, v0
	s_or_b32 s47, vcc_lo, s47
	s_waitcnt vmcnt(0)
	global_store_dwordx2 v[9:10], v[16:17], off
	v_add_co_u32 v9, s2, v9, 32
	v_add_co_ci_u32_e64 v10, null, 0, v10, s2
	s_andn2_b32 exec_lo, exec_lo, s47
	s_cbranch_execnz .LBB30_66
.LBB30_67:                              ;   in Loop: Header=BB30_63 Depth=2
	s_or_b32 exec_lo, exec_lo, s46
	v_add_co_u32 v6, vcc_lo, s8, v4
	v_add_co_ci_u32_e64 v7, null, s9, v5, vcc_lo
	v_add_co_u32 v4, vcc_lo, s10, v4
	v_add_co_ci_u32_e64 v5, null, s11, v5, vcc_lo
	global_load_dword v0, v[6:7], off
	global_load_dword v5, v[4:5], off
	s_mov_b32 s46, exec_lo
	s_waitcnt vmcnt(1)
	v_add_nc_u32_e32 v4, v15, v0
	s_waitcnt vmcnt(0)
	v_subrev_nc_u32_e32 v0, s44, v5
	v_cmpx_lt_i32_e64 v4, v0
	s_cbranch_execz .LBB30_70
; %bb.68:                               ;   in Loop: Header=BB30_63 Depth=2
	v_ashrrev_i32_e32 v5, 31, v4
	s_mov_b32 s47, 0
	v_lshlrev_b64 v[7:8], 3, v[4:5]
	v_add_co_u32 v5, vcc_lo, s6, v7
	v_add_co_ci_u32_e64 v6, null, s7, v8, vcc_lo
	v_add_co_u32 v7, vcc_lo, s14, v7
	v_add_co_ci_u32_e64 v8, null, s15, v8, vcc_lo
	.p2align	6
.LBB30_69:                              ;   Parent Loop BB30_3 Depth=1
                                        ;     Parent Loop BB30_63 Depth=2
                                        ; =>    This Inner Loop Header: Depth=3
	global_load_dwordx2 v[9:10], v[5:6], off
	v_add_nc_u32_e32 v4, 4, v4
	v_add_co_u32 v5, vcc_lo, v5, 32
	v_add_co_ci_u32_e64 v6, null, 0, v6, vcc_lo
	v_cmp_ge_i32_e32 vcc_lo, v4, v0
	s_or_b32 s47, vcc_lo, s47
	s_waitcnt vmcnt(0)
	global_store_dwordx2 v[7:8], v[9:10], off
	v_add_co_u32 v7, s2, v7, 32
	v_add_co_ci_u32_e64 v8, null, 0, v8, s2
	s_andn2_b32 exec_lo, exec_lo, s47
	s_cbranch_execnz .LBB30_69
.LBB30_70:                              ;   in Loop: Header=BB30_63 Depth=2
	s_or_b32 exec_lo, exec_lo, s46
	s_and_b32 exec_lo, exec_lo, s1
	s_cbranch_execz .LBB30_62
; %bb.71:                               ;   in Loop: Header=BB30_63 Depth=2
	v_lshlrev_b64 v[3:4], 3, v[2:3]
	v_add_co_u32 v5, vcc_lo, s38, v3
	v_add_co_ci_u32_e64 v6, null, s39, v4, vcc_lo
	v_add_co_u32 v3, vcc_lo, s36, v3
	v_add_co_ci_u32_e64 v4, null, s37, v4, vcc_lo
	global_load_dwordx2 v[5:6], v[5:6], off
	s_waitcnt vmcnt(0)
	global_store_dwordx2 v[3:4], v[5:6], off
	s_branch .LBB30_62
.LBB30_72:
	s_endpgm
	.section	.rodata,"a",@progbits
	.p2align	6, 0x0
	.amdhsa_kernel _ZN9rocsparseL14kernel_freerunILi1024ELi4E21rocsparse_complex_numIfEiiEEvT3_S3_T2_PKS4_S6_PKS3_PKT1_21rocsparse_index_base_S6_S6_S8_PS9_SD_SC_S6_S6_S8_SD_SD_SC_SD_SD_
		.amdhsa_group_segment_fixed_size 0
		.amdhsa_private_segment_fixed_size 0
		.amdhsa_kernarg_size 168
		.amdhsa_user_sgpr_count 6
		.amdhsa_user_sgpr_private_segment_buffer 1
		.amdhsa_user_sgpr_dispatch_ptr 0
		.amdhsa_user_sgpr_queue_ptr 0
		.amdhsa_user_sgpr_kernarg_segment_ptr 1
		.amdhsa_user_sgpr_dispatch_id 0
		.amdhsa_user_sgpr_flat_scratch_init 0
		.amdhsa_user_sgpr_private_segment_size 0
		.amdhsa_wavefront_size32 1
		.amdhsa_uses_dynamic_stack 0
		.amdhsa_system_sgpr_private_segment_wavefront_offset 0
		.amdhsa_system_sgpr_workgroup_id_x 1
		.amdhsa_system_sgpr_workgroup_id_y 0
		.amdhsa_system_sgpr_workgroup_id_z 0
		.amdhsa_system_sgpr_workgroup_info 0
		.amdhsa_system_vgpr_workitem_id 0
		.amdhsa_next_free_vgpr 34
		.amdhsa_next_free_sgpr 57
		.amdhsa_reserve_vcc 1
		.amdhsa_reserve_flat_scratch 0
		.amdhsa_float_round_mode_32 0
		.amdhsa_float_round_mode_16_64 0
		.amdhsa_float_denorm_mode_32 3
		.amdhsa_float_denorm_mode_16_64 3
		.amdhsa_dx10_clamp 1
		.amdhsa_ieee_mode 1
		.amdhsa_fp16_overflow 0
		.amdhsa_workgroup_processor_mode 1
		.amdhsa_memory_ordered 1
		.amdhsa_forward_progress 1
		.amdhsa_shared_vgpr_count 0
		.amdhsa_exception_fp_ieee_invalid_op 0
		.amdhsa_exception_fp_denorm_src 0
		.amdhsa_exception_fp_ieee_div_zero 0
		.amdhsa_exception_fp_ieee_overflow 0
		.amdhsa_exception_fp_ieee_underflow 0
		.amdhsa_exception_fp_ieee_inexact 0
		.amdhsa_exception_int_div_zero 0
	.end_amdhsa_kernel
	.section	.text._ZN9rocsparseL14kernel_freerunILi1024ELi4E21rocsparse_complex_numIfEiiEEvT3_S3_T2_PKS4_S6_PKS3_PKT1_21rocsparse_index_base_S6_S6_S8_PS9_SD_SC_S6_S6_S8_SD_SD_SC_SD_SD_,"axG",@progbits,_ZN9rocsparseL14kernel_freerunILi1024ELi4E21rocsparse_complex_numIfEiiEEvT3_S3_T2_PKS4_S6_PKS3_PKT1_21rocsparse_index_base_S6_S6_S8_PS9_SD_SC_S6_S6_S8_SD_SD_SC_SD_SD_,comdat
.Lfunc_end30:
	.size	_ZN9rocsparseL14kernel_freerunILi1024ELi4E21rocsparse_complex_numIfEiiEEvT3_S3_T2_PKS4_S6_PKS3_PKT1_21rocsparse_index_base_S6_S6_S8_PS9_SD_SC_S6_S6_S8_SD_SD_SC_SD_SD_, .Lfunc_end30-_ZN9rocsparseL14kernel_freerunILi1024ELi4E21rocsparse_complex_numIfEiiEEvT3_S3_T2_PKS4_S6_PKS3_PKT1_21rocsparse_index_base_S6_S6_S8_PS9_SD_SC_S6_S6_S8_SD_SD_SC_SD_SD_
                                        ; -- End function
	.set _ZN9rocsparseL14kernel_freerunILi1024ELi4E21rocsparse_complex_numIfEiiEEvT3_S3_T2_PKS4_S6_PKS3_PKT1_21rocsparse_index_base_S6_S6_S8_PS9_SD_SC_S6_S6_S8_SD_SD_SC_SD_SD_.num_vgpr, 34
	.set _ZN9rocsparseL14kernel_freerunILi1024ELi4E21rocsparse_complex_numIfEiiEEvT3_S3_T2_PKS4_S6_PKS3_PKT1_21rocsparse_index_base_S6_S6_S8_PS9_SD_SC_S6_S6_S8_SD_SD_SC_SD_SD_.num_agpr, 0
	.set _ZN9rocsparseL14kernel_freerunILi1024ELi4E21rocsparse_complex_numIfEiiEEvT3_S3_T2_PKS4_S6_PKS3_PKT1_21rocsparse_index_base_S6_S6_S8_PS9_SD_SC_S6_S6_S8_SD_SD_SC_SD_SD_.numbered_sgpr, 57
	.set _ZN9rocsparseL14kernel_freerunILi1024ELi4E21rocsparse_complex_numIfEiiEEvT3_S3_T2_PKS4_S6_PKS3_PKT1_21rocsparse_index_base_S6_S6_S8_PS9_SD_SC_S6_S6_S8_SD_SD_SC_SD_SD_.num_named_barrier, 0
	.set _ZN9rocsparseL14kernel_freerunILi1024ELi4E21rocsparse_complex_numIfEiiEEvT3_S3_T2_PKS4_S6_PKS3_PKT1_21rocsparse_index_base_S6_S6_S8_PS9_SD_SC_S6_S6_S8_SD_SD_SC_SD_SD_.private_seg_size, 0
	.set _ZN9rocsparseL14kernel_freerunILi1024ELi4E21rocsparse_complex_numIfEiiEEvT3_S3_T2_PKS4_S6_PKS3_PKT1_21rocsparse_index_base_S6_S6_S8_PS9_SD_SC_S6_S6_S8_SD_SD_SC_SD_SD_.uses_vcc, 1
	.set _ZN9rocsparseL14kernel_freerunILi1024ELi4E21rocsparse_complex_numIfEiiEEvT3_S3_T2_PKS4_S6_PKS3_PKT1_21rocsparse_index_base_S6_S6_S8_PS9_SD_SC_S6_S6_S8_SD_SD_SC_SD_SD_.uses_flat_scratch, 0
	.set _ZN9rocsparseL14kernel_freerunILi1024ELi4E21rocsparse_complex_numIfEiiEEvT3_S3_T2_PKS4_S6_PKS3_PKT1_21rocsparse_index_base_S6_S6_S8_PS9_SD_SC_S6_S6_S8_SD_SD_SC_SD_SD_.has_dyn_sized_stack, 0
	.set _ZN9rocsparseL14kernel_freerunILi1024ELi4E21rocsparse_complex_numIfEiiEEvT3_S3_T2_PKS4_S6_PKS3_PKT1_21rocsparse_index_base_S6_S6_S8_PS9_SD_SC_S6_S6_S8_SD_SD_SC_SD_SD_.has_recursion, 0
	.set _ZN9rocsparseL14kernel_freerunILi1024ELi4E21rocsparse_complex_numIfEiiEEvT3_S3_T2_PKS4_S6_PKS3_PKT1_21rocsparse_index_base_S6_S6_S8_PS9_SD_SC_S6_S6_S8_SD_SD_SC_SD_SD_.has_indirect_call, 0
	.section	.AMDGPU.csdata,"",@progbits
; Kernel info:
; codeLenInByte = 3608
; TotalNumSgprs: 59
; NumVgprs: 34
; ScratchSize: 0
; MemoryBound: 0
; FloatMode: 240
; IeeeMode: 1
; LDSByteSize: 0 bytes/workgroup (compile time only)
; SGPRBlocks: 0
; VGPRBlocks: 4
; NumSGPRsForWavesPerEU: 59
; NumVGPRsForWavesPerEU: 34
; Occupancy: 16
; WaveLimiterHint : 1
; COMPUTE_PGM_RSRC2:SCRATCH_EN: 0
; COMPUTE_PGM_RSRC2:USER_SGPR: 6
; COMPUTE_PGM_RSRC2:TRAP_HANDLER: 0
; COMPUTE_PGM_RSRC2:TGID_X_EN: 1
; COMPUTE_PGM_RSRC2:TGID_Y_EN: 0
; COMPUTE_PGM_RSRC2:TGID_Z_EN: 0
; COMPUTE_PGM_RSRC2:TIDIG_COMP_CNT: 0
	.section	.text._ZN9rocsparseL14kernel_freerunILi1024ELi8E21rocsparse_complex_numIfEiiEEvT3_S3_T2_PKS4_S6_PKS3_PKT1_21rocsparse_index_base_S6_S6_S8_PS9_SD_SC_S6_S6_S8_SD_SD_SC_SD_SD_,"axG",@progbits,_ZN9rocsparseL14kernel_freerunILi1024ELi8E21rocsparse_complex_numIfEiiEEvT3_S3_T2_PKS4_S6_PKS3_PKT1_21rocsparse_index_base_S6_S6_S8_PS9_SD_SC_S6_S6_S8_SD_SD_SC_SD_SD_,comdat
	.globl	_ZN9rocsparseL14kernel_freerunILi1024ELi8E21rocsparse_complex_numIfEiiEEvT3_S3_T2_PKS4_S6_PKS3_PKT1_21rocsparse_index_base_S6_S6_S8_PS9_SD_SC_S6_S6_S8_SD_SD_SC_SD_SD_ ; -- Begin function _ZN9rocsparseL14kernel_freerunILi1024ELi8E21rocsparse_complex_numIfEiiEEvT3_S3_T2_PKS4_S6_PKS3_PKT1_21rocsparse_index_base_S6_S6_S8_PS9_SD_SC_S6_S6_S8_SD_SD_SC_SD_SD_
	.p2align	8
	.type	_ZN9rocsparseL14kernel_freerunILi1024ELi8E21rocsparse_complex_numIfEiiEEvT3_S3_T2_PKS4_S6_PKS3_PKT1_21rocsparse_index_base_S6_S6_S8_PS9_SD_SC_S6_S6_S8_SD_SD_SC_SD_SD_,@function
_ZN9rocsparseL14kernel_freerunILi1024ELi8E21rocsparse_complex_numIfEiiEEvT3_S3_T2_PKS4_S6_PKS3_PKT1_21rocsparse_index_base_S6_S6_S8_PS9_SD_SC_S6_S6_S8_SD_SD_SC_SD_SD_: ; @_ZN9rocsparseL14kernel_freerunILi1024ELi8E21rocsparse_complex_numIfEiiEEvT3_S3_T2_PKS4_S6_PKS3_PKT1_21rocsparse_index_base_S6_S6_S8_PS9_SD_SC_S6_S6_S8_SD_SD_SC_SD_SD_
; %bb.0:
	s_load_dwordx2 s[34:35], s[4:5], 0x0
	v_lshrrev_b32_e32 v1, 3, v0
	s_lshl_b32 s0, s6, 10
	s_mov_b32 s33, 0
	v_or_b32_e32 v12, s0, v1
	s_waitcnt lgkmcnt(0)
	v_cmp_gt_i32_e32 vcc_lo, s35, v12
	s_cmp_gt_i32 s34, 0
	s_cselect_b32 s1, -1, 0
	s_and_b32 s1, vcc_lo, s1
	s_and_saveexec_b32 s2, s1
	s_cbranch_execz .LBB31_72
; %bb.1:
	s_clause 0x8
	s_load_dword s42, s[4:5], 0x30
	s_load_dword s43, s[4:5], 0x60
	s_load_dword s44, s[4:5], 0x90
	s_load_dwordx2 s[6:7], s[4:5], 0x88
	s_load_dwordx2 s[40:41], s[4:5], 0x58
	s_load_dwordx4 s[36:39], s[4:5], 0x98
	s_load_dwordx8 s[8:15], s[4:5], 0x68
	s_load_dwordx8 s[16:23], s[4:5], 0x38
	;; [unrolled: 1-line block ×3, first 2 shown]
	v_and_b32_e32 v0, 7, v0
	s_add_i32 s5, s0, 0x400
	v_mov_b32_e32 v1, 0
	v_cmp_gt_u32_e64 s0, s5, v12
	v_cmp_eq_u32_e64 s1, 0, v0
	s_waitcnt lgkmcnt(0)
	v_subrev_nc_u32_e32 v13, s42, v0
	v_subrev_nc_u32_e32 v14, s43, v0
	;; [unrolled: 1-line block ×3, first 2 shown]
	s_branch .LBB31_3
.LBB31_2:                               ;   in Loop: Header=BB31_3 Depth=1
	s_or_b32 exec_lo, exec_lo, s3
	s_add_i32 s33, s33, 1
	s_cmp_eq_u32 s33, s34
	s_cbranch_scc1 .LBB31_72
.LBB31_3:                               ; =>This Loop Header: Depth=1
                                        ;     Child Loop BB31_5 Depth 2
                                        ;       Child Loop BB31_9 Depth 3
                                        ;         Child Loop BB31_13 Depth 4
                                        ;         Child Loop BB31_43 Depth 4
                                        ;         Child Loop BB31_53 Depth 4
                                        ;     Child Loop BB31_63 Depth 2
                                        ;       Child Loop BB31_66 Depth 3
                                        ;       Child Loop BB31_69 Depth 3
	s_mov_b32 s45, 0
	s_branch .LBB31_5
.LBB31_4:                               ;   in Loop: Header=BB31_5 Depth=2
	s_or_b32 exec_lo, exec_lo, s46
	s_add_i32 s45, s45, 1
	s_cmp_eq_u32 s45, 8
	s_cbranch_scc1 .LBB31_60
.LBB31_5:                               ;   Parent Loop BB31_3 Depth=1
                                        ; =>  This Loop Header: Depth=2
                                        ;       Child Loop BB31_9 Depth 3
                                        ;         Child Loop BB31_13 Depth 4
                                        ;         Child Loop BB31_43 Depth 4
                                        ;         Child Loop BB31_53 Depth 4
	v_lshl_add_u32 v2, s45, 7, v12
	s_mov_b32 s46, exec_lo
	v_cmpx_gt_i32_e64 s35, v2
	s_cbranch_execz .LBB31_4
; %bb.6:                                ;   in Loop: Header=BB31_5 Depth=2
	v_ashrrev_i32_e32 v3, 31, v2
	v_lshlrev_b64 v[4:5], 2, v[2:3]
	v_add_co_u32 v6, vcc_lo, s24, v4
	v_add_co_ci_u32_e64 v7, null, s25, v5, vcc_lo
	v_add_co_u32 v8, vcc_lo, s26, v4
	v_add_co_ci_u32_e64 v9, null, s27, v5, vcc_lo
	global_load_dword v0, v[6:7], off
	global_load_dword v6, v[8:9], off
	s_waitcnt vmcnt(1)
	v_add_nc_u32_e32 v3, v13, v0
	s_waitcnt vmcnt(0)
	v_subrev_nc_u32_e32 v16, s42, v6
	v_cmp_lt_i32_e32 vcc_lo, v3, v16
	s_and_b32 exec_lo, exec_lo, vcc_lo
	s_cbranch_execz .LBB31_4
; %bb.7:                                ;   in Loop: Header=BB31_5 Depth=2
	v_add_co_u32 v6, vcc_lo, s16, v4
	v_add_co_ci_u32_e64 v7, null, s17, v5, vcc_lo
	v_add_co_u32 v4, vcc_lo, s18, v4
	v_add_co_ci_u32_e64 v5, null, s19, v5, vcc_lo
	global_load_dword v0, v[6:7], off
	s_mov_b32 s47, 0
	global_load_dword v4, v[4:5], off
	s_waitcnt vmcnt(1)
	v_subrev_nc_u32_e32 v5, s43, v0
	s_waitcnt vmcnt(0)
	v_sub_nc_u32_e32 v17, v4, v0
	v_ashrrev_i32_e32 v6, 31, v5
	v_cmp_lt_i32_e64 s2, 0, v17
	v_lshlrev_b64 v[7:8], 2, v[5:6]
	v_lshlrev_b64 v[9:10], 3, v[5:6]
	v_add_co_u32 v18, vcc_lo, s20, v7
	v_add_co_ci_u32_e64 v19, null, s21, v8, vcc_lo
	v_add_co_u32 v20, vcc_lo, s22, v9
	v_add_co_ci_u32_e64 v21, null, s23, v10, vcc_lo
	s_branch .LBB31_9
.LBB31_8:                               ;   in Loop: Header=BB31_9 Depth=3
	s_or_b32 exec_lo, exec_lo, s4
	v_add_nc_u32_e32 v3, 8, v3
	v_cmp_ge_i32_e32 vcc_lo, v3, v16
	s_or_b32 s47, vcc_lo, s47
	s_andn2_b32 exec_lo, exec_lo, s47
	s_cbranch_execz .LBB31_4
.LBB31_9:                               ;   Parent Loop BB31_3 Depth=1
                                        ;     Parent Loop BB31_5 Depth=2
                                        ; =>    This Loop Header: Depth=3
                                        ;         Child Loop BB31_13 Depth 4
                                        ;         Child Loop BB31_43 Depth 4
                                        ;         Child Loop BB31_53 Depth 4
	v_ashrrev_i32_e32 v4, 31, v3
	v_mov_b32_e32 v24, 0
	v_lshlrev_b64 v[6:7], 2, v[3:4]
	v_add_co_u32 v6, vcc_lo, s28, v6
	v_add_co_ci_u32_e64 v7, null, s29, v7, vcc_lo
	global_load_dword v0, v[6:7], off
	s_waitcnt vmcnt(0)
	v_subrev_nc_u32_e32 v6, s42, v0
	v_mov_b32_e32 v0, 0
	v_ashrrev_i32_e32 v7, 31, v6
	v_lshlrev_b64 v[8:9], 2, v[6:7]
	v_add_co_u32 v10, vcc_lo, s8, v8
	v_add_co_ci_u32_e64 v11, null, s9, v9, vcc_lo
	v_add_co_u32 v8, vcc_lo, s10, v8
	v_add_co_ci_u32_e64 v9, null, s11, v9, vcc_lo
	global_load_dword v10, v[10:11], off
	global_load_dword v9, v[8:9], off
	v_mov_b32_e32 v11, 0
	s_waitcnt vmcnt(1)
	v_subrev_nc_u32_e32 v8, s44, v10
	s_waitcnt vmcnt(0)
	v_sub_nc_u32_e32 v22, v9, v10
	v_mov_b32_e32 v9, v0
	s_and_saveexec_b32 s4, s2
	s_cbranch_execz .LBB31_17
; %bb.10:                               ;   in Loop: Header=BB31_9 Depth=3
	v_ashrrev_i32_e32 v9, 31, v8
	v_mov_b32_e32 v11, 0
	v_mov_b32_e32 v0, 0
	s_mov_b32 s48, 0
                                        ; implicit-def: $sgpr49
	v_lshlrev_b64 v[23:24], 2, v[8:9]
	v_lshlrev_b64 v[9:10], 3, v[8:9]
	v_add_co_u32 v23, vcc_lo, s12, v23
	v_add_co_ci_u32_e64 v25, null, s13, v24, vcc_lo
	v_add_co_u32 v26, vcc_lo, s14, v9
	v_add_co_ci_u32_e64 v27, null, s15, v10, vcc_lo
	v_mov_b32_e32 v9, 0
	v_mov_b32_e32 v24, 0
	s_branch .LBB31_13
.LBB31_11:                              ;   in Loop: Header=BB31_13 Depth=4
	s_or_b32 exec_lo, exec_lo, s3
	v_cmp_le_i32_e32 vcc_lo, v28, v29
	v_cmp_ge_i32_e64 s3, v28, v29
	v_add_co_ci_u32_e64 v0, null, 0, v0, vcc_lo
	v_add_co_ci_u32_e64 v9, null, 0, v9, s3
	s_andn2_b32 s3, s49, exec_lo
	v_cmp_ge_i32_e32 vcc_lo, v0, v17
	s_and_b32 s49, vcc_lo, exec_lo
	s_or_b32 s49, s3, s49
.LBB31_12:                              ;   in Loop: Header=BB31_13 Depth=4
	s_or_b32 exec_lo, exec_lo, s50
	s_and_b32 s3, exec_lo, s49
	s_or_b32 s48, s3, s48
	s_andn2_b32 exec_lo, exec_lo, s48
	s_cbranch_execz .LBB31_16
.LBB31_13:                              ;   Parent Loop BB31_3 Depth=1
                                        ;     Parent Loop BB31_5 Depth=2
                                        ;       Parent Loop BB31_9 Depth=3
                                        ; =>      This Inner Loop Header: Depth=4
	s_or_b32 s49, s49, exec_lo
	s_mov_b32 s50, exec_lo
	v_cmpx_lt_i32_e64 v9, v22
	s_cbranch_execz .LBB31_12
; %bb.14:                               ;   in Loop: Header=BB31_13 Depth=4
	v_mov_b32_e32 v10, v1
	v_lshlrev_b64 v[28:29], 2, v[0:1]
	s_mov_b32 s3, exec_lo
	v_lshlrev_b64 v[30:31], 2, v[9:10]
	v_add_co_u32 v28, vcc_lo, v18, v28
	v_add_co_ci_u32_e64 v29, null, v19, v29, vcc_lo
	v_add_co_u32 v30, vcc_lo, v23, v30
	v_add_co_ci_u32_e64 v31, null, v25, v31, vcc_lo
	global_load_dword v28, v[28:29], off
	global_load_dword v29, v[30:31], off
	s_waitcnt vmcnt(1)
	v_subrev_nc_u32_e32 v28, s43, v28
	s_waitcnt vmcnt(0)
	v_subrev_nc_u32_e32 v29, s44, v29
	v_cmpx_eq_u32_e64 v28, v29
	s_cbranch_execz .LBB31_11
; %bb.15:                               ;   in Loop: Header=BB31_13 Depth=4
	v_lshlrev_b64 v[30:31], 3, v[0:1]
	v_lshlrev_b64 v[32:33], 3, v[9:10]
	v_add_co_u32 v30, vcc_lo, v20, v30
	v_add_co_ci_u32_e64 v31, null, v21, v31, vcc_lo
	v_add_co_u32 v32, vcc_lo, v26, v32
	v_add_co_ci_u32_e64 v33, null, v27, v33, vcc_lo
	global_load_dwordx2 v[30:31], v[30:31], off
	global_load_dwordx2 v[32:33], v[32:33], off
	s_waitcnt vmcnt(0)
	v_fmac_f32_e32 v11, v30, v32
	v_fmac_f32_e32 v24, v31, v32
	v_fma_f32 v11, -v31, v33, v11
	v_fmac_f32_e32 v24, v30, v33
	s_branch .LBB31_11
.LBB31_16:                              ;   in Loop: Header=BB31_9 Depth=3
	s_or_b32 exec_lo, exec_lo, s48
.LBB31_17:                              ;   in Loop: Header=BB31_9 Depth=3
	s_or_b32 exec_lo, exec_lo, s4
	v_lshlrev_b64 v[25:26], 3, v[3:4]
	v_cmp_le_i32_e64 s3, v2, v6
	s_mov_b32 s48, exec_lo
	v_add_co_u32 v25, vcc_lo, s30, v25
	v_add_co_ci_u32_e64 v26, null, s31, v26, vcc_lo
	global_load_dwordx2 v[25:26], v[25:26], off
	s_waitcnt vmcnt(0)
	v_sub_f32_e32 v23, v25, v11
	v_sub_f32_e32 v4, v26, v24
	v_cmpx_gt_i32_e64 v2, v6
	s_cbranch_execz .LBB31_27
; %bb.18:                               ;   in Loop: Header=BB31_9 Depth=3
	v_lshlrev_b64 v[10:11], 3, v[6:7]
                                        ; implicit-def: $vgpr26
	s_mov_b32 s4, exec_lo
	v_add_co_u32 v10, vcc_lo, s36, v10
	v_add_co_ci_u32_e64 v11, null, s37, v11, vcc_lo
	global_load_dwordx2 v[10:11], v[10:11], off
	s_waitcnt vmcnt(0)
	v_cmp_gt_f32_e32 vcc_lo, 0, v10
	v_cndmask_b32_e64 v24, v10, -v10, vcc_lo
	v_cmp_gt_f32_e32 vcc_lo, 0, v11
	v_cndmask_b32_e64 v25, v11, -v11, vcc_lo
	v_cmpx_ngt_f32_e32 v24, v25
	s_xor_b32 s49, exec_lo, s4
	s_cbranch_execz .LBB31_22
; %bb.19:                               ;   in Loop: Header=BB31_9 Depth=3
	v_mov_b32_e32 v26, 0
	s_mov_b32 s50, exec_lo
	v_cmpx_neq_f32_e32 0, v11
	s_cbranch_execz .LBB31_21
; %bb.20:                               ;   in Loop: Header=BB31_9 Depth=3
	v_div_scale_f32 v26, null, v25, v25, v24
	v_div_scale_f32 v29, vcc_lo, v24, v25, v24
	v_rcp_f32_e32 v27, v26
	v_fma_f32 v28, -v26, v27, 1.0
	v_fmac_f32_e32 v27, v28, v27
	v_mul_f32_e32 v28, v29, v27
	v_fma_f32 v30, -v26, v28, v29
	v_fmac_f32_e32 v28, v30, v27
	v_fma_f32 v26, -v26, v28, v29
	v_div_fmas_f32 v26, v26, v27, v28
	v_div_fixup_f32 v24, v26, v25, v24
	v_fma_f32 v24, v24, v24, 1.0
	v_mul_f32_e32 v26, 0x4f800000, v24
	v_cmp_gt_f32_e32 vcc_lo, 0xf800000, v24
	v_cndmask_b32_e32 v24, v24, v26, vcc_lo
	v_sqrt_f32_e32 v26, v24
	v_add_nc_u32_e32 v27, -1, v26
	v_add_nc_u32_e32 v28, 1, v26
	v_fma_f32 v29, -v27, v26, v24
	v_fma_f32 v30, -v28, v26, v24
	v_cmp_ge_f32_e64 s4, 0, v29
	v_cndmask_b32_e64 v26, v26, v27, s4
	v_cmp_lt_f32_e64 s4, 0, v30
	v_cndmask_b32_e64 v26, v26, v28, s4
	v_mul_f32_e32 v27, 0x37800000, v26
	v_cndmask_b32_e32 v26, v26, v27, vcc_lo
	v_cmp_class_f32_e64 vcc_lo, v24, 0x260
	v_cndmask_b32_e32 v24, v26, v24, vcc_lo
	v_mul_f32_e32 v26, v25, v24
.LBB31_21:                              ;   in Loop: Header=BB31_9 Depth=3
	s_or_b32 exec_lo, exec_lo, s50
                                        ; implicit-def: $vgpr24
                                        ; implicit-def: $vgpr25
.LBB31_22:                              ;   in Loop: Header=BB31_9 Depth=3
	s_andn2_saveexec_b32 s49, s49
	s_cbranch_execz .LBB31_24
; %bb.23:                               ;   in Loop: Header=BB31_9 Depth=3
	v_div_scale_f32 v26, null, v24, v24, v25
	v_div_scale_f32 v29, vcc_lo, v25, v24, v25
	v_rcp_f32_e32 v27, v26
	v_fma_f32 v28, -v26, v27, 1.0
	v_fmac_f32_e32 v27, v28, v27
	v_mul_f32_e32 v28, v29, v27
	v_fma_f32 v30, -v26, v28, v29
	v_fmac_f32_e32 v28, v30, v27
	v_fma_f32 v26, -v26, v28, v29
	v_div_fmas_f32 v26, v26, v27, v28
	v_div_fixup_f32 v25, v26, v24, v25
	v_fma_f32 v25, v25, v25, 1.0
	v_mul_f32_e32 v26, 0x4f800000, v25
	v_cmp_gt_f32_e32 vcc_lo, 0xf800000, v25
	v_cndmask_b32_e32 v25, v25, v26, vcc_lo
	v_sqrt_f32_e32 v26, v25
	v_add_nc_u32_e32 v27, -1, v26
	v_add_nc_u32_e32 v28, 1, v26
	v_fma_f32 v29, -v27, v26, v25
	v_fma_f32 v30, -v28, v26, v25
	v_cmp_ge_f32_e64 s4, 0, v29
	v_cndmask_b32_e64 v26, v26, v27, s4
	v_cmp_lt_f32_e64 s4, 0, v30
	v_cndmask_b32_e64 v26, v26, v28, s4
	v_mul_f32_e32 v27, 0x37800000, v26
	v_cndmask_b32_e32 v26, v26, v27, vcc_lo
	v_cmp_class_f32_e64 vcc_lo, v25, 0x260
	v_cndmask_b32_e32 v25, v26, v25, vcc_lo
	v_mul_f32_e32 v26, v24, v25
.LBB31_24:                              ;   in Loop: Header=BB31_9 Depth=3
	s_or_b32 exec_lo, exec_lo, s49
	v_mov_b32_e32 v24, 0
	v_mov_b32_e32 v25, 0
	s_mov_b32 s4, exec_lo
	v_cmpx_lt_f32_e32 0, v26
	s_cbranch_execz .LBB31_26
; %bb.25:                               ;   in Loop: Header=BB31_9 Depth=3
	v_mul_f32_e32 v24, v11, v11
	v_fmac_f32_e32 v24, v10, v10
	v_div_scale_f32 v25, null, v24, v24, 1.0
	v_div_scale_f32 v28, vcc_lo, 1.0, v24, 1.0
	v_rcp_f32_e32 v26, v25
	v_fma_f32 v27, -v25, v26, 1.0
	v_fmac_f32_e32 v26, v27, v26
	v_mul_f32_e32 v27, v28, v26
	v_fma_f32 v29, -v25, v27, v28
	v_fmac_f32_e32 v27, v29, v26
	v_fma_f32 v25, -v25, v27, v28
	v_mul_f32_e32 v28, v4, v11
	v_mul_f32_e64 v11, v11, -v23
	v_div_fmas_f32 v25, v25, v26, v27
	v_fmac_f32_e32 v28, v23, v10
	v_fmac_f32_e32 v11, v4, v10
	v_div_fixup_f32 v23, v25, v24, 1.0
	v_mul_f32_e32 v24, v28, v23
	v_mul_f32_e32 v25, v11, v23
.LBB31_26:                              ;   in Loop: Header=BB31_9 Depth=3
	s_or_b32 exec_lo, exec_lo, s4
	v_mov_b32_e32 v23, v24
	v_mov_b32_e32 v4, v25
.LBB31_27:                              ;   in Loop: Header=BB31_9 Depth=3
	s_or_b32 exec_lo, exec_lo, s48
	v_cmp_gt_f32_e32 vcc_lo, 0, v23
                                        ; implicit-def: $vgpr24
	s_mov_b32 s4, exec_lo
	v_cndmask_b32_e64 v10, v23, -v23, vcc_lo
	v_cmp_gt_f32_e32 vcc_lo, 0, v4
	v_cndmask_b32_e64 v11, v4, -v4, vcc_lo
	v_cmpx_ngt_f32_e32 v10, v11
	s_xor_b32 s48, exec_lo, s4
	s_cbranch_execnz .LBB31_30
; %bb.28:                               ;   in Loop: Header=BB31_9 Depth=3
	s_andn2_saveexec_b32 s48, s48
	s_cbranch_execnz .LBB31_33
.LBB31_29:                              ;   in Loop: Header=BB31_9 Depth=3
	s_or_b32 exec_lo, exec_lo, s48
	v_cmp_class_f32_e64 s48, v24, 0x1f8
	s_and_saveexec_b32 s4, s48
	s_cbranch_execz .LBB31_8
	s_branch .LBB31_34
.LBB31_30:                              ;   in Loop: Header=BB31_9 Depth=3
	v_mov_b32_e32 v24, 0
	s_mov_b32 s49, exec_lo
	v_cmpx_neq_f32_e32 0, v4
	s_cbranch_execz .LBB31_32
; %bb.31:                               ;   in Loop: Header=BB31_9 Depth=3
	v_div_scale_f32 v24, null, v11, v11, v10
	v_div_scale_f32 v27, vcc_lo, v10, v11, v10
	v_rcp_f32_e32 v25, v24
	v_fma_f32 v26, -v24, v25, 1.0
	v_fmac_f32_e32 v25, v26, v25
	v_mul_f32_e32 v26, v27, v25
	v_fma_f32 v28, -v24, v26, v27
	v_fmac_f32_e32 v26, v28, v25
	v_fma_f32 v24, -v24, v26, v27
	v_div_fmas_f32 v24, v24, v25, v26
	v_div_fixup_f32 v10, v24, v11, v10
	v_fma_f32 v10, v10, v10, 1.0
	v_mul_f32_e32 v24, 0x4f800000, v10
	v_cmp_gt_f32_e32 vcc_lo, 0xf800000, v10
	v_cndmask_b32_e32 v10, v10, v24, vcc_lo
	v_sqrt_f32_e32 v24, v10
	v_add_nc_u32_e32 v25, -1, v24
	v_add_nc_u32_e32 v26, 1, v24
	v_fma_f32 v27, -v25, v24, v10
	v_fma_f32 v28, -v26, v24, v10
	v_cmp_ge_f32_e64 s4, 0, v27
	v_cndmask_b32_e64 v24, v24, v25, s4
	v_cmp_lt_f32_e64 s4, 0, v28
	v_cndmask_b32_e64 v24, v24, v26, s4
	v_mul_f32_e32 v25, 0x37800000, v24
	v_cndmask_b32_e32 v24, v24, v25, vcc_lo
	v_cmp_class_f32_e64 vcc_lo, v10, 0x260
	v_cndmask_b32_e32 v10, v24, v10, vcc_lo
	v_mul_f32_e32 v24, v11, v10
.LBB31_32:                              ;   in Loop: Header=BB31_9 Depth=3
	s_or_b32 exec_lo, exec_lo, s49
                                        ; implicit-def: $vgpr10
                                        ; implicit-def: $vgpr11
	s_andn2_saveexec_b32 s48, s48
	s_cbranch_execz .LBB31_29
.LBB31_33:                              ;   in Loop: Header=BB31_9 Depth=3
	v_div_scale_f32 v24, null, v10, v10, v11
	v_div_scale_f32 v27, vcc_lo, v11, v10, v11
	v_rcp_f32_e32 v25, v24
	v_fma_f32 v26, -v24, v25, 1.0
	v_fmac_f32_e32 v25, v26, v25
	v_mul_f32_e32 v26, v27, v25
	v_fma_f32 v28, -v24, v26, v27
	v_fmac_f32_e32 v26, v28, v25
	v_fma_f32 v24, -v24, v26, v27
	v_div_fmas_f32 v24, v24, v25, v26
	v_div_fixup_f32 v11, v24, v10, v11
	v_fma_f32 v11, v11, v11, 1.0
	v_mul_f32_e32 v24, 0x4f800000, v11
	v_cmp_gt_f32_e32 vcc_lo, 0xf800000, v11
	v_cndmask_b32_e32 v11, v11, v24, vcc_lo
	v_sqrt_f32_e32 v24, v11
	v_add_nc_u32_e32 v25, -1, v24
	v_add_nc_u32_e32 v26, 1, v24
	v_fma_f32 v27, -v25, v24, v11
	v_fma_f32 v28, -v26, v24, v11
	v_cmp_ge_f32_e64 s4, 0, v27
	v_cndmask_b32_e64 v24, v24, v25, s4
	v_cmp_lt_f32_e64 s4, 0, v28
	v_cndmask_b32_e64 v24, v24, v26, s4
	v_mul_f32_e32 v25, 0x37800000, v24
	v_cndmask_b32_e32 v24, v24, v25, vcc_lo
	v_cmp_class_f32_e64 vcc_lo, v11, 0x260
	v_cndmask_b32_e32 v11, v24, v11, vcc_lo
	v_mul_f32_e32 v24, v10, v11
	s_or_b32 exec_lo, exec_lo, s48
	v_cmp_class_f32_e64 s48, v24, 0x1f8
	s_and_saveexec_b32 s4, s48
	s_cbranch_execz .LBB31_8
.LBB31_34:                              ;   in Loop: Header=BB31_9 Depth=3
	s_mov_b32 s48, 0
                                        ; implicit-def: $vgpr10_vgpr11
	s_and_saveexec_b32 s49, s3
	s_xor_b32 s3, exec_lo, s49
	s_cbranch_execnz .LBB31_37
; %bb.35:                               ;   in Loop: Header=BB31_9 Depth=3
	s_andn2_saveexec_b32 s3, s3
	s_cbranch_execnz .LBB31_50
.LBB31_36:                              ;   in Loop: Header=BB31_9 Depth=3
	s_or_b32 exec_lo, exec_lo, s3
	s_and_b32 exec_lo, exec_lo, s48
	s_cbranch_execz .LBB31_8
	s_branch .LBB31_59
.LBB31_37:                              ;   in Loop: Header=BB31_9 Depth=3
	s_mov_b32 s49, exec_lo
                                        ; implicit-def: $vgpr10_vgpr11
	v_cmpx_ge_i32_e64 v2, v6
	s_xor_b32 s49, exec_lo, s49
	s_cbranch_execz .LBB31_39
; %bb.38:                               ;   in Loop: Header=BB31_9 Depth=3
	v_lshlrev_b64 v[6:7], 3, v[6:7]
	s_mov_b32 s48, exec_lo
                                        ; implicit-def: $vgpr9
                                        ; implicit-def: $vgpr22
                                        ; implicit-def: $vgpr8
	v_add_co_u32 v10, vcc_lo, s38, v6
	v_add_co_ci_u32_e64 v11, null, s39, v7, vcc_lo
	global_store_dword v[10:11], v23, off
                                        ; implicit-def: $vgpr23
.LBB31_39:                              ;   in Loop: Header=BB31_9 Depth=3
	s_andn2_saveexec_b32 s49, s49
	s_cbranch_execz .LBB31_49
; %bb.40:                               ;   in Loop: Header=BB31_9 Depth=3
	s_mov_b32 s51, s48
	s_mov_b32 s50, exec_lo
                                        ; implicit-def: $vgpr10_vgpr11
	v_cmpx_lt_i32_e64 v9, v22
	s_cbranch_execz .LBB31_48
; %bb.41:                               ;   in Loop: Header=BB31_9 Depth=3
	s_mov_b32 s52, 0
                                        ; implicit-def: $sgpr51
                                        ; implicit-def: $sgpr54
                                        ; implicit-def: $sgpr53
	s_inst_prefetch 0x1
	s_branch .LBB31_43
	.p2align	6
.LBB31_42:                              ;   in Loop: Header=BB31_43 Depth=4
	s_or_b32 exec_lo, exec_lo, s55
	s_and_b32 s55, exec_lo, s54
	s_or_b32 s52, s55, s52
	s_andn2_b32 s51, s51, exec_lo
	s_and_b32 s55, s53, exec_lo
	s_or_b32 s51, s51, s55
	s_andn2_b32 exec_lo, exec_lo, s52
	s_cbranch_execz .LBB31_45
.LBB31_43:                              ;   Parent Loop BB31_3 Depth=1
                                        ;     Parent Loop BB31_5 Depth=2
                                        ;       Parent Loop BB31_9 Depth=3
                                        ; =>      This Inner Loop Header: Depth=4
	v_add_nc_u32_e32 v6, v8, v9
	s_or_b32 s53, s53, exec_lo
	s_or_b32 s54, s54, exec_lo
	s_mov_b32 s55, exec_lo
	v_ashrrev_i32_e32 v7, 31, v6
	v_lshlrev_b64 v[10:11], 2, v[6:7]
	v_add_co_u32 v10, vcc_lo, s12, v10
	v_add_co_ci_u32_e64 v11, null, s13, v11, vcc_lo
	global_load_dword v0, v[10:11], off
	s_waitcnt vmcnt(0)
	v_subrev_nc_u32_e32 v0, s44, v0
	v_cmpx_ne_u32_e64 v0, v2
	s_cbranch_execz .LBB31_42
; %bb.44:                               ;   in Loop: Header=BB31_43 Depth=4
	v_add_nc_u32_e32 v9, 1, v9
	s_andn2_b32 s54, s54, exec_lo
	s_andn2_b32 s53, s53, exec_lo
	v_cmp_ge_i32_e32 vcc_lo, v9, v22
	s_and_b32 s56, vcc_lo, exec_lo
	s_or_b32 s54, s54, s56
	s_branch .LBB31_42
.LBB31_45:                              ;   in Loop: Header=BB31_9 Depth=3
	s_inst_prefetch 0x2
	s_or_b32 exec_lo, exec_lo, s52
	s_mov_b32 s52, s48
                                        ; implicit-def: $vgpr10_vgpr11
	s_and_saveexec_b32 s53, s51
	s_xor_b32 s51, exec_lo, s53
	s_cbranch_execz .LBB31_47
; %bb.46:                               ;   in Loop: Header=BB31_9 Depth=3
	v_lshlrev_b64 v[6:7], 3, v[6:7]
	s_or_b32 s52, s48, exec_lo
	v_add_co_u32 v10, vcc_lo, s6, v6
	v_add_co_ci_u32_e64 v11, null, s7, v7, vcc_lo
	global_store_dword v[10:11], v23, off
.LBB31_47:                              ;   in Loop: Header=BB31_9 Depth=3
	s_or_b32 exec_lo, exec_lo, s51
	s_andn2_b32 s51, s48, exec_lo
	s_and_b32 s52, s52, exec_lo
	s_or_b32 s51, s51, s52
.LBB31_48:                              ;   in Loop: Header=BB31_9 Depth=3
	s_or_b32 exec_lo, exec_lo, s50
	s_andn2_b32 s48, s48, exec_lo
	s_and_b32 s50, s51, exec_lo
	s_or_b32 s48, s48, s50
.LBB31_49:                              ;   in Loop: Header=BB31_9 Depth=3
	s_or_b32 exec_lo, exec_lo, s49
	s_and_b32 s48, s48, exec_lo
                                        ; implicit-def: $vgpr23
                                        ; implicit-def: $vgpr6_vgpr7
	s_andn2_saveexec_b32 s3, s3
	s_cbranch_execz .LBB31_36
.LBB31_50:                              ;   in Loop: Header=BB31_9 Depth=3
	s_mov_b32 s50, s48
	s_mov_b32 s49, exec_lo
                                        ; implicit-def: $vgpr10_vgpr11
	v_cmpx_lt_i32_e64 v0, v17
	s_cbranch_execz .LBB31_58
; %bb.51:                               ;   in Loop: Header=BB31_9 Depth=3
	s_mov_b32 s51, 0
                                        ; implicit-def: $sgpr50
                                        ; implicit-def: $sgpr53
                                        ; implicit-def: $sgpr52
	s_inst_prefetch 0x1
	s_branch .LBB31_53
	.p2align	6
.LBB31_52:                              ;   in Loop: Header=BB31_53 Depth=4
	s_or_b32 exec_lo, exec_lo, s54
	s_and_b32 s54, exec_lo, s53
	s_or_b32 s51, s54, s51
	s_andn2_b32 s50, s50, exec_lo
	s_and_b32 s54, s52, exec_lo
	s_or_b32 s50, s50, s54
	s_andn2_b32 exec_lo, exec_lo, s51
	s_cbranch_execz .LBB31_55
.LBB31_53:                              ;   Parent Loop BB31_3 Depth=1
                                        ;     Parent Loop BB31_5 Depth=2
                                        ;       Parent Loop BB31_9 Depth=3
                                        ; =>      This Inner Loop Header: Depth=4
	v_add_nc_u32_e32 v7, v5, v0
	s_or_b32 s52, s52, exec_lo
	s_or_b32 s53, s53, exec_lo
	s_mov_b32 s54, exec_lo
	v_ashrrev_i32_e32 v8, 31, v7
	v_lshlrev_b64 v[9:10], 2, v[7:8]
	v_add_co_u32 v9, vcc_lo, s20, v9
	v_add_co_ci_u32_e64 v10, null, s21, v10, vcc_lo
	global_load_dword v9, v[9:10], off
	s_waitcnt vmcnt(0)
	v_subrev_nc_u32_e32 v9, s43, v9
	v_cmpx_ne_u32_e64 v9, v6
	s_cbranch_execz .LBB31_52
; %bb.54:                               ;   in Loop: Header=BB31_53 Depth=4
	v_add_nc_u32_e32 v0, 1, v0
	s_andn2_b32 s53, s53, exec_lo
	s_andn2_b32 s52, s52, exec_lo
	v_cmp_ge_i32_e32 vcc_lo, v0, v17
	s_and_b32 s55, vcc_lo, exec_lo
	s_or_b32 s53, s53, s55
	s_branch .LBB31_52
.LBB31_55:                              ;   in Loop: Header=BB31_9 Depth=3
	s_inst_prefetch 0x2
	s_or_b32 exec_lo, exec_lo, s51
	s_mov_b32 s51, s48
                                        ; implicit-def: $vgpr10_vgpr11
	s_and_saveexec_b32 s52, s50
	s_xor_b32 s50, exec_lo, s52
	s_cbranch_execz .LBB31_57
; %bb.56:                               ;   in Loop: Header=BB31_9 Depth=3
	v_lshlrev_b64 v[6:7], 3, v[7:8]
	s_or_b32 s51, s48, exec_lo
	v_add_co_u32 v10, vcc_lo, s40, v6
	v_add_co_ci_u32_e64 v11, null, s41, v7, vcc_lo
	global_store_dword v[10:11], v23, off
.LBB31_57:                              ;   in Loop: Header=BB31_9 Depth=3
	s_or_b32 exec_lo, exec_lo, s50
	s_andn2_b32 s50, s48, exec_lo
	s_and_b32 s51, s51, exec_lo
	s_or_b32 s50, s50, s51
.LBB31_58:                              ;   in Loop: Header=BB31_9 Depth=3
	s_or_b32 exec_lo, exec_lo, s49
	s_andn2_b32 s48, s48, exec_lo
	s_and_b32 s49, s50, exec_lo
	s_or_b32 s48, s48, s49
	s_or_b32 exec_lo, exec_lo, s3
	s_and_b32 exec_lo, exec_lo, s48
	s_cbranch_execz .LBB31_8
.LBB31_59:                              ;   in Loop: Header=BB31_9 Depth=3
	global_store_dword v[10:11], v4, off offset:4
	s_branch .LBB31_8
.LBB31_60:                              ;   in Loop: Header=BB31_3 Depth=1
	s_and_saveexec_b32 s3, s0
	s_cbranch_execz .LBB31_2
; %bb.61:                               ;   in Loop: Header=BB31_3 Depth=1
	v_mov_b32_e32 v2, v12
	s_mov_b32 s4, 0
	s_branch .LBB31_63
.LBB31_62:                              ;   in Loop: Header=BB31_63 Depth=2
	s_or_b32 exec_lo, exec_lo, s45
	v_add_nc_u32_e32 v2, 0x80, v2
	v_cmp_le_u32_e32 vcc_lo, s5, v2
	s_or_b32 s4, vcc_lo, s4
	s_andn2_b32 exec_lo, exec_lo, s4
	s_cbranch_execz .LBB31_2
.LBB31_63:                              ;   Parent Loop BB31_3 Depth=1
                                        ; =>  This Loop Header: Depth=2
                                        ;       Child Loop BB31_66 Depth 3
                                        ;       Child Loop BB31_69 Depth 3
	s_mov_b32 s45, exec_lo
	v_cmpx_gt_i32_e64 s35, v2
	s_cbranch_execz .LBB31_62
; %bb.64:                               ;   in Loop: Header=BB31_63 Depth=2
	v_ashrrev_i32_e32 v3, 31, v2
	s_mov_b32 s46, exec_lo
	v_lshlrev_b64 v[4:5], 2, v[2:3]
	v_add_co_u32 v6, vcc_lo, s16, v4
	v_add_co_ci_u32_e64 v7, null, s17, v5, vcc_lo
	v_add_co_u32 v8, vcc_lo, s18, v4
	v_add_co_ci_u32_e64 v9, null, s19, v5, vcc_lo
	global_load_dword v0, v[6:7], off
	global_load_dword v7, v[8:9], off
	s_waitcnt vmcnt(1)
	v_add_nc_u32_e32 v6, v14, v0
	s_waitcnt vmcnt(0)
	v_subrev_nc_u32_e32 v0, s43, v7
	v_cmpx_lt_i32_e64 v6, v0
	s_cbranch_execz .LBB31_67
; %bb.65:                               ;   in Loop: Header=BB31_63 Depth=2
	v_ashrrev_i32_e32 v7, 31, v6
	s_mov_b32 s47, 0
	v_lshlrev_b64 v[9:10], 3, v[6:7]
	v_add_co_u32 v7, vcc_lo, s40, v9
	v_add_co_ci_u32_e64 v8, null, s41, v10, vcc_lo
	v_add_co_u32 v9, vcc_lo, s22, v9
	v_add_co_ci_u32_e64 v10, null, s23, v10, vcc_lo
	.p2align	6
.LBB31_66:                              ;   Parent Loop BB31_3 Depth=1
                                        ;     Parent Loop BB31_63 Depth=2
                                        ; =>    This Inner Loop Header: Depth=3
	global_load_dwordx2 v[16:17], v[7:8], off
	v_add_nc_u32_e32 v6, 8, v6
	v_add_co_u32 v7, vcc_lo, v7, 64
	v_add_co_ci_u32_e64 v8, null, 0, v8, vcc_lo
	v_cmp_ge_i32_e32 vcc_lo, v6, v0
	s_or_b32 s47, vcc_lo, s47
	s_waitcnt vmcnt(0)
	global_store_dwordx2 v[9:10], v[16:17], off
	v_add_co_u32 v9, s2, v9, 64
	v_add_co_ci_u32_e64 v10, null, 0, v10, s2
	s_andn2_b32 exec_lo, exec_lo, s47
	s_cbranch_execnz .LBB31_66
.LBB31_67:                              ;   in Loop: Header=BB31_63 Depth=2
	s_or_b32 exec_lo, exec_lo, s46
	v_add_co_u32 v6, vcc_lo, s8, v4
	v_add_co_ci_u32_e64 v7, null, s9, v5, vcc_lo
	v_add_co_u32 v4, vcc_lo, s10, v4
	v_add_co_ci_u32_e64 v5, null, s11, v5, vcc_lo
	global_load_dword v0, v[6:7], off
	global_load_dword v5, v[4:5], off
	s_mov_b32 s46, exec_lo
	s_waitcnt vmcnt(1)
	v_add_nc_u32_e32 v4, v15, v0
	s_waitcnt vmcnt(0)
	v_subrev_nc_u32_e32 v0, s44, v5
	v_cmpx_lt_i32_e64 v4, v0
	s_cbranch_execz .LBB31_70
; %bb.68:                               ;   in Loop: Header=BB31_63 Depth=2
	v_ashrrev_i32_e32 v5, 31, v4
	s_mov_b32 s47, 0
	v_lshlrev_b64 v[7:8], 3, v[4:5]
	v_add_co_u32 v5, vcc_lo, s6, v7
	v_add_co_ci_u32_e64 v6, null, s7, v8, vcc_lo
	v_add_co_u32 v7, vcc_lo, s14, v7
	v_add_co_ci_u32_e64 v8, null, s15, v8, vcc_lo
	.p2align	6
.LBB31_69:                              ;   Parent Loop BB31_3 Depth=1
                                        ;     Parent Loop BB31_63 Depth=2
                                        ; =>    This Inner Loop Header: Depth=3
	global_load_dwordx2 v[9:10], v[5:6], off
	v_add_nc_u32_e32 v4, 8, v4
	v_add_co_u32 v5, vcc_lo, v5, 64
	v_add_co_ci_u32_e64 v6, null, 0, v6, vcc_lo
	v_cmp_ge_i32_e32 vcc_lo, v4, v0
	s_or_b32 s47, vcc_lo, s47
	s_waitcnt vmcnt(0)
	global_store_dwordx2 v[7:8], v[9:10], off
	v_add_co_u32 v7, s2, v7, 64
	v_add_co_ci_u32_e64 v8, null, 0, v8, s2
	s_andn2_b32 exec_lo, exec_lo, s47
	s_cbranch_execnz .LBB31_69
.LBB31_70:                              ;   in Loop: Header=BB31_63 Depth=2
	s_or_b32 exec_lo, exec_lo, s46
	s_and_b32 exec_lo, exec_lo, s1
	s_cbranch_execz .LBB31_62
; %bb.71:                               ;   in Loop: Header=BB31_63 Depth=2
	v_lshlrev_b64 v[3:4], 3, v[2:3]
	v_add_co_u32 v5, vcc_lo, s38, v3
	v_add_co_ci_u32_e64 v6, null, s39, v4, vcc_lo
	v_add_co_u32 v3, vcc_lo, s36, v3
	v_add_co_ci_u32_e64 v4, null, s37, v4, vcc_lo
	global_load_dwordx2 v[5:6], v[5:6], off
	s_waitcnt vmcnt(0)
	global_store_dwordx2 v[3:4], v[5:6], off
	s_branch .LBB31_62
.LBB31_72:
	s_endpgm
	.section	.rodata,"a",@progbits
	.p2align	6, 0x0
	.amdhsa_kernel _ZN9rocsparseL14kernel_freerunILi1024ELi8E21rocsparse_complex_numIfEiiEEvT3_S3_T2_PKS4_S6_PKS3_PKT1_21rocsparse_index_base_S6_S6_S8_PS9_SD_SC_S6_S6_S8_SD_SD_SC_SD_SD_
		.amdhsa_group_segment_fixed_size 0
		.amdhsa_private_segment_fixed_size 0
		.amdhsa_kernarg_size 168
		.amdhsa_user_sgpr_count 6
		.amdhsa_user_sgpr_private_segment_buffer 1
		.amdhsa_user_sgpr_dispatch_ptr 0
		.amdhsa_user_sgpr_queue_ptr 0
		.amdhsa_user_sgpr_kernarg_segment_ptr 1
		.amdhsa_user_sgpr_dispatch_id 0
		.amdhsa_user_sgpr_flat_scratch_init 0
		.amdhsa_user_sgpr_private_segment_size 0
		.amdhsa_wavefront_size32 1
		.amdhsa_uses_dynamic_stack 0
		.amdhsa_system_sgpr_private_segment_wavefront_offset 0
		.amdhsa_system_sgpr_workgroup_id_x 1
		.amdhsa_system_sgpr_workgroup_id_y 0
		.amdhsa_system_sgpr_workgroup_id_z 0
		.amdhsa_system_sgpr_workgroup_info 0
		.amdhsa_system_vgpr_workitem_id 0
		.amdhsa_next_free_vgpr 34
		.amdhsa_next_free_sgpr 57
		.amdhsa_reserve_vcc 1
		.amdhsa_reserve_flat_scratch 0
		.amdhsa_float_round_mode_32 0
		.amdhsa_float_round_mode_16_64 0
		.amdhsa_float_denorm_mode_32 3
		.amdhsa_float_denorm_mode_16_64 3
		.amdhsa_dx10_clamp 1
		.amdhsa_ieee_mode 1
		.amdhsa_fp16_overflow 0
		.amdhsa_workgroup_processor_mode 1
		.amdhsa_memory_ordered 1
		.amdhsa_forward_progress 1
		.amdhsa_shared_vgpr_count 0
		.amdhsa_exception_fp_ieee_invalid_op 0
		.amdhsa_exception_fp_denorm_src 0
		.amdhsa_exception_fp_ieee_div_zero 0
		.amdhsa_exception_fp_ieee_overflow 0
		.amdhsa_exception_fp_ieee_underflow 0
		.amdhsa_exception_fp_ieee_inexact 0
		.amdhsa_exception_int_div_zero 0
	.end_amdhsa_kernel
	.section	.text._ZN9rocsparseL14kernel_freerunILi1024ELi8E21rocsparse_complex_numIfEiiEEvT3_S3_T2_PKS4_S6_PKS3_PKT1_21rocsparse_index_base_S6_S6_S8_PS9_SD_SC_S6_S6_S8_SD_SD_SC_SD_SD_,"axG",@progbits,_ZN9rocsparseL14kernel_freerunILi1024ELi8E21rocsparse_complex_numIfEiiEEvT3_S3_T2_PKS4_S6_PKS3_PKT1_21rocsparse_index_base_S6_S6_S8_PS9_SD_SC_S6_S6_S8_SD_SD_SC_SD_SD_,comdat
.Lfunc_end31:
	.size	_ZN9rocsparseL14kernel_freerunILi1024ELi8E21rocsparse_complex_numIfEiiEEvT3_S3_T2_PKS4_S6_PKS3_PKT1_21rocsparse_index_base_S6_S6_S8_PS9_SD_SC_S6_S6_S8_SD_SD_SC_SD_SD_, .Lfunc_end31-_ZN9rocsparseL14kernel_freerunILi1024ELi8E21rocsparse_complex_numIfEiiEEvT3_S3_T2_PKS4_S6_PKS3_PKT1_21rocsparse_index_base_S6_S6_S8_PS9_SD_SC_S6_S6_S8_SD_SD_SC_SD_SD_
                                        ; -- End function
	.set _ZN9rocsparseL14kernel_freerunILi1024ELi8E21rocsparse_complex_numIfEiiEEvT3_S3_T2_PKS4_S6_PKS3_PKT1_21rocsparse_index_base_S6_S6_S8_PS9_SD_SC_S6_S6_S8_SD_SD_SC_SD_SD_.num_vgpr, 34
	.set _ZN9rocsparseL14kernel_freerunILi1024ELi8E21rocsparse_complex_numIfEiiEEvT3_S3_T2_PKS4_S6_PKS3_PKT1_21rocsparse_index_base_S6_S6_S8_PS9_SD_SC_S6_S6_S8_SD_SD_SC_SD_SD_.num_agpr, 0
	.set _ZN9rocsparseL14kernel_freerunILi1024ELi8E21rocsparse_complex_numIfEiiEEvT3_S3_T2_PKS4_S6_PKS3_PKT1_21rocsparse_index_base_S6_S6_S8_PS9_SD_SC_S6_S6_S8_SD_SD_SC_SD_SD_.numbered_sgpr, 57
	.set _ZN9rocsparseL14kernel_freerunILi1024ELi8E21rocsparse_complex_numIfEiiEEvT3_S3_T2_PKS4_S6_PKS3_PKT1_21rocsparse_index_base_S6_S6_S8_PS9_SD_SC_S6_S6_S8_SD_SD_SC_SD_SD_.num_named_barrier, 0
	.set _ZN9rocsparseL14kernel_freerunILi1024ELi8E21rocsparse_complex_numIfEiiEEvT3_S3_T2_PKS4_S6_PKS3_PKT1_21rocsparse_index_base_S6_S6_S8_PS9_SD_SC_S6_S6_S8_SD_SD_SC_SD_SD_.private_seg_size, 0
	.set _ZN9rocsparseL14kernel_freerunILi1024ELi8E21rocsparse_complex_numIfEiiEEvT3_S3_T2_PKS4_S6_PKS3_PKT1_21rocsparse_index_base_S6_S6_S8_PS9_SD_SC_S6_S6_S8_SD_SD_SC_SD_SD_.uses_vcc, 1
	.set _ZN9rocsparseL14kernel_freerunILi1024ELi8E21rocsparse_complex_numIfEiiEEvT3_S3_T2_PKS4_S6_PKS3_PKT1_21rocsparse_index_base_S6_S6_S8_PS9_SD_SC_S6_S6_S8_SD_SD_SC_SD_SD_.uses_flat_scratch, 0
	.set _ZN9rocsparseL14kernel_freerunILi1024ELi8E21rocsparse_complex_numIfEiiEEvT3_S3_T2_PKS4_S6_PKS3_PKT1_21rocsparse_index_base_S6_S6_S8_PS9_SD_SC_S6_S6_S8_SD_SD_SC_SD_SD_.has_dyn_sized_stack, 0
	.set _ZN9rocsparseL14kernel_freerunILi1024ELi8E21rocsparse_complex_numIfEiiEEvT3_S3_T2_PKS4_S6_PKS3_PKT1_21rocsparse_index_base_S6_S6_S8_PS9_SD_SC_S6_S6_S8_SD_SD_SC_SD_SD_.has_recursion, 0
	.set _ZN9rocsparseL14kernel_freerunILi1024ELi8E21rocsparse_complex_numIfEiiEEvT3_S3_T2_PKS4_S6_PKS3_PKT1_21rocsparse_index_base_S6_S6_S8_PS9_SD_SC_S6_S6_S8_SD_SD_SC_SD_SD_.has_indirect_call, 0
	.section	.AMDGPU.csdata,"",@progbits
; Kernel info:
; codeLenInByte = 3608
; TotalNumSgprs: 59
; NumVgprs: 34
; ScratchSize: 0
; MemoryBound: 0
; FloatMode: 240
; IeeeMode: 1
; LDSByteSize: 0 bytes/workgroup (compile time only)
; SGPRBlocks: 0
; VGPRBlocks: 4
; NumSGPRsForWavesPerEU: 59
; NumVGPRsForWavesPerEU: 34
; Occupancy: 16
; WaveLimiterHint : 1
; COMPUTE_PGM_RSRC2:SCRATCH_EN: 0
; COMPUTE_PGM_RSRC2:USER_SGPR: 6
; COMPUTE_PGM_RSRC2:TRAP_HANDLER: 0
; COMPUTE_PGM_RSRC2:TGID_X_EN: 1
; COMPUTE_PGM_RSRC2:TGID_Y_EN: 0
; COMPUTE_PGM_RSRC2:TGID_Z_EN: 0
; COMPUTE_PGM_RSRC2:TIDIG_COMP_CNT: 0
	.section	.text._ZN9rocsparseL14kernel_freerunILi1024ELi16E21rocsparse_complex_numIfEiiEEvT3_S3_T2_PKS4_S6_PKS3_PKT1_21rocsparse_index_base_S6_S6_S8_PS9_SD_SC_S6_S6_S8_SD_SD_SC_SD_SD_,"axG",@progbits,_ZN9rocsparseL14kernel_freerunILi1024ELi16E21rocsparse_complex_numIfEiiEEvT3_S3_T2_PKS4_S6_PKS3_PKT1_21rocsparse_index_base_S6_S6_S8_PS9_SD_SC_S6_S6_S8_SD_SD_SC_SD_SD_,comdat
	.globl	_ZN9rocsparseL14kernel_freerunILi1024ELi16E21rocsparse_complex_numIfEiiEEvT3_S3_T2_PKS4_S6_PKS3_PKT1_21rocsparse_index_base_S6_S6_S8_PS9_SD_SC_S6_S6_S8_SD_SD_SC_SD_SD_ ; -- Begin function _ZN9rocsparseL14kernel_freerunILi1024ELi16E21rocsparse_complex_numIfEiiEEvT3_S3_T2_PKS4_S6_PKS3_PKT1_21rocsparse_index_base_S6_S6_S8_PS9_SD_SC_S6_S6_S8_SD_SD_SC_SD_SD_
	.p2align	8
	.type	_ZN9rocsparseL14kernel_freerunILi1024ELi16E21rocsparse_complex_numIfEiiEEvT3_S3_T2_PKS4_S6_PKS3_PKT1_21rocsparse_index_base_S6_S6_S8_PS9_SD_SC_S6_S6_S8_SD_SD_SC_SD_SD_,@function
_ZN9rocsparseL14kernel_freerunILi1024ELi16E21rocsparse_complex_numIfEiiEEvT3_S3_T2_PKS4_S6_PKS3_PKT1_21rocsparse_index_base_S6_S6_S8_PS9_SD_SC_S6_S6_S8_SD_SD_SC_SD_SD_: ; @_ZN9rocsparseL14kernel_freerunILi1024ELi16E21rocsparse_complex_numIfEiiEEvT3_S3_T2_PKS4_S6_PKS3_PKT1_21rocsparse_index_base_S6_S6_S8_PS9_SD_SC_S6_S6_S8_SD_SD_SC_SD_SD_
; %bb.0:
	s_load_dwordx2 s[34:35], s[4:5], 0x0
	v_lshrrev_b32_e32 v1, 4, v0
	s_lshl_b32 s0, s6, 10
	s_mov_b32 s33, 0
	v_or_b32_e32 v12, s0, v1
	s_waitcnt lgkmcnt(0)
	v_cmp_gt_i32_e32 vcc_lo, s35, v12
	s_cmp_gt_i32 s34, 0
	s_cselect_b32 s1, -1, 0
	s_and_b32 s1, vcc_lo, s1
	s_and_saveexec_b32 s2, s1
	s_cbranch_execz .LBB32_72
; %bb.1:
	s_clause 0x8
	s_load_dword s42, s[4:5], 0x30
	s_load_dword s43, s[4:5], 0x60
	;; [unrolled: 1-line block ×3, first 2 shown]
	s_load_dwordx2 s[6:7], s[4:5], 0x88
	s_load_dwordx2 s[40:41], s[4:5], 0x58
	s_load_dwordx4 s[36:39], s[4:5], 0x98
	s_load_dwordx8 s[8:15], s[4:5], 0x68
	s_load_dwordx8 s[16:23], s[4:5], 0x38
	s_load_dwordx8 s[24:31], s[4:5], 0x10
	v_and_b32_e32 v0, 15, v0
	s_add_i32 s5, s0, 0x400
	v_mov_b32_e32 v1, 0
	v_cmp_gt_u32_e64 s0, s5, v12
	v_cmp_eq_u32_e64 s1, 0, v0
	s_waitcnt lgkmcnt(0)
	v_subrev_nc_u32_e32 v13, s42, v0
	v_subrev_nc_u32_e32 v14, s43, v0
	;; [unrolled: 1-line block ×3, first 2 shown]
	s_branch .LBB32_3
.LBB32_2:                               ;   in Loop: Header=BB32_3 Depth=1
	s_or_b32 exec_lo, exec_lo, s3
	s_add_i32 s33, s33, 1
	s_cmp_eq_u32 s33, s34
	s_cbranch_scc1 .LBB32_72
.LBB32_3:                               ; =>This Loop Header: Depth=1
                                        ;     Child Loop BB32_5 Depth 2
                                        ;       Child Loop BB32_9 Depth 3
                                        ;         Child Loop BB32_13 Depth 4
                                        ;         Child Loop BB32_43 Depth 4
	;; [unrolled: 1-line block ×3, first 2 shown]
                                        ;     Child Loop BB32_63 Depth 2
                                        ;       Child Loop BB32_66 Depth 3
                                        ;       Child Loop BB32_69 Depth 3
	s_mov_b32 s45, 0
	s_branch .LBB32_5
.LBB32_4:                               ;   in Loop: Header=BB32_5 Depth=2
	s_or_b32 exec_lo, exec_lo, s46
	s_add_i32 s45, s45, 1
	s_cmp_eq_u32 s45, 16
	s_cbranch_scc1 .LBB32_60
.LBB32_5:                               ;   Parent Loop BB32_3 Depth=1
                                        ; =>  This Loop Header: Depth=2
                                        ;       Child Loop BB32_9 Depth 3
                                        ;         Child Loop BB32_13 Depth 4
                                        ;         Child Loop BB32_43 Depth 4
                                        ;         Child Loop BB32_53 Depth 4
	v_lshl_add_u32 v2, s45, 6, v12
	s_mov_b32 s46, exec_lo
	v_cmpx_gt_i32_e64 s35, v2
	s_cbranch_execz .LBB32_4
; %bb.6:                                ;   in Loop: Header=BB32_5 Depth=2
	v_ashrrev_i32_e32 v3, 31, v2
	v_lshlrev_b64 v[4:5], 2, v[2:3]
	v_add_co_u32 v6, vcc_lo, s24, v4
	v_add_co_ci_u32_e64 v7, null, s25, v5, vcc_lo
	v_add_co_u32 v8, vcc_lo, s26, v4
	v_add_co_ci_u32_e64 v9, null, s27, v5, vcc_lo
	global_load_dword v0, v[6:7], off
	global_load_dword v6, v[8:9], off
	s_waitcnt vmcnt(1)
	v_add_nc_u32_e32 v3, v13, v0
	s_waitcnt vmcnt(0)
	v_subrev_nc_u32_e32 v16, s42, v6
	v_cmp_lt_i32_e32 vcc_lo, v3, v16
	s_and_b32 exec_lo, exec_lo, vcc_lo
	s_cbranch_execz .LBB32_4
; %bb.7:                                ;   in Loop: Header=BB32_5 Depth=2
	v_add_co_u32 v6, vcc_lo, s16, v4
	v_add_co_ci_u32_e64 v7, null, s17, v5, vcc_lo
	v_add_co_u32 v4, vcc_lo, s18, v4
	v_add_co_ci_u32_e64 v5, null, s19, v5, vcc_lo
	global_load_dword v0, v[6:7], off
	s_mov_b32 s47, 0
	global_load_dword v4, v[4:5], off
	s_waitcnt vmcnt(1)
	v_subrev_nc_u32_e32 v5, s43, v0
	s_waitcnt vmcnt(0)
	v_sub_nc_u32_e32 v17, v4, v0
	v_ashrrev_i32_e32 v6, 31, v5
	v_cmp_lt_i32_e64 s2, 0, v17
	v_lshlrev_b64 v[7:8], 2, v[5:6]
	v_lshlrev_b64 v[9:10], 3, v[5:6]
	v_add_co_u32 v18, vcc_lo, s20, v7
	v_add_co_ci_u32_e64 v19, null, s21, v8, vcc_lo
	v_add_co_u32 v20, vcc_lo, s22, v9
	v_add_co_ci_u32_e64 v21, null, s23, v10, vcc_lo
	s_branch .LBB32_9
.LBB32_8:                               ;   in Loop: Header=BB32_9 Depth=3
	s_or_b32 exec_lo, exec_lo, s4
	v_add_nc_u32_e32 v3, 16, v3
	v_cmp_ge_i32_e32 vcc_lo, v3, v16
	s_or_b32 s47, vcc_lo, s47
	s_andn2_b32 exec_lo, exec_lo, s47
	s_cbranch_execz .LBB32_4
.LBB32_9:                               ;   Parent Loop BB32_3 Depth=1
                                        ;     Parent Loop BB32_5 Depth=2
                                        ; =>    This Loop Header: Depth=3
                                        ;         Child Loop BB32_13 Depth 4
                                        ;         Child Loop BB32_43 Depth 4
	;; [unrolled: 1-line block ×3, first 2 shown]
	v_ashrrev_i32_e32 v4, 31, v3
	v_mov_b32_e32 v24, 0
	v_lshlrev_b64 v[6:7], 2, v[3:4]
	v_add_co_u32 v6, vcc_lo, s28, v6
	v_add_co_ci_u32_e64 v7, null, s29, v7, vcc_lo
	global_load_dword v0, v[6:7], off
	s_waitcnt vmcnt(0)
	v_subrev_nc_u32_e32 v6, s42, v0
	v_mov_b32_e32 v0, 0
	v_ashrrev_i32_e32 v7, 31, v6
	v_lshlrev_b64 v[8:9], 2, v[6:7]
	v_add_co_u32 v10, vcc_lo, s8, v8
	v_add_co_ci_u32_e64 v11, null, s9, v9, vcc_lo
	v_add_co_u32 v8, vcc_lo, s10, v8
	v_add_co_ci_u32_e64 v9, null, s11, v9, vcc_lo
	global_load_dword v10, v[10:11], off
	global_load_dword v9, v[8:9], off
	v_mov_b32_e32 v11, 0
	s_waitcnt vmcnt(1)
	v_subrev_nc_u32_e32 v8, s44, v10
	s_waitcnt vmcnt(0)
	v_sub_nc_u32_e32 v22, v9, v10
	v_mov_b32_e32 v9, v0
	s_and_saveexec_b32 s4, s2
	s_cbranch_execz .LBB32_17
; %bb.10:                               ;   in Loop: Header=BB32_9 Depth=3
	v_ashrrev_i32_e32 v9, 31, v8
	v_mov_b32_e32 v11, 0
	v_mov_b32_e32 v0, 0
	s_mov_b32 s48, 0
                                        ; implicit-def: $sgpr49
	v_lshlrev_b64 v[23:24], 2, v[8:9]
	v_lshlrev_b64 v[9:10], 3, v[8:9]
	v_add_co_u32 v23, vcc_lo, s12, v23
	v_add_co_ci_u32_e64 v25, null, s13, v24, vcc_lo
	v_add_co_u32 v26, vcc_lo, s14, v9
	v_add_co_ci_u32_e64 v27, null, s15, v10, vcc_lo
	v_mov_b32_e32 v9, 0
	v_mov_b32_e32 v24, 0
	s_branch .LBB32_13
.LBB32_11:                              ;   in Loop: Header=BB32_13 Depth=4
	s_or_b32 exec_lo, exec_lo, s3
	v_cmp_le_i32_e32 vcc_lo, v28, v29
	v_cmp_ge_i32_e64 s3, v28, v29
	v_add_co_ci_u32_e64 v0, null, 0, v0, vcc_lo
	v_add_co_ci_u32_e64 v9, null, 0, v9, s3
	s_andn2_b32 s3, s49, exec_lo
	v_cmp_ge_i32_e32 vcc_lo, v0, v17
	s_and_b32 s49, vcc_lo, exec_lo
	s_or_b32 s49, s3, s49
.LBB32_12:                              ;   in Loop: Header=BB32_13 Depth=4
	s_or_b32 exec_lo, exec_lo, s50
	s_and_b32 s3, exec_lo, s49
	s_or_b32 s48, s3, s48
	s_andn2_b32 exec_lo, exec_lo, s48
	s_cbranch_execz .LBB32_16
.LBB32_13:                              ;   Parent Loop BB32_3 Depth=1
                                        ;     Parent Loop BB32_5 Depth=2
                                        ;       Parent Loop BB32_9 Depth=3
                                        ; =>      This Inner Loop Header: Depth=4
	s_or_b32 s49, s49, exec_lo
	s_mov_b32 s50, exec_lo
	v_cmpx_lt_i32_e64 v9, v22
	s_cbranch_execz .LBB32_12
; %bb.14:                               ;   in Loop: Header=BB32_13 Depth=4
	v_mov_b32_e32 v10, v1
	v_lshlrev_b64 v[28:29], 2, v[0:1]
	s_mov_b32 s3, exec_lo
	v_lshlrev_b64 v[30:31], 2, v[9:10]
	v_add_co_u32 v28, vcc_lo, v18, v28
	v_add_co_ci_u32_e64 v29, null, v19, v29, vcc_lo
	v_add_co_u32 v30, vcc_lo, v23, v30
	v_add_co_ci_u32_e64 v31, null, v25, v31, vcc_lo
	global_load_dword v28, v[28:29], off
	global_load_dword v29, v[30:31], off
	s_waitcnt vmcnt(1)
	v_subrev_nc_u32_e32 v28, s43, v28
	s_waitcnt vmcnt(0)
	v_subrev_nc_u32_e32 v29, s44, v29
	v_cmpx_eq_u32_e64 v28, v29
	s_cbranch_execz .LBB32_11
; %bb.15:                               ;   in Loop: Header=BB32_13 Depth=4
	v_lshlrev_b64 v[30:31], 3, v[0:1]
	v_lshlrev_b64 v[32:33], 3, v[9:10]
	v_add_co_u32 v30, vcc_lo, v20, v30
	v_add_co_ci_u32_e64 v31, null, v21, v31, vcc_lo
	v_add_co_u32 v32, vcc_lo, v26, v32
	v_add_co_ci_u32_e64 v33, null, v27, v33, vcc_lo
	global_load_dwordx2 v[30:31], v[30:31], off
	global_load_dwordx2 v[32:33], v[32:33], off
	s_waitcnt vmcnt(0)
	v_fmac_f32_e32 v11, v30, v32
	v_fmac_f32_e32 v24, v31, v32
	v_fma_f32 v11, -v31, v33, v11
	v_fmac_f32_e32 v24, v30, v33
	s_branch .LBB32_11
.LBB32_16:                              ;   in Loop: Header=BB32_9 Depth=3
	s_or_b32 exec_lo, exec_lo, s48
.LBB32_17:                              ;   in Loop: Header=BB32_9 Depth=3
	s_or_b32 exec_lo, exec_lo, s4
	v_lshlrev_b64 v[25:26], 3, v[3:4]
	v_cmp_le_i32_e64 s3, v2, v6
	s_mov_b32 s48, exec_lo
	v_add_co_u32 v25, vcc_lo, s30, v25
	v_add_co_ci_u32_e64 v26, null, s31, v26, vcc_lo
	global_load_dwordx2 v[25:26], v[25:26], off
	s_waitcnt vmcnt(0)
	v_sub_f32_e32 v23, v25, v11
	v_sub_f32_e32 v4, v26, v24
	v_cmpx_gt_i32_e64 v2, v6
	s_cbranch_execz .LBB32_27
; %bb.18:                               ;   in Loop: Header=BB32_9 Depth=3
	v_lshlrev_b64 v[10:11], 3, v[6:7]
                                        ; implicit-def: $vgpr26
	s_mov_b32 s4, exec_lo
	v_add_co_u32 v10, vcc_lo, s36, v10
	v_add_co_ci_u32_e64 v11, null, s37, v11, vcc_lo
	global_load_dwordx2 v[10:11], v[10:11], off
	s_waitcnt vmcnt(0)
	v_cmp_gt_f32_e32 vcc_lo, 0, v10
	v_cndmask_b32_e64 v24, v10, -v10, vcc_lo
	v_cmp_gt_f32_e32 vcc_lo, 0, v11
	v_cndmask_b32_e64 v25, v11, -v11, vcc_lo
	v_cmpx_ngt_f32_e32 v24, v25
	s_xor_b32 s49, exec_lo, s4
	s_cbranch_execz .LBB32_22
; %bb.19:                               ;   in Loop: Header=BB32_9 Depth=3
	v_mov_b32_e32 v26, 0
	s_mov_b32 s50, exec_lo
	v_cmpx_neq_f32_e32 0, v11
	s_cbranch_execz .LBB32_21
; %bb.20:                               ;   in Loop: Header=BB32_9 Depth=3
	v_div_scale_f32 v26, null, v25, v25, v24
	v_div_scale_f32 v29, vcc_lo, v24, v25, v24
	v_rcp_f32_e32 v27, v26
	v_fma_f32 v28, -v26, v27, 1.0
	v_fmac_f32_e32 v27, v28, v27
	v_mul_f32_e32 v28, v29, v27
	v_fma_f32 v30, -v26, v28, v29
	v_fmac_f32_e32 v28, v30, v27
	v_fma_f32 v26, -v26, v28, v29
	v_div_fmas_f32 v26, v26, v27, v28
	v_div_fixup_f32 v24, v26, v25, v24
	v_fma_f32 v24, v24, v24, 1.0
	v_mul_f32_e32 v26, 0x4f800000, v24
	v_cmp_gt_f32_e32 vcc_lo, 0xf800000, v24
	v_cndmask_b32_e32 v24, v24, v26, vcc_lo
	v_sqrt_f32_e32 v26, v24
	v_add_nc_u32_e32 v27, -1, v26
	v_add_nc_u32_e32 v28, 1, v26
	v_fma_f32 v29, -v27, v26, v24
	v_fma_f32 v30, -v28, v26, v24
	v_cmp_ge_f32_e64 s4, 0, v29
	v_cndmask_b32_e64 v26, v26, v27, s4
	v_cmp_lt_f32_e64 s4, 0, v30
	v_cndmask_b32_e64 v26, v26, v28, s4
	v_mul_f32_e32 v27, 0x37800000, v26
	v_cndmask_b32_e32 v26, v26, v27, vcc_lo
	v_cmp_class_f32_e64 vcc_lo, v24, 0x260
	v_cndmask_b32_e32 v24, v26, v24, vcc_lo
	v_mul_f32_e32 v26, v25, v24
.LBB32_21:                              ;   in Loop: Header=BB32_9 Depth=3
	s_or_b32 exec_lo, exec_lo, s50
                                        ; implicit-def: $vgpr24
                                        ; implicit-def: $vgpr25
.LBB32_22:                              ;   in Loop: Header=BB32_9 Depth=3
	s_andn2_saveexec_b32 s49, s49
	s_cbranch_execz .LBB32_24
; %bb.23:                               ;   in Loop: Header=BB32_9 Depth=3
	v_div_scale_f32 v26, null, v24, v24, v25
	v_div_scale_f32 v29, vcc_lo, v25, v24, v25
	v_rcp_f32_e32 v27, v26
	v_fma_f32 v28, -v26, v27, 1.0
	v_fmac_f32_e32 v27, v28, v27
	v_mul_f32_e32 v28, v29, v27
	v_fma_f32 v30, -v26, v28, v29
	v_fmac_f32_e32 v28, v30, v27
	v_fma_f32 v26, -v26, v28, v29
	v_div_fmas_f32 v26, v26, v27, v28
	v_div_fixup_f32 v25, v26, v24, v25
	v_fma_f32 v25, v25, v25, 1.0
	v_mul_f32_e32 v26, 0x4f800000, v25
	v_cmp_gt_f32_e32 vcc_lo, 0xf800000, v25
	v_cndmask_b32_e32 v25, v25, v26, vcc_lo
	v_sqrt_f32_e32 v26, v25
	v_add_nc_u32_e32 v27, -1, v26
	v_add_nc_u32_e32 v28, 1, v26
	v_fma_f32 v29, -v27, v26, v25
	v_fma_f32 v30, -v28, v26, v25
	v_cmp_ge_f32_e64 s4, 0, v29
	v_cndmask_b32_e64 v26, v26, v27, s4
	v_cmp_lt_f32_e64 s4, 0, v30
	v_cndmask_b32_e64 v26, v26, v28, s4
	v_mul_f32_e32 v27, 0x37800000, v26
	v_cndmask_b32_e32 v26, v26, v27, vcc_lo
	v_cmp_class_f32_e64 vcc_lo, v25, 0x260
	v_cndmask_b32_e32 v25, v26, v25, vcc_lo
	v_mul_f32_e32 v26, v24, v25
.LBB32_24:                              ;   in Loop: Header=BB32_9 Depth=3
	s_or_b32 exec_lo, exec_lo, s49
	v_mov_b32_e32 v24, 0
	v_mov_b32_e32 v25, 0
	s_mov_b32 s4, exec_lo
	v_cmpx_lt_f32_e32 0, v26
	s_cbranch_execz .LBB32_26
; %bb.25:                               ;   in Loop: Header=BB32_9 Depth=3
	v_mul_f32_e32 v24, v11, v11
	v_fmac_f32_e32 v24, v10, v10
	v_div_scale_f32 v25, null, v24, v24, 1.0
	v_div_scale_f32 v28, vcc_lo, 1.0, v24, 1.0
	v_rcp_f32_e32 v26, v25
	v_fma_f32 v27, -v25, v26, 1.0
	v_fmac_f32_e32 v26, v27, v26
	v_mul_f32_e32 v27, v28, v26
	v_fma_f32 v29, -v25, v27, v28
	v_fmac_f32_e32 v27, v29, v26
	v_fma_f32 v25, -v25, v27, v28
	v_mul_f32_e32 v28, v4, v11
	v_mul_f32_e64 v11, v11, -v23
	v_div_fmas_f32 v25, v25, v26, v27
	v_fmac_f32_e32 v28, v23, v10
	v_fmac_f32_e32 v11, v4, v10
	v_div_fixup_f32 v23, v25, v24, 1.0
	v_mul_f32_e32 v24, v28, v23
	v_mul_f32_e32 v25, v11, v23
.LBB32_26:                              ;   in Loop: Header=BB32_9 Depth=3
	s_or_b32 exec_lo, exec_lo, s4
	v_mov_b32_e32 v23, v24
	v_mov_b32_e32 v4, v25
.LBB32_27:                              ;   in Loop: Header=BB32_9 Depth=3
	s_or_b32 exec_lo, exec_lo, s48
	v_cmp_gt_f32_e32 vcc_lo, 0, v23
                                        ; implicit-def: $vgpr24
	s_mov_b32 s4, exec_lo
	v_cndmask_b32_e64 v10, v23, -v23, vcc_lo
	v_cmp_gt_f32_e32 vcc_lo, 0, v4
	v_cndmask_b32_e64 v11, v4, -v4, vcc_lo
	v_cmpx_ngt_f32_e32 v10, v11
	s_xor_b32 s48, exec_lo, s4
	s_cbranch_execnz .LBB32_30
; %bb.28:                               ;   in Loop: Header=BB32_9 Depth=3
	s_andn2_saveexec_b32 s48, s48
	s_cbranch_execnz .LBB32_33
.LBB32_29:                              ;   in Loop: Header=BB32_9 Depth=3
	s_or_b32 exec_lo, exec_lo, s48
	v_cmp_class_f32_e64 s48, v24, 0x1f8
	s_and_saveexec_b32 s4, s48
	s_cbranch_execz .LBB32_8
	s_branch .LBB32_34
.LBB32_30:                              ;   in Loop: Header=BB32_9 Depth=3
	v_mov_b32_e32 v24, 0
	s_mov_b32 s49, exec_lo
	v_cmpx_neq_f32_e32 0, v4
	s_cbranch_execz .LBB32_32
; %bb.31:                               ;   in Loop: Header=BB32_9 Depth=3
	v_div_scale_f32 v24, null, v11, v11, v10
	v_div_scale_f32 v27, vcc_lo, v10, v11, v10
	v_rcp_f32_e32 v25, v24
	v_fma_f32 v26, -v24, v25, 1.0
	v_fmac_f32_e32 v25, v26, v25
	v_mul_f32_e32 v26, v27, v25
	v_fma_f32 v28, -v24, v26, v27
	v_fmac_f32_e32 v26, v28, v25
	v_fma_f32 v24, -v24, v26, v27
	v_div_fmas_f32 v24, v24, v25, v26
	v_div_fixup_f32 v10, v24, v11, v10
	v_fma_f32 v10, v10, v10, 1.0
	v_mul_f32_e32 v24, 0x4f800000, v10
	v_cmp_gt_f32_e32 vcc_lo, 0xf800000, v10
	v_cndmask_b32_e32 v10, v10, v24, vcc_lo
	v_sqrt_f32_e32 v24, v10
	v_add_nc_u32_e32 v25, -1, v24
	v_add_nc_u32_e32 v26, 1, v24
	v_fma_f32 v27, -v25, v24, v10
	v_fma_f32 v28, -v26, v24, v10
	v_cmp_ge_f32_e64 s4, 0, v27
	v_cndmask_b32_e64 v24, v24, v25, s4
	v_cmp_lt_f32_e64 s4, 0, v28
	v_cndmask_b32_e64 v24, v24, v26, s4
	v_mul_f32_e32 v25, 0x37800000, v24
	v_cndmask_b32_e32 v24, v24, v25, vcc_lo
	v_cmp_class_f32_e64 vcc_lo, v10, 0x260
	v_cndmask_b32_e32 v10, v24, v10, vcc_lo
	v_mul_f32_e32 v24, v11, v10
.LBB32_32:                              ;   in Loop: Header=BB32_9 Depth=3
	s_or_b32 exec_lo, exec_lo, s49
                                        ; implicit-def: $vgpr10
                                        ; implicit-def: $vgpr11
	s_andn2_saveexec_b32 s48, s48
	s_cbranch_execz .LBB32_29
.LBB32_33:                              ;   in Loop: Header=BB32_9 Depth=3
	v_div_scale_f32 v24, null, v10, v10, v11
	v_div_scale_f32 v27, vcc_lo, v11, v10, v11
	v_rcp_f32_e32 v25, v24
	v_fma_f32 v26, -v24, v25, 1.0
	v_fmac_f32_e32 v25, v26, v25
	v_mul_f32_e32 v26, v27, v25
	v_fma_f32 v28, -v24, v26, v27
	v_fmac_f32_e32 v26, v28, v25
	v_fma_f32 v24, -v24, v26, v27
	v_div_fmas_f32 v24, v24, v25, v26
	v_div_fixup_f32 v11, v24, v10, v11
	v_fma_f32 v11, v11, v11, 1.0
	v_mul_f32_e32 v24, 0x4f800000, v11
	v_cmp_gt_f32_e32 vcc_lo, 0xf800000, v11
	v_cndmask_b32_e32 v11, v11, v24, vcc_lo
	v_sqrt_f32_e32 v24, v11
	v_add_nc_u32_e32 v25, -1, v24
	v_add_nc_u32_e32 v26, 1, v24
	v_fma_f32 v27, -v25, v24, v11
	v_fma_f32 v28, -v26, v24, v11
	v_cmp_ge_f32_e64 s4, 0, v27
	v_cndmask_b32_e64 v24, v24, v25, s4
	v_cmp_lt_f32_e64 s4, 0, v28
	v_cndmask_b32_e64 v24, v24, v26, s4
	v_mul_f32_e32 v25, 0x37800000, v24
	v_cndmask_b32_e32 v24, v24, v25, vcc_lo
	v_cmp_class_f32_e64 vcc_lo, v11, 0x260
	v_cndmask_b32_e32 v11, v24, v11, vcc_lo
	v_mul_f32_e32 v24, v10, v11
	s_or_b32 exec_lo, exec_lo, s48
	v_cmp_class_f32_e64 s48, v24, 0x1f8
	s_and_saveexec_b32 s4, s48
	s_cbranch_execz .LBB32_8
.LBB32_34:                              ;   in Loop: Header=BB32_9 Depth=3
	s_mov_b32 s48, 0
                                        ; implicit-def: $vgpr10_vgpr11
	s_and_saveexec_b32 s49, s3
	s_xor_b32 s3, exec_lo, s49
	s_cbranch_execnz .LBB32_37
; %bb.35:                               ;   in Loop: Header=BB32_9 Depth=3
	s_andn2_saveexec_b32 s3, s3
	s_cbranch_execnz .LBB32_50
.LBB32_36:                              ;   in Loop: Header=BB32_9 Depth=3
	s_or_b32 exec_lo, exec_lo, s3
	s_and_b32 exec_lo, exec_lo, s48
	s_cbranch_execz .LBB32_8
	s_branch .LBB32_59
.LBB32_37:                              ;   in Loop: Header=BB32_9 Depth=3
	s_mov_b32 s49, exec_lo
                                        ; implicit-def: $vgpr10_vgpr11
	v_cmpx_ge_i32_e64 v2, v6
	s_xor_b32 s49, exec_lo, s49
	s_cbranch_execz .LBB32_39
; %bb.38:                               ;   in Loop: Header=BB32_9 Depth=3
	v_lshlrev_b64 v[6:7], 3, v[6:7]
	s_mov_b32 s48, exec_lo
                                        ; implicit-def: $vgpr9
                                        ; implicit-def: $vgpr22
                                        ; implicit-def: $vgpr8
	v_add_co_u32 v10, vcc_lo, s38, v6
	v_add_co_ci_u32_e64 v11, null, s39, v7, vcc_lo
	global_store_dword v[10:11], v23, off
                                        ; implicit-def: $vgpr23
.LBB32_39:                              ;   in Loop: Header=BB32_9 Depth=3
	s_andn2_saveexec_b32 s49, s49
	s_cbranch_execz .LBB32_49
; %bb.40:                               ;   in Loop: Header=BB32_9 Depth=3
	s_mov_b32 s51, s48
	s_mov_b32 s50, exec_lo
                                        ; implicit-def: $vgpr10_vgpr11
	v_cmpx_lt_i32_e64 v9, v22
	s_cbranch_execz .LBB32_48
; %bb.41:                               ;   in Loop: Header=BB32_9 Depth=3
	s_mov_b32 s52, 0
                                        ; implicit-def: $sgpr51
                                        ; implicit-def: $sgpr54
                                        ; implicit-def: $sgpr53
	s_inst_prefetch 0x1
	s_branch .LBB32_43
	.p2align	6
.LBB32_42:                              ;   in Loop: Header=BB32_43 Depth=4
	s_or_b32 exec_lo, exec_lo, s55
	s_and_b32 s55, exec_lo, s54
	s_or_b32 s52, s55, s52
	s_andn2_b32 s51, s51, exec_lo
	s_and_b32 s55, s53, exec_lo
	s_or_b32 s51, s51, s55
	s_andn2_b32 exec_lo, exec_lo, s52
	s_cbranch_execz .LBB32_45
.LBB32_43:                              ;   Parent Loop BB32_3 Depth=1
                                        ;     Parent Loop BB32_5 Depth=2
                                        ;       Parent Loop BB32_9 Depth=3
                                        ; =>      This Inner Loop Header: Depth=4
	v_add_nc_u32_e32 v6, v8, v9
	s_or_b32 s53, s53, exec_lo
	s_or_b32 s54, s54, exec_lo
	s_mov_b32 s55, exec_lo
	v_ashrrev_i32_e32 v7, 31, v6
	v_lshlrev_b64 v[10:11], 2, v[6:7]
	v_add_co_u32 v10, vcc_lo, s12, v10
	v_add_co_ci_u32_e64 v11, null, s13, v11, vcc_lo
	global_load_dword v0, v[10:11], off
	s_waitcnt vmcnt(0)
	v_subrev_nc_u32_e32 v0, s44, v0
	v_cmpx_ne_u32_e64 v0, v2
	s_cbranch_execz .LBB32_42
; %bb.44:                               ;   in Loop: Header=BB32_43 Depth=4
	v_add_nc_u32_e32 v9, 1, v9
	s_andn2_b32 s54, s54, exec_lo
	s_andn2_b32 s53, s53, exec_lo
	v_cmp_ge_i32_e32 vcc_lo, v9, v22
	s_and_b32 s56, vcc_lo, exec_lo
	s_or_b32 s54, s54, s56
	s_branch .LBB32_42
.LBB32_45:                              ;   in Loop: Header=BB32_9 Depth=3
	s_inst_prefetch 0x2
	s_or_b32 exec_lo, exec_lo, s52
	s_mov_b32 s52, s48
                                        ; implicit-def: $vgpr10_vgpr11
	s_and_saveexec_b32 s53, s51
	s_xor_b32 s51, exec_lo, s53
	s_cbranch_execz .LBB32_47
; %bb.46:                               ;   in Loop: Header=BB32_9 Depth=3
	v_lshlrev_b64 v[6:7], 3, v[6:7]
	s_or_b32 s52, s48, exec_lo
	v_add_co_u32 v10, vcc_lo, s6, v6
	v_add_co_ci_u32_e64 v11, null, s7, v7, vcc_lo
	global_store_dword v[10:11], v23, off
.LBB32_47:                              ;   in Loop: Header=BB32_9 Depth=3
	s_or_b32 exec_lo, exec_lo, s51
	s_andn2_b32 s51, s48, exec_lo
	s_and_b32 s52, s52, exec_lo
	s_or_b32 s51, s51, s52
.LBB32_48:                              ;   in Loop: Header=BB32_9 Depth=3
	s_or_b32 exec_lo, exec_lo, s50
	s_andn2_b32 s48, s48, exec_lo
	s_and_b32 s50, s51, exec_lo
	s_or_b32 s48, s48, s50
.LBB32_49:                              ;   in Loop: Header=BB32_9 Depth=3
	s_or_b32 exec_lo, exec_lo, s49
	s_and_b32 s48, s48, exec_lo
                                        ; implicit-def: $vgpr23
                                        ; implicit-def: $vgpr6_vgpr7
	s_andn2_saveexec_b32 s3, s3
	s_cbranch_execz .LBB32_36
.LBB32_50:                              ;   in Loop: Header=BB32_9 Depth=3
	s_mov_b32 s50, s48
	s_mov_b32 s49, exec_lo
                                        ; implicit-def: $vgpr10_vgpr11
	v_cmpx_lt_i32_e64 v0, v17
	s_cbranch_execz .LBB32_58
; %bb.51:                               ;   in Loop: Header=BB32_9 Depth=3
	s_mov_b32 s51, 0
                                        ; implicit-def: $sgpr50
                                        ; implicit-def: $sgpr53
                                        ; implicit-def: $sgpr52
	s_inst_prefetch 0x1
	s_branch .LBB32_53
	.p2align	6
.LBB32_52:                              ;   in Loop: Header=BB32_53 Depth=4
	s_or_b32 exec_lo, exec_lo, s54
	s_and_b32 s54, exec_lo, s53
	s_or_b32 s51, s54, s51
	s_andn2_b32 s50, s50, exec_lo
	s_and_b32 s54, s52, exec_lo
	s_or_b32 s50, s50, s54
	s_andn2_b32 exec_lo, exec_lo, s51
	s_cbranch_execz .LBB32_55
.LBB32_53:                              ;   Parent Loop BB32_3 Depth=1
                                        ;     Parent Loop BB32_5 Depth=2
                                        ;       Parent Loop BB32_9 Depth=3
                                        ; =>      This Inner Loop Header: Depth=4
	v_add_nc_u32_e32 v7, v5, v0
	s_or_b32 s52, s52, exec_lo
	s_or_b32 s53, s53, exec_lo
	s_mov_b32 s54, exec_lo
	v_ashrrev_i32_e32 v8, 31, v7
	v_lshlrev_b64 v[9:10], 2, v[7:8]
	v_add_co_u32 v9, vcc_lo, s20, v9
	v_add_co_ci_u32_e64 v10, null, s21, v10, vcc_lo
	global_load_dword v9, v[9:10], off
	s_waitcnt vmcnt(0)
	v_subrev_nc_u32_e32 v9, s43, v9
	v_cmpx_ne_u32_e64 v9, v6
	s_cbranch_execz .LBB32_52
; %bb.54:                               ;   in Loop: Header=BB32_53 Depth=4
	v_add_nc_u32_e32 v0, 1, v0
	s_andn2_b32 s53, s53, exec_lo
	s_andn2_b32 s52, s52, exec_lo
	v_cmp_ge_i32_e32 vcc_lo, v0, v17
	s_and_b32 s55, vcc_lo, exec_lo
	s_or_b32 s53, s53, s55
	s_branch .LBB32_52
.LBB32_55:                              ;   in Loop: Header=BB32_9 Depth=3
	s_inst_prefetch 0x2
	s_or_b32 exec_lo, exec_lo, s51
	s_mov_b32 s51, s48
                                        ; implicit-def: $vgpr10_vgpr11
	s_and_saveexec_b32 s52, s50
	s_xor_b32 s50, exec_lo, s52
	s_cbranch_execz .LBB32_57
; %bb.56:                               ;   in Loop: Header=BB32_9 Depth=3
	v_lshlrev_b64 v[6:7], 3, v[7:8]
	s_or_b32 s51, s48, exec_lo
	v_add_co_u32 v10, vcc_lo, s40, v6
	v_add_co_ci_u32_e64 v11, null, s41, v7, vcc_lo
	global_store_dword v[10:11], v23, off
.LBB32_57:                              ;   in Loop: Header=BB32_9 Depth=3
	s_or_b32 exec_lo, exec_lo, s50
	s_andn2_b32 s50, s48, exec_lo
	s_and_b32 s51, s51, exec_lo
	s_or_b32 s50, s50, s51
.LBB32_58:                              ;   in Loop: Header=BB32_9 Depth=3
	s_or_b32 exec_lo, exec_lo, s49
	s_andn2_b32 s48, s48, exec_lo
	s_and_b32 s49, s50, exec_lo
	s_or_b32 s48, s48, s49
	s_or_b32 exec_lo, exec_lo, s3
	s_and_b32 exec_lo, exec_lo, s48
	s_cbranch_execz .LBB32_8
.LBB32_59:                              ;   in Loop: Header=BB32_9 Depth=3
	global_store_dword v[10:11], v4, off offset:4
	s_branch .LBB32_8
.LBB32_60:                              ;   in Loop: Header=BB32_3 Depth=1
	s_and_saveexec_b32 s3, s0
	s_cbranch_execz .LBB32_2
; %bb.61:                               ;   in Loop: Header=BB32_3 Depth=1
	v_mov_b32_e32 v2, v12
	s_mov_b32 s4, 0
	s_branch .LBB32_63
.LBB32_62:                              ;   in Loop: Header=BB32_63 Depth=2
	s_or_b32 exec_lo, exec_lo, s45
	v_add_nc_u32_e32 v2, 64, v2
	v_cmp_le_u32_e32 vcc_lo, s5, v2
	s_or_b32 s4, vcc_lo, s4
	s_andn2_b32 exec_lo, exec_lo, s4
	s_cbranch_execz .LBB32_2
.LBB32_63:                              ;   Parent Loop BB32_3 Depth=1
                                        ; =>  This Loop Header: Depth=2
                                        ;       Child Loop BB32_66 Depth 3
                                        ;       Child Loop BB32_69 Depth 3
	s_mov_b32 s45, exec_lo
	v_cmpx_gt_i32_e64 s35, v2
	s_cbranch_execz .LBB32_62
; %bb.64:                               ;   in Loop: Header=BB32_63 Depth=2
	v_ashrrev_i32_e32 v3, 31, v2
	s_mov_b32 s46, exec_lo
	v_lshlrev_b64 v[4:5], 2, v[2:3]
	v_add_co_u32 v6, vcc_lo, s16, v4
	v_add_co_ci_u32_e64 v7, null, s17, v5, vcc_lo
	v_add_co_u32 v8, vcc_lo, s18, v4
	v_add_co_ci_u32_e64 v9, null, s19, v5, vcc_lo
	global_load_dword v0, v[6:7], off
	global_load_dword v7, v[8:9], off
	s_waitcnt vmcnt(1)
	v_add_nc_u32_e32 v6, v14, v0
	s_waitcnt vmcnt(0)
	v_subrev_nc_u32_e32 v0, s43, v7
	v_cmpx_lt_i32_e64 v6, v0
	s_cbranch_execz .LBB32_67
; %bb.65:                               ;   in Loop: Header=BB32_63 Depth=2
	v_ashrrev_i32_e32 v7, 31, v6
	s_mov_b32 s47, 0
	v_lshlrev_b64 v[9:10], 3, v[6:7]
	v_add_co_u32 v7, vcc_lo, s40, v9
	v_add_co_ci_u32_e64 v8, null, s41, v10, vcc_lo
	v_add_co_u32 v9, vcc_lo, s22, v9
	v_add_co_ci_u32_e64 v10, null, s23, v10, vcc_lo
	.p2align	6
.LBB32_66:                              ;   Parent Loop BB32_3 Depth=1
                                        ;     Parent Loop BB32_63 Depth=2
                                        ; =>    This Inner Loop Header: Depth=3
	global_load_dwordx2 v[16:17], v[7:8], off
	v_add_nc_u32_e32 v6, 16, v6
	v_add_co_u32 v7, vcc_lo, 0x80, v7
	v_add_co_ci_u32_e64 v8, null, 0, v8, vcc_lo
	v_cmp_ge_i32_e32 vcc_lo, v6, v0
	s_or_b32 s47, vcc_lo, s47
	s_waitcnt vmcnt(0)
	global_store_dwordx2 v[9:10], v[16:17], off
	v_add_co_u32 v9, s2, 0x80, v9
	v_add_co_ci_u32_e64 v10, null, 0, v10, s2
	s_andn2_b32 exec_lo, exec_lo, s47
	s_cbranch_execnz .LBB32_66
.LBB32_67:                              ;   in Loop: Header=BB32_63 Depth=2
	s_or_b32 exec_lo, exec_lo, s46
	v_add_co_u32 v6, vcc_lo, s8, v4
	v_add_co_ci_u32_e64 v7, null, s9, v5, vcc_lo
	v_add_co_u32 v4, vcc_lo, s10, v4
	v_add_co_ci_u32_e64 v5, null, s11, v5, vcc_lo
	global_load_dword v0, v[6:7], off
	global_load_dword v5, v[4:5], off
	s_mov_b32 s46, exec_lo
	s_waitcnt vmcnt(1)
	v_add_nc_u32_e32 v4, v15, v0
	s_waitcnt vmcnt(0)
	v_subrev_nc_u32_e32 v0, s44, v5
	v_cmpx_lt_i32_e64 v4, v0
	s_cbranch_execz .LBB32_70
; %bb.68:                               ;   in Loop: Header=BB32_63 Depth=2
	v_ashrrev_i32_e32 v5, 31, v4
	s_mov_b32 s47, 0
	v_lshlrev_b64 v[7:8], 3, v[4:5]
	v_add_co_u32 v5, vcc_lo, s6, v7
	v_add_co_ci_u32_e64 v6, null, s7, v8, vcc_lo
	v_add_co_u32 v7, vcc_lo, s14, v7
	v_add_co_ci_u32_e64 v8, null, s15, v8, vcc_lo
	.p2align	6
.LBB32_69:                              ;   Parent Loop BB32_3 Depth=1
                                        ;     Parent Loop BB32_63 Depth=2
                                        ; =>    This Inner Loop Header: Depth=3
	global_load_dwordx2 v[9:10], v[5:6], off
	v_add_nc_u32_e32 v4, 16, v4
	v_add_co_u32 v5, vcc_lo, 0x80, v5
	v_add_co_ci_u32_e64 v6, null, 0, v6, vcc_lo
	v_cmp_ge_i32_e32 vcc_lo, v4, v0
	s_or_b32 s47, vcc_lo, s47
	s_waitcnt vmcnt(0)
	global_store_dwordx2 v[7:8], v[9:10], off
	v_add_co_u32 v7, s2, 0x80, v7
	v_add_co_ci_u32_e64 v8, null, 0, v8, s2
	s_andn2_b32 exec_lo, exec_lo, s47
	s_cbranch_execnz .LBB32_69
.LBB32_70:                              ;   in Loop: Header=BB32_63 Depth=2
	s_or_b32 exec_lo, exec_lo, s46
	s_and_b32 exec_lo, exec_lo, s1
	s_cbranch_execz .LBB32_62
; %bb.71:                               ;   in Loop: Header=BB32_63 Depth=2
	v_lshlrev_b64 v[3:4], 3, v[2:3]
	v_add_co_u32 v5, vcc_lo, s38, v3
	v_add_co_ci_u32_e64 v6, null, s39, v4, vcc_lo
	v_add_co_u32 v3, vcc_lo, s36, v3
	v_add_co_ci_u32_e64 v4, null, s37, v4, vcc_lo
	global_load_dwordx2 v[5:6], v[5:6], off
	s_waitcnt vmcnt(0)
	global_store_dwordx2 v[3:4], v[5:6], off
	s_branch .LBB32_62
.LBB32_72:
	s_endpgm
	.section	.rodata,"a",@progbits
	.p2align	6, 0x0
	.amdhsa_kernel _ZN9rocsparseL14kernel_freerunILi1024ELi16E21rocsparse_complex_numIfEiiEEvT3_S3_T2_PKS4_S6_PKS3_PKT1_21rocsparse_index_base_S6_S6_S8_PS9_SD_SC_S6_S6_S8_SD_SD_SC_SD_SD_
		.amdhsa_group_segment_fixed_size 0
		.amdhsa_private_segment_fixed_size 0
		.amdhsa_kernarg_size 168
		.amdhsa_user_sgpr_count 6
		.amdhsa_user_sgpr_private_segment_buffer 1
		.amdhsa_user_sgpr_dispatch_ptr 0
		.amdhsa_user_sgpr_queue_ptr 0
		.amdhsa_user_sgpr_kernarg_segment_ptr 1
		.amdhsa_user_sgpr_dispatch_id 0
		.amdhsa_user_sgpr_flat_scratch_init 0
		.amdhsa_user_sgpr_private_segment_size 0
		.amdhsa_wavefront_size32 1
		.amdhsa_uses_dynamic_stack 0
		.amdhsa_system_sgpr_private_segment_wavefront_offset 0
		.amdhsa_system_sgpr_workgroup_id_x 1
		.amdhsa_system_sgpr_workgroup_id_y 0
		.amdhsa_system_sgpr_workgroup_id_z 0
		.amdhsa_system_sgpr_workgroup_info 0
		.amdhsa_system_vgpr_workitem_id 0
		.amdhsa_next_free_vgpr 34
		.amdhsa_next_free_sgpr 57
		.amdhsa_reserve_vcc 1
		.amdhsa_reserve_flat_scratch 0
		.amdhsa_float_round_mode_32 0
		.amdhsa_float_round_mode_16_64 0
		.amdhsa_float_denorm_mode_32 3
		.amdhsa_float_denorm_mode_16_64 3
		.amdhsa_dx10_clamp 1
		.amdhsa_ieee_mode 1
		.amdhsa_fp16_overflow 0
		.amdhsa_workgroup_processor_mode 1
		.amdhsa_memory_ordered 1
		.amdhsa_forward_progress 1
		.amdhsa_shared_vgpr_count 0
		.amdhsa_exception_fp_ieee_invalid_op 0
		.amdhsa_exception_fp_denorm_src 0
		.amdhsa_exception_fp_ieee_div_zero 0
		.amdhsa_exception_fp_ieee_overflow 0
		.amdhsa_exception_fp_ieee_underflow 0
		.amdhsa_exception_fp_ieee_inexact 0
		.amdhsa_exception_int_div_zero 0
	.end_amdhsa_kernel
	.section	.text._ZN9rocsparseL14kernel_freerunILi1024ELi16E21rocsparse_complex_numIfEiiEEvT3_S3_T2_PKS4_S6_PKS3_PKT1_21rocsparse_index_base_S6_S6_S8_PS9_SD_SC_S6_S6_S8_SD_SD_SC_SD_SD_,"axG",@progbits,_ZN9rocsparseL14kernel_freerunILi1024ELi16E21rocsparse_complex_numIfEiiEEvT3_S3_T2_PKS4_S6_PKS3_PKT1_21rocsparse_index_base_S6_S6_S8_PS9_SD_SC_S6_S6_S8_SD_SD_SC_SD_SD_,comdat
.Lfunc_end32:
	.size	_ZN9rocsparseL14kernel_freerunILi1024ELi16E21rocsparse_complex_numIfEiiEEvT3_S3_T2_PKS4_S6_PKS3_PKT1_21rocsparse_index_base_S6_S6_S8_PS9_SD_SC_S6_S6_S8_SD_SD_SC_SD_SD_, .Lfunc_end32-_ZN9rocsparseL14kernel_freerunILi1024ELi16E21rocsparse_complex_numIfEiiEEvT3_S3_T2_PKS4_S6_PKS3_PKT1_21rocsparse_index_base_S6_S6_S8_PS9_SD_SC_S6_S6_S8_SD_SD_SC_SD_SD_
                                        ; -- End function
	.set _ZN9rocsparseL14kernel_freerunILi1024ELi16E21rocsparse_complex_numIfEiiEEvT3_S3_T2_PKS4_S6_PKS3_PKT1_21rocsparse_index_base_S6_S6_S8_PS9_SD_SC_S6_S6_S8_SD_SD_SC_SD_SD_.num_vgpr, 34
	.set _ZN9rocsparseL14kernel_freerunILi1024ELi16E21rocsparse_complex_numIfEiiEEvT3_S3_T2_PKS4_S6_PKS3_PKT1_21rocsparse_index_base_S6_S6_S8_PS9_SD_SC_S6_S6_S8_SD_SD_SC_SD_SD_.num_agpr, 0
	.set _ZN9rocsparseL14kernel_freerunILi1024ELi16E21rocsparse_complex_numIfEiiEEvT3_S3_T2_PKS4_S6_PKS3_PKT1_21rocsparse_index_base_S6_S6_S8_PS9_SD_SC_S6_S6_S8_SD_SD_SC_SD_SD_.numbered_sgpr, 57
	.set _ZN9rocsparseL14kernel_freerunILi1024ELi16E21rocsparse_complex_numIfEiiEEvT3_S3_T2_PKS4_S6_PKS3_PKT1_21rocsparse_index_base_S6_S6_S8_PS9_SD_SC_S6_S6_S8_SD_SD_SC_SD_SD_.num_named_barrier, 0
	.set _ZN9rocsparseL14kernel_freerunILi1024ELi16E21rocsparse_complex_numIfEiiEEvT3_S3_T2_PKS4_S6_PKS3_PKT1_21rocsparse_index_base_S6_S6_S8_PS9_SD_SC_S6_S6_S8_SD_SD_SC_SD_SD_.private_seg_size, 0
	.set _ZN9rocsparseL14kernel_freerunILi1024ELi16E21rocsparse_complex_numIfEiiEEvT3_S3_T2_PKS4_S6_PKS3_PKT1_21rocsparse_index_base_S6_S6_S8_PS9_SD_SC_S6_S6_S8_SD_SD_SC_SD_SD_.uses_vcc, 1
	.set _ZN9rocsparseL14kernel_freerunILi1024ELi16E21rocsparse_complex_numIfEiiEEvT3_S3_T2_PKS4_S6_PKS3_PKT1_21rocsparse_index_base_S6_S6_S8_PS9_SD_SC_S6_S6_S8_SD_SD_SC_SD_SD_.uses_flat_scratch, 0
	.set _ZN9rocsparseL14kernel_freerunILi1024ELi16E21rocsparse_complex_numIfEiiEEvT3_S3_T2_PKS4_S6_PKS3_PKT1_21rocsparse_index_base_S6_S6_S8_PS9_SD_SC_S6_S6_S8_SD_SD_SC_SD_SD_.has_dyn_sized_stack, 0
	.set _ZN9rocsparseL14kernel_freerunILi1024ELi16E21rocsparse_complex_numIfEiiEEvT3_S3_T2_PKS4_S6_PKS3_PKT1_21rocsparse_index_base_S6_S6_S8_PS9_SD_SC_S6_S6_S8_SD_SD_SC_SD_SD_.has_recursion, 0
	.set _ZN9rocsparseL14kernel_freerunILi1024ELi16E21rocsparse_complex_numIfEiiEEvT3_S3_T2_PKS4_S6_PKS3_PKT1_21rocsparse_index_base_S6_S6_S8_PS9_SD_SC_S6_S6_S8_SD_SD_SC_SD_SD_.has_indirect_call, 0
	.section	.AMDGPU.csdata,"",@progbits
; Kernel info:
; codeLenInByte = 3552
; TotalNumSgprs: 59
; NumVgprs: 34
; ScratchSize: 0
; MemoryBound: 0
; FloatMode: 240
; IeeeMode: 1
; LDSByteSize: 0 bytes/workgroup (compile time only)
; SGPRBlocks: 0
; VGPRBlocks: 4
; NumSGPRsForWavesPerEU: 59
; NumVGPRsForWavesPerEU: 34
; Occupancy: 16
; WaveLimiterHint : 1
; COMPUTE_PGM_RSRC2:SCRATCH_EN: 0
; COMPUTE_PGM_RSRC2:USER_SGPR: 6
; COMPUTE_PGM_RSRC2:TRAP_HANDLER: 0
; COMPUTE_PGM_RSRC2:TGID_X_EN: 1
; COMPUTE_PGM_RSRC2:TGID_Y_EN: 0
; COMPUTE_PGM_RSRC2:TGID_Z_EN: 0
; COMPUTE_PGM_RSRC2:TIDIG_COMP_CNT: 0
	.section	.text._ZN9rocsparseL14kernel_freerunILi1024ELi32E21rocsparse_complex_numIfEiiEEvT3_S3_T2_PKS4_S6_PKS3_PKT1_21rocsparse_index_base_S6_S6_S8_PS9_SD_SC_S6_S6_S8_SD_SD_SC_SD_SD_,"axG",@progbits,_ZN9rocsparseL14kernel_freerunILi1024ELi32E21rocsparse_complex_numIfEiiEEvT3_S3_T2_PKS4_S6_PKS3_PKT1_21rocsparse_index_base_S6_S6_S8_PS9_SD_SC_S6_S6_S8_SD_SD_SC_SD_SD_,comdat
	.globl	_ZN9rocsparseL14kernel_freerunILi1024ELi32E21rocsparse_complex_numIfEiiEEvT3_S3_T2_PKS4_S6_PKS3_PKT1_21rocsparse_index_base_S6_S6_S8_PS9_SD_SC_S6_S6_S8_SD_SD_SC_SD_SD_ ; -- Begin function _ZN9rocsparseL14kernel_freerunILi1024ELi32E21rocsparse_complex_numIfEiiEEvT3_S3_T2_PKS4_S6_PKS3_PKT1_21rocsparse_index_base_S6_S6_S8_PS9_SD_SC_S6_S6_S8_SD_SD_SC_SD_SD_
	.p2align	8
	.type	_ZN9rocsparseL14kernel_freerunILi1024ELi32E21rocsparse_complex_numIfEiiEEvT3_S3_T2_PKS4_S6_PKS3_PKT1_21rocsparse_index_base_S6_S6_S8_PS9_SD_SC_S6_S6_S8_SD_SD_SC_SD_SD_,@function
_ZN9rocsparseL14kernel_freerunILi1024ELi32E21rocsparse_complex_numIfEiiEEvT3_S3_T2_PKS4_S6_PKS3_PKT1_21rocsparse_index_base_S6_S6_S8_PS9_SD_SC_S6_S6_S8_SD_SD_SC_SD_SD_: ; @_ZN9rocsparseL14kernel_freerunILi1024ELi32E21rocsparse_complex_numIfEiiEEvT3_S3_T2_PKS4_S6_PKS3_PKT1_21rocsparse_index_base_S6_S6_S8_PS9_SD_SC_S6_S6_S8_SD_SD_SC_SD_SD_
; %bb.0:
	s_load_dwordx2 s[34:35], s[4:5], 0x0
	v_lshrrev_b32_e32 v1, 5, v0
	s_lshl_b32 s0, s6, 10
	s_mov_b32 s33, 0
	v_or_b32_e32 v12, s0, v1
	s_waitcnt lgkmcnt(0)
	v_cmp_gt_i32_e32 vcc_lo, s35, v12
	s_cmp_gt_i32 s34, 0
	s_cselect_b32 s1, -1, 0
	s_and_b32 s1, vcc_lo, s1
	s_and_saveexec_b32 s2, s1
	s_cbranch_execz .LBB33_72
; %bb.1:
	s_clause 0x8
	s_load_dword s42, s[4:5], 0x30
	s_load_dword s43, s[4:5], 0x60
	;; [unrolled: 1-line block ×3, first 2 shown]
	s_load_dwordx2 s[6:7], s[4:5], 0x88
	s_load_dwordx2 s[40:41], s[4:5], 0x58
	s_load_dwordx4 s[36:39], s[4:5], 0x98
	s_load_dwordx8 s[8:15], s[4:5], 0x68
	s_load_dwordx8 s[16:23], s[4:5], 0x38
	s_load_dwordx8 s[24:31], s[4:5], 0x10
	v_and_b32_e32 v0, 31, v0
	s_add_i32 s5, s0, 0x400
	v_mov_b32_e32 v1, 0
	v_cmp_gt_u32_e64 s0, s5, v12
	v_cmp_eq_u32_e64 s1, 0, v0
	s_waitcnt lgkmcnt(0)
	v_subrev_nc_u32_e32 v13, s42, v0
	v_subrev_nc_u32_e32 v14, s43, v0
	;; [unrolled: 1-line block ×3, first 2 shown]
	s_branch .LBB33_3
.LBB33_2:                               ;   in Loop: Header=BB33_3 Depth=1
	s_or_b32 exec_lo, exec_lo, s3
	s_add_i32 s33, s33, 1
	s_cmp_eq_u32 s33, s34
	s_cbranch_scc1 .LBB33_72
.LBB33_3:                               ; =>This Loop Header: Depth=1
                                        ;     Child Loop BB33_5 Depth 2
                                        ;       Child Loop BB33_9 Depth 3
                                        ;         Child Loop BB33_13 Depth 4
                                        ;         Child Loop BB33_43 Depth 4
	;; [unrolled: 1-line block ×3, first 2 shown]
                                        ;     Child Loop BB33_63 Depth 2
                                        ;       Child Loop BB33_66 Depth 3
                                        ;       Child Loop BB33_69 Depth 3
	s_mov_b32 s45, 0
	s_branch .LBB33_5
.LBB33_4:                               ;   in Loop: Header=BB33_5 Depth=2
	s_or_b32 exec_lo, exec_lo, s46
	s_add_i32 s45, s45, 1
	s_cmp_eq_u32 s45, 32
	s_cbranch_scc1 .LBB33_60
.LBB33_5:                               ;   Parent Loop BB33_3 Depth=1
                                        ; =>  This Loop Header: Depth=2
                                        ;       Child Loop BB33_9 Depth 3
                                        ;         Child Loop BB33_13 Depth 4
                                        ;         Child Loop BB33_43 Depth 4
	;; [unrolled: 1-line block ×3, first 2 shown]
	v_lshl_add_u32 v2, s45, 5, v12
	s_mov_b32 s46, exec_lo
	v_cmpx_gt_i32_e64 s35, v2
	s_cbranch_execz .LBB33_4
; %bb.6:                                ;   in Loop: Header=BB33_5 Depth=2
	v_ashrrev_i32_e32 v3, 31, v2
	v_lshlrev_b64 v[4:5], 2, v[2:3]
	v_add_co_u32 v6, vcc_lo, s24, v4
	v_add_co_ci_u32_e64 v7, null, s25, v5, vcc_lo
	v_add_co_u32 v8, vcc_lo, s26, v4
	v_add_co_ci_u32_e64 v9, null, s27, v5, vcc_lo
	global_load_dword v0, v[6:7], off
	global_load_dword v6, v[8:9], off
	s_waitcnt vmcnt(1)
	v_add_nc_u32_e32 v3, v13, v0
	s_waitcnt vmcnt(0)
	v_subrev_nc_u32_e32 v16, s42, v6
	v_cmp_lt_i32_e32 vcc_lo, v3, v16
	s_and_b32 exec_lo, exec_lo, vcc_lo
	s_cbranch_execz .LBB33_4
; %bb.7:                                ;   in Loop: Header=BB33_5 Depth=2
	v_add_co_u32 v6, vcc_lo, s16, v4
	v_add_co_ci_u32_e64 v7, null, s17, v5, vcc_lo
	v_add_co_u32 v4, vcc_lo, s18, v4
	v_add_co_ci_u32_e64 v5, null, s19, v5, vcc_lo
	global_load_dword v0, v[6:7], off
	s_mov_b32 s47, 0
	global_load_dword v4, v[4:5], off
	s_waitcnt vmcnt(1)
	v_subrev_nc_u32_e32 v5, s43, v0
	s_waitcnt vmcnt(0)
	v_sub_nc_u32_e32 v17, v4, v0
	v_ashrrev_i32_e32 v6, 31, v5
	v_cmp_lt_i32_e64 s2, 0, v17
	v_lshlrev_b64 v[7:8], 2, v[5:6]
	v_lshlrev_b64 v[9:10], 3, v[5:6]
	v_add_co_u32 v18, vcc_lo, s20, v7
	v_add_co_ci_u32_e64 v19, null, s21, v8, vcc_lo
	v_add_co_u32 v20, vcc_lo, s22, v9
	v_add_co_ci_u32_e64 v21, null, s23, v10, vcc_lo
	s_branch .LBB33_9
.LBB33_8:                               ;   in Loop: Header=BB33_9 Depth=3
	s_or_b32 exec_lo, exec_lo, s4
	v_add_nc_u32_e32 v3, 32, v3
	v_cmp_ge_i32_e32 vcc_lo, v3, v16
	s_or_b32 s47, vcc_lo, s47
	s_andn2_b32 exec_lo, exec_lo, s47
	s_cbranch_execz .LBB33_4
.LBB33_9:                               ;   Parent Loop BB33_3 Depth=1
                                        ;     Parent Loop BB33_5 Depth=2
                                        ; =>    This Loop Header: Depth=3
                                        ;         Child Loop BB33_13 Depth 4
                                        ;         Child Loop BB33_43 Depth 4
	;; [unrolled: 1-line block ×3, first 2 shown]
	v_ashrrev_i32_e32 v4, 31, v3
	v_mov_b32_e32 v24, 0
	v_lshlrev_b64 v[6:7], 2, v[3:4]
	v_add_co_u32 v6, vcc_lo, s28, v6
	v_add_co_ci_u32_e64 v7, null, s29, v7, vcc_lo
	global_load_dword v0, v[6:7], off
	s_waitcnt vmcnt(0)
	v_subrev_nc_u32_e32 v6, s42, v0
	v_mov_b32_e32 v0, 0
	v_ashrrev_i32_e32 v7, 31, v6
	v_lshlrev_b64 v[8:9], 2, v[6:7]
	v_add_co_u32 v10, vcc_lo, s8, v8
	v_add_co_ci_u32_e64 v11, null, s9, v9, vcc_lo
	v_add_co_u32 v8, vcc_lo, s10, v8
	v_add_co_ci_u32_e64 v9, null, s11, v9, vcc_lo
	global_load_dword v10, v[10:11], off
	global_load_dword v9, v[8:9], off
	v_mov_b32_e32 v11, 0
	s_waitcnt vmcnt(1)
	v_subrev_nc_u32_e32 v8, s44, v10
	s_waitcnt vmcnt(0)
	v_sub_nc_u32_e32 v22, v9, v10
	v_mov_b32_e32 v9, v0
	s_and_saveexec_b32 s4, s2
	s_cbranch_execz .LBB33_17
; %bb.10:                               ;   in Loop: Header=BB33_9 Depth=3
	v_ashrrev_i32_e32 v9, 31, v8
	v_mov_b32_e32 v11, 0
	v_mov_b32_e32 v0, 0
	s_mov_b32 s48, 0
                                        ; implicit-def: $sgpr49
	v_lshlrev_b64 v[23:24], 2, v[8:9]
	v_lshlrev_b64 v[9:10], 3, v[8:9]
	v_add_co_u32 v23, vcc_lo, s12, v23
	v_add_co_ci_u32_e64 v25, null, s13, v24, vcc_lo
	v_add_co_u32 v26, vcc_lo, s14, v9
	v_add_co_ci_u32_e64 v27, null, s15, v10, vcc_lo
	v_mov_b32_e32 v9, 0
	v_mov_b32_e32 v24, 0
	s_branch .LBB33_13
.LBB33_11:                              ;   in Loop: Header=BB33_13 Depth=4
	s_or_b32 exec_lo, exec_lo, s3
	v_cmp_le_i32_e32 vcc_lo, v28, v29
	v_cmp_ge_i32_e64 s3, v28, v29
	v_add_co_ci_u32_e64 v0, null, 0, v0, vcc_lo
	v_add_co_ci_u32_e64 v9, null, 0, v9, s3
	s_andn2_b32 s3, s49, exec_lo
	v_cmp_ge_i32_e32 vcc_lo, v0, v17
	s_and_b32 s49, vcc_lo, exec_lo
	s_or_b32 s49, s3, s49
.LBB33_12:                              ;   in Loop: Header=BB33_13 Depth=4
	s_or_b32 exec_lo, exec_lo, s50
	s_and_b32 s3, exec_lo, s49
	s_or_b32 s48, s3, s48
	s_andn2_b32 exec_lo, exec_lo, s48
	s_cbranch_execz .LBB33_16
.LBB33_13:                              ;   Parent Loop BB33_3 Depth=1
                                        ;     Parent Loop BB33_5 Depth=2
                                        ;       Parent Loop BB33_9 Depth=3
                                        ; =>      This Inner Loop Header: Depth=4
	s_or_b32 s49, s49, exec_lo
	s_mov_b32 s50, exec_lo
	v_cmpx_lt_i32_e64 v9, v22
	s_cbranch_execz .LBB33_12
; %bb.14:                               ;   in Loop: Header=BB33_13 Depth=4
	v_mov_b32_e32 v10, v1
	v_lshlrev_b64 v[28:29], 2, v[0:1]
	s_mov_b32 s3, exec_lo
	v_lshlrev_b64 v[30:31], 2, v[9:10]
	v_add_co_u32 v28, vcc_lo, v18, v28
	v_add_co_ci_u32_e64 v29, null, v19, v29, vcc_lo
	v_add_co_u32 v30, vcc_lo, v23, v30
	v_add_co_ci_u32_e64 v31, null, v25, v31, vcc_lo
	global_load_dword v28, v[28:29], off
	global_load_dword v29, v[30:31], off
	s_waitcnt vmcnt(1)
	v_subrev_nc_u32_e32 v28, s43, v28
	s_waitcnt vmcnt(0)
	v_subrev_nc_u32_e32 v29, s44, v29
	v_cmpx_eq_u32_e64 v28, v29
	s_cbranch_execz .LBB33_11
; %bb.15:                               ;   in Loop: Header=BB33_13 Depth=4
	v_lshlrev_b64 v[30:31], 3, v[0:1]
	v_lshlrev_b64 v[32:33], 3, v[9:10]
	v_add_co_u32 v30, vcc_lo, v20, v30
	v_add_co_ci_u32_e64 v31, null, v21, v31, vcc_lo
	v_add_co_u32 v32, vcc_lo, v26, v32
	v_add_co_ci_u32_e64 v33, null, v27, v33, vcc_lo
	global_load_dwordx2 v[30:31], v[30:31], off
	global_load_dwordx2 v[32:33], v[32:33], off
	s_waitcnt vmcnt(0)
	v_fmac_f32_e32 v11, v30, v32
	v_fmac_f32_e32 v24, v31, v32
	v_fma_f32 v11, -v31, v33, v11
	v_fmac_f32_e32 v24, v30, v33
	s_branch .LBB33_11
.LBB33_16:                              ;   in Loop: Header=BB33_9 Depth=3
	s_or_b32 exec_lo, exec_lo, s48
.LBB33_17:                              ;   in Loop: Header=BB33_9 Depth=3
	s_or_b32 exec_lo, exec_lo, s4
	v_lshlrev_b64 v[25:26], 3, v[3:4]
	v_cmp_le_i32_e64 s3, v2, v6
	s_mov_b32 s48, exec_lo
	v_add_co_u32 v25, vcc_lo, s30, v25
	v_add_co_ci_u32_e64 v26, null, s31, v26, vcc_lo
	global_load_dwordx2 v[25:26], v[25:26], off
	s_waitcnt vmcnt(0)
	v_sub_f32_e32 v23, v25, v11
	v_sub_f32_e32 v4, v26, v24
	v_cmpx_gt_i32_e64 v2, v6
	s_cbranch_execz .LBB33_27
; %bb.18:                               ;   in Loop: Header=BB33_9 Depth=3
	v_lshlrev_b64 v[10:11], 3, v[6:7]
                                        ; implicit-def: $vgpr26
	s_mov_b32 s4, exec_lo
	v_add_co_u32 v10, vcc_lo, s36, v10
	v_add_co_ci_u32_e64 v11, null, s37, v11, vcc_lo
	global_load_dwordx2 v[10:11], v[10:11], off
	s_waitcnt vmcnt(0)
	v_cmp_gt_f32_e32 vcc_lo, 0, v10
	v_cndmask_b32_e64 v24, v10, -v10, vcc_lo
	v_cmp_gt_f32_e32 vcc_lo, 0, v11
	v_cndmask_b32_e64 v25, v11, -v11, vcc_lo
	v_cmpx_ngt_f32_e32 v24, v25
	s_xor_b32 s49, exec_lo, s4
	s_cbranch_execz .LBB33_22
; %bb.19:                               ;   in Loop: Header=BB33_9 Depth=3
	v_mov_b32_e32 v26, 0
	s_mov_b32 s50, exec_lo
	v_cmpx_neq_f32_e32 0, v11
	s_cbranch_execz .LBB33_21
; %bb.20:                               ;   in Loop: Header=BB33_9 Depth=3
	v_div_scale_f32 v26, null, v25, v25, v24
	v_div_scale_f32 v29, vcc_lo, v24, v25, v24
	v_rcp_f32_e32 v27, v26
	v_fma_f32 v28, -v26, v27, 1.0
	v_fmac_f32_e32 v27, v28, v27
	v_mul_f32_e32 v28, v29, v27
	v_fma_f32 v30, -v26, v28, v29
	v_fmac_f32_e32 v28, v30, v27
	v_fma_f32 v26, -v26, v28, v29
	v_div_fmas_f32 v26, v26, v27, v28
	v_div_fixup_f32 v24, v26, v25, v24
	v_fma_f32 v24, v24, v24, 1.0
	v_mul_f32_e32 v26, 0x4f800000, v24
	v_cmp_gt_f32_e32 vcc_lo, 0xf800000, v24
	v_cndmask_b32_e32 v24, v24, v26, vcc_lo
	v_sqrt_f32_e32 v26, v24
	v_add_nc_u32_e32 v27, -1, v26
	v_add_nc_u32_e32 v28, 1, v26
	v_fma_f32 v29, -v27, v26, v24
	v_fma_f32 v30, -v28, v26, v24
	v_cmp_ge_f32_e64 s4, 0, v29
	v_cndmask_b32_e64 v26, v26, v27, s4
	v_cmp_lt_f32_e64 s4, 0, v30
	v_cndmask_b32_e64 v26, v26, v28, s4
	v_mul_f32_e32 v27, 0x37800000, v26
	v_cndmask_b32_e32 v26, v26, v27, vcc_lo
	v_cmp_class_f32_e64 vcc_lo, v24, 0x260
	v_cndmask_b32_e32 v24, v26, v24, vcc_lo
	v_mul_f32_e32 v26, v25, v24
.LBB33_21:                              ;   in Loop: Header=BB33_9 Depth=3
	s_or_b32 exec_lo, exec_lo, s50
                                        ; implicit-def: $vgpr24
                                        ; implicit-def: $vgpr25
.LBB33_22:                              ;   in Loop: Header=BB33_9 Depth=3
	s_andn2_saveexec_b32 s49, s49
	s_cbranch_execz .LBB33_24
; %bb.23:                               ;   in Loop: Header=BB33_9 Depth=3
	v_div_scale_f32 v26, null, v24, v24, v25
	v_div_scale_f32 v29, vcc_lo, v25, v24, v25
	v_rcp_f32_e32 v27, v26
	v_fma_f32 v28, -v26, v27, 1.0
	v_fmac_f32_e32 v27, v28, v27
	v_mul_f32_e32 v28, v29, v27
	v_fma_f32 v30, -v26, v28, v29
	v_fmac_f32_e32 v28, v30, v27
	v_fma_f32 v26, -v26, v28, v29
	v_div_fmas_f32 v26, v26, v27, v28
	v_div_fixup_f32 v25, v26, v24, v25
	v_fma_f32 v25, v25, v25, 1.0
	v_mul_f32_e32 v26, 0x4f800000, v25
	v_cmp_gt_f32_e32 vcc_lo, 0xf800000, v25
	v_cndmask_b32_e32 v25, v25, v26, vcc_lo
	v_sqrt_f32_e32 v26, v25
	v_add_nc_u32_e32 v27, -1, v26
	v_add_nc_u32_e32 v28, 1, v26
	v_fma_f32 v29, -v27, v26, v25
	v_fma_f32 v30, -v28, v26, v25
	v_cmp_ge_f32_e64 s4, 0, v29
	v_cndmask_b32_e64 v26, v26, v27, s4
	v_cmp_lt_f32_e64 s4, 0, v30
	v_cndmask_b32_e64 v26, v26, v28, s4
	v_mul_f32_e32 v27, 0x37800000, v26
	v_cndmask_b32_e32 v26, v26, v27, vcc_lo
	v_cmp_class_f32_e64 vcc_lo, v25, 0x260
	v_cndmask_b32_e32 v25, v26, v25, vcc_lo
	v_mul_f32_e32 v26, v24, v25
.LBB33_24:                              ;   in Loop: Header=BB33_9 Depth=3
	s_or_b32 exec_lo, exec_lo, s49
	v_mov_b32_e32 v24, 0
	v_mov_b32_e32 v25, 0
	s_mov_b32 s4, exec_lo
	v_cmpx_lt_f32_e32 0, v26
	s_cbranch_execz .LBB33_26
; %bb.25:                               ;   in Loop: Header=BB33_9 Depth=3
	v_mul_f32_e32 v24, v11, v11
	v_fmac_f32_e32 v24, v10, v10
	v_div_scale_f32 v25, null, v24, v24, 1.0
	v_div_scale_f32 v28, vcc_lo, 1.0, v24, 1.0
	v_rcp_f32_e32 v26, v25
	v_fma_f32 v27, -v25, v26, 1.0
	v_fmac_f32_e32 v26, v27, v26
	v_mul_f32_e32 v27, v28, v26
	v_fma_f32 v29, -v25, v27, v28
	v_fmac_f32_e32 v27, v29, v26
	v_fma_f32 v25, -v25, v27, v28
	v_mul_f32_e32 v28, v4, v11
	v_mul_f32_e64 v11, v11, -v23
	v_div_fmas_f32 v25, v25, v26, v27
	v_fmac_f32_e32 v28, v23, v10
	v_fmac_f32_e32 v11, v4, v10
	v_div_fixup_f32 v23, v25, v24, 1.0
	v_mul_f32_e32 v24, v28, v23
	v_mul_f32_e32 v25, v11, v23
.LBB33_26:                              ;   in Loop: Header=BB33_9 Depth=3
	s_or_b32 exec_lo, exec_lo, s4
	v_mov_b32_e32 v23, v24
	v_mov_b32_e32 v4, v25
.LBB33_27:                              ;   in Loop: Header=BB33_9 Depth=3
	s_or_b32 exec_lo, exec_lo, s48
	v_cmp_gt_f32_e32 vcc_lo, 0, v23
                                        ; implicit-def: $vgpr24
	s_mov_b32 s4, exec_lo
	v_cndmask_b32_e64 v10, v23, -v23, vcc_lo
	v_cmp_gt_f32_e32 vcc_lo, 0, v4
	v_cndmask_b32_e64 v11, v4, -v4, vcc_lo
	v_cmpx_ngt_f32_e32 v10, v11
	s_xor_b32 s48, exec_lo, s4
	s_cbranch_execnz .LBB33_30
; %bb.28:                               ;   in Loop: Header=BB33_9 Depth=3
	s_andn2_saveexec_b32 s48, s48
	s_cbranch_execnz .LBB33_33
.LBB33_29:                              ;   in Loop: Header=BB33_9 Depth=3
	s_or_b32 exec_lo, exec_lo, s48
	v_cmp_class_f32_e64 s48, v24, 0x1f8
	s_and_saveexec_b32 s4, s48
	s_cbranch_execz .LBB33_8
	s_branch .LBB33_34
.LBB33_30:                              ;   in Loop: Header=BB33_9 Depth=3
	v_mov_b32_e32 v24, 0
	s_mov_b32 s49, exec_lo
	v_cmpx_neq_f32_e32 0, v4
	s_cbranch_execz .LBB33_32
; %bb.31:                               ;   in Loop: Header=BB33_9 Depth=3
	v_div_scale_f32 v24, null, v11, v11, v10
	v_div_scale_f32 v27, vcc_lo, v10, v11, v10
	v_rcp_f32_e32 v25, v24
	v_fma_f32 v26, -v24, v25, 1.0
	v_fmac_f32_e32 v25, v26, v25
	v_mul_f32_e32 v26, v27, v25
	v_fma_f32 v28, -v24, v26, v27
	v_fmac_f32_e32 v26, v28, v25
	v_fma_f32 v24, -v24, v26, v27
	v_div_fmas_f32 v24, v24, v25, v26
	v_div_fixup_f32 v10, v24, v11, v10
	v_fma_f32 v10, v10, v10, 1.0
	v_mul_f32_e32 v24, 0x4f800000, v10
	v_cmp_gt_f32_e32 vcc_lo, 0xf800000, v10
	v_cndmask_b32_e32 v10, v10, v24, vcc_lo
	v_sqrt_f32_e32 v24, v10
	v_add_nc_u32_e32 v25, -1, v24
	v_add_nc_u32_e32 v26, 1, v24
	v_fma_f32 v27, -v25, v24, v10
	v_fma_f32 v28, -v26, v24, v10
	v_cmp_ge_f32_e64 s4, 0, v27
	v_cndmask_b32_e64 v24, v24, v25, s4
	v_cmp_lt_f32_e64 s4, 0, v28
	v_cndmask_b32_e64 v24, v24, v26, s4
	v_mul_f32_e32 v25, 0x37800000, v24
	v_cndmask_b32_e32 v24, v24, v25, vcc_lo
	v_cmp_class_f32_e64 vcc_lo, v10, 0x260
	v_cndmask_b32_e32 v10, v24, v10, vcc_lo
	v_mul_f32_e32 v24, v11, v10
.LBB33_32:                              ;   in Loop: Header=BB33_9 Depth=3
	s_or_b32 exec_lo, exec_lo, s49
                                        ; implicit-def: $vgpr10
                                        ; implicit-def: $vgpr11
	s_andn2_saveexec_b32 s48, s48
	s_cbranch_execz .LBB33_29
.LBB33_33:                              ;   in Loop: Header=BB33_9 Depth=3
	v_div_scale_f32 v24, null, v10, v10, v11
	v_div_scale_f32 v27, vcc_lo, v11, v10, v11
	v_rcp_f32_e32 v25, v24
	v_fma_f32 v26, -v24, v25, 1.0
	v_fmac_f32_e32 v25, v26, v25
	v_mul_f32_e32 v26, v27, v25
	v_fma_f32 v28, -v24, v26, v27
	v_fmac_f32_e32 v26, v28, v25
	v_fma_f32 v24, -v24, v26, v27
	v_div_fmas_f32 v24, v24, v25, v26
	v_div_fixup_f32 v11, v24, v10, v11
	v_fma_f32 v11, v11, v11, 1.0
	v_mul_f32_e32 v24, 0x4f800000, v11
	v_cmp_gt_f32_e32 vcc_lo, 0xf800000, v11
	v_cndmask_b32_e32 v11, v11, v24, vcc_lo
	v_sqrt_f32_e32 v24, v11
	v_add_nc_u32_e32 v25, -1, v24
	v_add_nc_u32_e32 v26, 1, v24
	v_fma_f32 v27, -v25, v24, v11
	v_fma_f32 v28, -v26, v24, v11
	v_cmp_ge_f32_e64 s4, 0, v27
	v_cndmask_b32_e64 v24, v24, v25, s4
	v_cmp_lt_f32_e64 s4, 0, v28
	v_cndmask_b32_e64 v24, v24, v26, s4
	v_mul_f32_e32 v25, 0x37800000, v24
	v_cndmask_b32_e32 v24, v24, v25, vcc_lo
	v_cmp_class_f32_e64 vcc_lo, v11, 0x260
	v_cndmask_b32_e32 v11, v24, v11, vcc_lo
	v_mul_f32_e32 v24, v10, v11
	s_or_b32 exec_lo, exec_lo, s48
	v_cmp_class_f32_e64 s48, v24, 0x1f8
	s_and_saveexec_b32 s4, s48
	s_cbranch_execz .LBB33_8
.LBB33_34:                              ;   in Loop: Header=BB33_9 Depth=3
	s_mov_b32 s48, 0
                                        ; implicit-def: $vgpr10_vgpr11
	s_and_saveexec_b32 s49, s3
	s_xor_b32 s3, exec_lo, s49
	s_cbranch_execnz .LBB33_37
; %bb.35:                               ;   in Loop: Header=BB33_9 Depth=3
	s_andn2_saveexec_b32 s3, s3
	s_cbranch_execnz .LBB33_50
.LBB33_36:                              ;   in Loop: Header=BB33_9 Depth=3
	s_or_b32 exec_lo, exec_lo, s3
	s_and_b32 exec_lo, exec_lo, s48
	s_cbranch_execz .LBB33_8
	s_branch .LBB33_59
.LBB33_37:                              ;   in Loop: Header=BB33_9 Depth=3
	s_mov_b32 s49, exec_lo
                                        ; implicit-def: $vgpr10_vgpr11
	v_cmpx_ge_i32_e64 v2, v6
	s_xor_b32 s49, exec_lo, s49
	s_cbranch_execz .LBB33_39
; %bb.38:                               ;   in Loop: Header=BB33_9 Depth=3
	v_lshlrev_b64 v[6:7], 3, v[6:7]
	s_mov_b32 s48, exec_lo
                                        ; implicit-def: $vgpr9
                                        ; implicit-def: $vgpr22
                                        ; implicit-def: $vgpr8
	v_add_co_u32 v10, vcc_lo, s38, v6
	v_add_co_ci_u32_e64 v11, null, s39, v7, vcc_lo
	global_store_dword v[10:11], v23, off
                                        ; implicit-def: $vgpr23
.LBB33_39:                              ;   in Loop: Header=BB33_9 Depth=3
	s_andn2_saveexec_b32 s49, s49
	s_cbranch_execz .LBB33_49
; %bb.40:                               ;   in Loop: Header=BB33_9 Depth=3
	s_mov_b32 s51, s48
	s_mov_b32 s50, exec_lo
                                        ; implicit-def: $vgpr10_vgpr11
	v_cmpx_lt_i32_e64 v9, v22
	s_cbranch_execz .LBB33_48
; %bb.41:                               ;   in Loop: Header=BB33_9 Depth=3
	s_mov_b32 s52, 0
                                        ; implicit-def: $sgpr51
                                        ; implicit-def: $sgpr54
                                        ; implicit-def: $sgpr53
	s_inst_prefetch 0x1
	s_branch .LBB33_43
	.p2align	6
.LBB33_42:                              ;   in Loop: Header=BB33_43 Depth=4
	s_or_b32 exec_lo, exec_lo, s55
	s_and_b32 s55, exec_lo, s54
	s_or_b32 s52, s55, s52
	s_andn2_b32 s51, s51, exec_lo
	s_and_b32 s55, s53, exec_lo
	s_or_b32 s51, s51, s55
	s_andn2_b32 exec_lo, exec_lo, s52
	s_cbranch_execz .LBB33_45
.LBB33_43:                              ;   Parent Loop BB33_3 Depth=1
                                        ;     Parent Loop BB33_5 Depth=2
                                        ;       Parent Loop BB33_9 Depth=3
                                        ; =>      This Inner Loop Header: Depth=4
	v_add_nc_u32_e32 v6, v8, v9
	s_or_b32 s53, s53, exec_lo
	s_or_b32 s54, s54, exec_lo
	s_mov_b32 s55, exec_lo
	v_ashrrev_i32_e32 v7, 31, v6
	v_lshlrev_b64 v[10:11], 2, v[6:7]
	v_add_co_u32 v10, vcc_lo, s12, v10
	v_add_co_ci_u32_e64 v11, null, s13, v11, vcc_lo
	global_load_dword v0, v[10:11], off
	s_waitcnt vmcnt(0)
	v_subrev_nc_u32_e32 v0, s44, v0
	v_cmpx_ne_u32_e64 v0, v2
	s_cbranch_execz .LBB33_42
; %bb.44:                               ;   in Loop: Header=BB33_43 Depth=4
	v_add_nc_u32_e32 v9, 1, v9
	s_andn2_b32 s54, s54, exec_lo
	s_andn2_b32 s53, s53, exec_lo
	v_cmp_ge_i32_e32 vcc_lo, v9, v22
	s_and_b32 s56, vcc_lo, exec_lo
	s_or_b32 s54, s54, s56
	s_branch .LBB33_42
.LBB33_45:                              ;   in Loop: Header=BB33_9 Depth=3
	s_inst_prefetch 0x2
	s_or_b32 exec_lo, exec_lo, s52
	s_mov_b32 s52, s48
                                        ; implicit-def: $vgpr10_vgpr11
	s_and_saveexec_b32 s53, s51
	s_xor_b32 s51, exec_lo, s53
	s_cbranch_execz .LBB33_47
; %bb.46:                               ;   in Loop: Header=BB33_9 Depth=3
	v_lshlrev_b64 v[6:7], 3, v[6:7]
	s_or_b32 s52, s48, exec_lo
	v_add_co_u32 v10, vcc_lo, s6, v6
	v_add_co_ci_u32_e64 v11, null, s7, v7, vcc_lo
	global_store_dword v[10:11], v23, off
.LBB33_47:                              ;   in Loop: Header=BB33_9 Depth=3
	s_or_b32 exec_lo, exec_lo, s51
	s_andn2_b32 s51, s48, exec_lo
	s_and_b32 s52, s52, exec_lo
	s_or_b32 s51, s51, s52
.LBB33_48:                              ;   in Loop: Header=BB33_9 Depth=3
	s_or_b32 exec_lo, exec_lo, s50
	s_andn2_b32 s48, s48, exec_lo
	s_and_b32 s50, s51, exec_lo
	s_or_b32 s48, s48, s50
.LBB33_49:                              ;   in Loop: Header=BB33_9 Depth=3
	s_or_b32 exec_lo, exec_lo, s49
	s_and_b32 s48, s48, exec_lo
                                        ; implicit-def: $vgpr23
                                        ; implicit-def: $vgpr6_vgpr7
	s_andn2_saveexec_b32 s3, s3
	s_cbranch_execz .LBB33_36
.LBB33_50:                              ;   in Loop: Header=BB33_9 Depth=3
	s_mov_b32 s50, s48
	s_mov_b32 s49, exec_lo
                                        ; implicit-def: $vgpr10_vgpr11
	v_cmpx_lt_i32_e64 v0, v17
	s_cbranch_execz .LBB33_58
; %bb.51:                               ;   in Loop: Header=BB33_9 Depth=3
	s_mov_b32 s51, 0
                                        ; implicit-def: $sgpr50
                                        ; implicit-def: $sgpr53
                                        ; implicit-def: $sgpr52
	s_inst_prefetch 0x1
	s_branch .LBB33_53
	.p2align	6
.LBB33_52:                              ;   in Loop: Header=BB33_53 Depth=4
	s_or_b32 exec_lo, exec_lo, s54
	s_and_b32 s54, exec_lo, s53
	s_or_b32 s51, s54, s51
	s_andn2_b32 s50, s50, exec_lo
	s_and_b32 s54, s52, exec_lo
	s_or_b32 s50, s50, s54
	s_andn2_b32 exec_lo, exec_lo, s51
	s_cbranch_execz .LBB33_55
.LBB33_53:                              ;   Parent Loop BB33_3 Depth=1
                                        ;     Parent Loop BB33_5 Depth=2
                                        ;       Parent Loop BB33_9 Depth=3
                                        ; =>      This Inner Loop Header: Depth=4
	v_add_nc_u32_e32 v7, v5, v0
	s_or_b32 s52, s52, exec_lo
	s_or_b32 s53, s53, exec_lo
	s_mov_b32 s54, exec_lo
	v_ashrrev_i32_e32 v8, 31, v7
	v_lshlrev_b64 v[9:10], 2, v[7:8]
	v_add_co_u32 v9, vcc_lo, s20, v9
	v_add_co_ci_u32_e64 v10, null, s21, v10, vcc_lo
	global_load_dword v9, v[9:10], off
	s_waitcnt vmcnt(0)
	v_subrev_nc_u32_e32 v9, s43, v9
	v_cmpx_ne_u32_e64 v9, v6
	s_cbranch_execz .LBB33_52
; %bb.54:                               ;   in Loop: Header=BB33_53 Depth=4
	v_add_nc_u32_e32 v0, 1, v0
	s_andn2_b32 s53, s53, exec_lo
	s_andn2_b32 s52, s52, exec_lo
	v_cmp_ge_i32_e32 vcc_lo, v0, v17
	s_and_b32 s55, vcc_lo, exec_lo
	s_or_b32 s53, s53, s55
	s_branch .LBB33_52
.LBB33_55:                              ;   in Loop: Header=BB33_9 Depth=3
	s_inst_prefetch 0x2
	s_or_b32 exec_lo, exec_lo, s51
	s_mov_b32 s51, s48
                                        ; implicit-def: $vgpr10_vgpr11
	s_and_saveexec_b32 s52, s50
	s_xor_b32 s50, exec_lo, s52
	s_cbranch_execz .LBB33_57
; %bb.56:                               ;   in Loop: Header=BB33_9 Depth=3
	v_lshlrev_b64 v[6:7], 3, v[7:8]
	s_or_b32 s51, s48, exec_lo
	v_add_co_u32 v10, vcc_lo, s40, v6
	v_add_co_ci_u32_e64 v11, null, s41, v7, vcc_lo
	global_store_dword v[10:11], v23, off
.LBB33_57:                              ;   in Loop: Header=BB33_9 Depth=3
	s_or_b32 exec_lo, exec_lo, s50
	s_andn2_b32 s50, s48, exec_lo
	s_and_b32 s51, s51, exec_lo
	s_or_b32 s50, s50, s51
.LBB33_58:                              ;   in Loop: Header=BB33_9 Depth=3
	s_or_b32 exec_lo, exec_lo, s49
	s_andn2_b32 s48, s48, exec_lo
	s_and_b32 s49, s50, exec_lo
	s_or_b32 s48, s48, s49
	s_or_b32 exec_lo, exec_lo, s3
	s_and_b32 exec_lo, exec_lo, s48
	s_cbranch_execz .LBB33_8
.LBB33_59:                              ;   in Loop: Header=BB33_9 Depth=3
	global_store_dword v[10:11], v4, off offset:4
	s_branch .LBB33_8
.LBB33_60:                              ;   in Loop: Header=BB33_3 Depth=1
	s_and_saveexec_b32 s3, s0
	s_cbranch_execz .LBB33_2
; %bb.61:                               ;   in Loop: Header=BB33_3 Depth=1
	v_mov_b32_e32 v2, v12
	s_mov_b32 s4, 0
	s_branch .LBB33_63
.LBB33_62:                              ;   in Loop: Header=BB33_63 Depth=2
	s_or_b32 exec_lo, exec_lo, s45
	v_add_nc_u32_e32 v2, 32, v2
	v_cmp_le_u32_e32 vcc_lo, s5, v2
	s_or_b32 s4, vcc_lo, s4
	s_andn2_b32 exec_lo, exec_lo, s4
	s_cbranch_execz .LBB33_2
.LBB33_63:                              ;   Parent Loop BB33_3 Depth=1
                                        ; =>  This Loop Header: Depth=2
                                        ;       Child Loop BB33_66 Depth 3
                                        ;       Child Loop BB33_69 Depth 3
	s_mov_b32 s45, exec_lo
	v_cmpx_gt_i32_e64 s35, v2
	s_cbranch_execz .LBB33_62
; %bb.64:                               ;   in Loop: Header=BB33_63 Depth=2
	v_ashrrev_i32_e32 v3, 31, v2
	s_mov_b32 s46, exec_lo
	v_lshlrev_b64 v[4:5], 2, v[2:3]
	v_add_co_u32 v6, vcc_lo, s16, v4
	v_add_co_ci_u32_e64 v7, null, s17, v5, vcc_lo
	v_add_co_u32 v8, vcc_lo, s18, v4
	v_add_co_ci_u32_e64 v9, null, s19, v5, vcc_lo
	global_load_dword v0, v[6:7], off
	global_load_dword v7, v[8:9], off
	s_waitcnt vmcnt(1)
	v_add_nc_u32_e32 v6, v14, v0
	s_waitcnt vmcnt(0)
	v_subrev_nc_u32_e32 v0, s43, v7
	v_cmpx_lt_i32_e64 v6, v0
	s_cbranch_execz .LBB33_67
; %bb.65:                               ;   in Loop: Header=BB33_63 Depth=2
	v_ashrrev_i32_e32 v7, 31, v6
	s_mov_b32 s47, 0
	v_lshlrev_b64 v[9:10], 3, v[6:7]
	v_add_co_u32 v7, vcc_lo, s40, v9
	v_add_co_ci_u32_e64 v8, null, s41, v10, vcc_lo
	v_add_co_u32 v9, vcc_lo, s22, v9
	v_add_co_ci_u32_e64 v10, null, s23, v10, vcc_lo
	.p2align	6
.LBB33_66:                              ;   Parent Loop BB33_3 Depth=1
                                        ;     Parent Loop BB33_63 Depth=2
                                        ; =>    This Inner Loop Header: Depth=3
	global_load_dwordx2 v[16:17], v[7:8], off
	v_add_nc_u32_e32 v6, 32, v6
	v_add_co_u32 v7, vcc_lo, 0x100, v7
	v_add_co_ci_u32_e64 v8, null, 0, v8, vcc_lo
	v_cmp_ge_i32_e32 vcc_lo, v6, v0
	s_or_b32 s47, vcc_lo, s47
	s_waitcnt vmcnt(0)
	global_store_dwordx2 v[9:10], v[16:17], off
	v_add_co_u32 v9, s2, 0x100, v9
	v_add_co_ci_u32_e64 v10, null, 0, v10, s2
	s_andn2_b32 exec_lo, exec_lo, s47
	s_cbranch_execnz .LBB33_66
.LBB33_67:                              ;   in Loop: Header=BB33_63 Depth=2
	s_or_b32 exec_lo, exec_lo, s46
	v_add_co_u32 v6, vcc_lo, s8, v4
	v_add_co_ci_u32_e64 v7, null, s9, v5, vcc_lo
	v_add_co_u32 v4, vcc_lo, s10, v4
	v_add_co_ci_u32_e64 v5, null, s11, v5, vcc_lo
	global_load_dword v0, v[6:7], off
	global_load_dword v5, v[4:5], off
	s_mov_b32 s46, exec_lo
	s_waitcnt vmcnt(1)
	v_add_nc_u32_e32 v4, v15, v0
	s_waitcnt vmcnt(0)
	v_subrev_nc_u32_e32 v0, s44, v5
	v_cmpx_lt_i32_e64 v4, v0
	s_cbranch_execz .LBB33_70
; %bb.68:                               ;   in Loop: Header=BB33_63 Depth=2
	v_ashrrev_i32_e32 v5, 31, v4
	s_mov_b32 s47, 0
	v_lshlrev_b64 v[7:8], 3, v[4:5]
	v_add_co_u32 v5, vcc_lo, s6, v7
	v_add_co_ci_u32_e64 v6, null, s7, v8, vcc_lo
	v_add_co_u32 v7, vcc_lo, s14, v7
	v_add_co_ci_u32_e64 v8, null, s15, v8, vcc_lo
	.p2align	6
.LBB33_69:                              ;   Parent Loop BB33_3 Depth=1
                                        ;     Parent Loop BB33_63 Depth=2
                                        ; =>    This Inner Loop Header: Depth=3
	global_load_dwordx2 v[9:10], v[5:6], off
	v_add_nc_u32_e32 v4, 32, v4
	v_add_co_u32 v5, vcc_lo, 0x100, v5
	v_add_co_ci_u32_e64 v6, null, 0, v6, vcc_lo
	v_cmp_ge_i32_e32 vcc_lo, v4, v0
	s_or_b32 s47, vcc_lo, s47
	s_waitcnt vmcnt(0)
	global_store_dwordx2 v[7:8], v[9:10], off
	v_add_co_u32 v7, s2, 0x100, v7
	v_add_co_ci_u32_e64 v8, null, 0, v8, s2
	s_andn2_b32 exec_lo, exec_lo, s47
	s_cbranch_execnz .LBB33_69
.LBB33_70:                              ;   in Loop: Header=BB33_63 Depth=2
	s_or_b32 exec_lo, exec_lo, s46
	s_and_b32 exec_lo, exec_lo, s1
	s_cbranch_execz .LBB33_62
; %bb.71:                               ;   in Loop: Header=BB33_63 Depth=2
	v_lshlrev_b64 v[3:4], 3, v[2:3]
	v_add_co_u32 v5, vcc_lo, s38, v3
	v_add_co_ci_u32_e64 v6, null, s39, v4, vcc_lo
	v_add_co_u32 v3, vcc_lo, s36, v3
	v_add_co_ci_u32_e64 v4, null, s37, v4, vcc_lo
	global_load_dwordx2 v[5:6], v[5:6], off
	s_waitcnt vmcnt(0)
	global_store_dwordx2 v[3:4], v[5:6], off
	s_branch .LBB33_62
.LBB33_72:
	s_endpgm
	.section	.rodata,"a",@progbits
	.p2align	6, 0x0
	.amdhsa_kernel _ZN9rocsparseL14kernel_freerunILi1024ELi32E21rocsparse_complex_numIfEiiEEvT3_S3_T2_PKS4_S6_PKS3_PKT1_21rocsparse_index_base_S6_S6_S8_PS9_SD_SC_S6_S6_S8_SD_SD_SC_SD_SD_
		.amdhsa_group_segment_fixed_size 0
		.amdhsa_private_segment_fixed_size 0
		.amdhsa_kernarg_size 168
		.amdhsa_user_sgpr_count 6
		.amdhsa_user_sgpr_private_segment_buffer 1
		.amdhsa_user_sgpr_dispatch_ptr 0
		.amdhsa_user_sgpr_queue_ptr 0
		.amdhsa_user_sgpr_kernarg_segment_ptr 1
		.amdhsa_user_sgpr_dispatch_id 0
		.amdhsa_user_sgpr_flat_scratch_init 0
		.amdhsa_user_sgpr_private_segment_size 0
		.amdhsa_wavefront_size32 1
		.amdhsa_uses_dynamic_stack 0
		.amdhsa_system_sgpr_private_segment_wavefront_offset 0
		.amdhsa_system_sgpr_workgroup_id_x 1
		.amdhsa_system_sgpr_workgroup_id_y 0
		.amdhsa_system_sgpr_workgroup_id_z 0
		.amdhsa_system_sgpr_workgroup_info 0
		.amdhsa_system_vgpr_workitem_id 0
		.amdhsa_next_free_vgpr 34
		.amdhsa_next_free_sgpr 57
		.amdhsa_reserve_vcc 1
		.amdhsa_reserve_flat_scratch 0
		.amdhsa_float_round_mode_32 0
		.amdhsa_float_round_mode_16_64 0
		.amdhsa_float_denorm_mode_32 3
		.amdhsa_float_denorm_mode_16_64 3
		.amdhsa_dx10_clamp 1
		.amdhsa_ieee_mode 1
		.amdhsa_fp16_overflow 0
		.amdhsa_workgroup_processor_mode 1
		.amdhsa_memory_ordered 1
		.amdhsa_forward_progress 1
		.amdhsa_shared_vgpr_count 0
		.amdhsa_exception_fp_ieee_invalid_op 0
		.amdhsa_exception_fp_denorm_src 0
		.amdhsa_exception_fp_ieee_div_zero 0
		.amdhsa_exception_fp_ieee_overflow 0
		.amdhsa_exception_fp_ieee_underflow 0
		.amdhsa_exception_fp_ieee_inexact 0
		.amdhsa_exception_int_div_zero 0
	.end_amdhsa_kernel
	.section	.text._ZN9rocsparseL14kernel_freerunILi1024ELi32E21rocsparse_complex_numIfEiiEEvT3_S3_T2_PKS4_S6_PKS3_PKT1_21rocsparse_index_base_S6_S6_S8_PS9_SD_SC_S6_S6_S8_SD_SD_SC_SD_SD_,"axG",@progbits,_ZN9rocsparseL14kernel_freerunILi1024ELi32E21rocsparse_complex_numIfEiiEEvT3_S3_T2_PKS4_S6_PKS3_PKT1_21rocsparse_index_base_S6_S6_S8_PS9_SD_SC_S6_S6_S8_SD_SD_SC_SD_SD_,comdat
.Lfunc_end33:
	.size	_ZN9rocsparseL14kernel_freerunILi1024ELi32E21rocsparse_complex_numIfEiiEEvT3_S3_T2_PKS4_S6_PKS3_PKT1_21rocsparse_index_base_S6_S6_S8_PS9_SD_SC_S6_S6_S8_SD_SD_SC_SD_SD_, .Lfunc_end33-_ZN9rocsparseL14kernel_freerunILi1024ELi32E21rocsparse_complex_numIfEiiEEvT3_S3_T2_PKS4_S6_PKS3_PKT1_21rocsparse_index_base_S6_S6_S8_PS9_SD_SC_S6_S6_S8_SD_SD_SC_SD_SD_
                                        ; -- End function
	.set _ZN9rocsparseL14kernel_freerunILi1024ELi32E21rocsparse_complex_numIfEiiEEvT3_S3_T2_PKS4_S6_PKS3_PKT1_21rocsparse_index_base_S6_S6_S8_PS9_SD_SC_S6_S6_S8_SD_SD_SC_SD_SD_.num_vgpr, 34
	.set _ZN9rocsparseL14kernel_freerunILi1024ELi32E21rocsparse_complex_numIfEiiEEvT3_S3_T2_PKS4_S6_PKS3_PKT1_21rocsparse_index_base_S6_S6_S8_PS9_SD_SC_S6_S6_S8_SD_SD_SC_SD_SD_.num_agpr, 0
	.set _ZN9rocsparseL14kernel_freerunILi1024ELi32E21rocsparse_complex_numIfEiiEEvT3_S3_T2_PKS4_S6_PKS3_PKT1_21rocsparse_index_base_S6_S6_S8_PS9_SD_SC_S6_S6_S8_SD_SD_SC_SD_SD_.numbered_sgpr, 57
	.set _ZN9rocsparseL14kernel_freerunILi1024ELi32E21rocsparse_complex_numIfEiiEEvT3_S3_T2_PKS4_S6_PKS3_PKT1_21rocsparse_index_base_S6_S6_S8_PS9_SD_SC_S6_S6_S8_SD_SD_SC_SD_SD_.num_named_barrier, 0
	.set _ZN9rocsparseL14kernel_freerunILi1024ELi32E21rocsparse_complex_numIfEiiEEvT3_S3_T2_PKS4_S6_PKS3_PKT1_21rocsparse_index_base_S6_S6_S8_PS9_SD_SC_S6_S6_S8_SD_SD_SC_SD_SD_.private_seg_size, 0
	.set _ZN9rocsparseL14kernel_freerunILi1024ELi32E21rocsparse_complex_numIfEiiEEvT3_S3_T2_PKS4_S6_PKS3_PKT1_21rocsparse_index_base_S6_S6_S8_PS9_SD_SC_S6_S6_S8_SD_SD_SC_SD_SD_.uses_vcc, 1
	.set _ZN9rocsparseL14kernel_freerunILi1024ELi32E21rocsparse_complex_numIfEiiEEvT3_S3_T2_PKS4_S6_PKS3_PKT1_21rocsparse_index_base_S6_S6_S8_PS9_SD_SC_S6_S6_S8_SD_SD_SC_SD_SD_.uses_flat_scratch, 0
	.set _ZN9rocsparseL14kernel_freerunILi1024ELi32E21rocsparse_complex_numIfEiiEEvT3_S3_T2_PKS4_S6_PKS3_PKT1_21rocsparse_index_base_S6_S6_S8_PS9_SD_SC_S6_S6_S8_SD_SD_SC_SD_SD_.has_dyn_sized_stack, 0
	.set _ZN9rocsparseL14kernel_freerunILi1024ELi32E21rocsparse_complex_numIfEiiEEvT3_S3_T2_PKS4_S6_PKS3_PKT1_21rocsparse_index_base_S6_S6_S8_PS9_SD_SC_S6_S6_S8_SD_SD_SC_SD_SD_.has_recursion, 0
	.set _ZN9rocsparseL14kernel_freerunILi1024ELi32E21rocsparse_complex_numIfEiiEEvT3_S3_T2_PKS4_S6_PKS3_PKT1_21rocsparse_index_base_S6_S6_S8_PS9_SD_SC_S6_S6_S8_SD_SD_SC_SD_SD_.has_indirect_call, 0
	.section	.AMDGPU.csdata,"",@progbits
; Kernel info:
; codeLenInByte = 3552
; TotalNumSgprs: 59
; NumVgprs: 34
; ScratchSize: 0
; MemoryBound: 0
; FloatMode: 240
; IeeeMode: 1
; LDSByteSize: 0 bytes/workgroup (compile time only)
; SGPRBlocks: 0
; VGPRBlocks: 4
; NumSGPRsForWavesPerEU: 59
; NumVGPRsForWavesPerEU: 34
; Occupancy: 16
; WaveLimiterHint : 1
; COMPUTE_PGM_RSRC2:SCRATCH_EN: 0
; COMPUTE_PGM_RSRC2:USER_SGPR: 6
; COMPUTE_PGM_RSRC2:TRAP_HANDLER: 0
; COMPUTE_PGM_RSRC2:TGID_X_EN: 1
; COMPUTE_PGM_RSRC2:TGID_Y_EN: 0
; COMPUTE_PGM_RSRC2:TGID_Z_EN: 0
; COMPUTE_PGM_RSRC2:TIDIG_COMP_CNT: 0
	.section	.text._ZN9rocsparseL14kernel_freerunILi1024ELi64E21rocsparse_complex_numIfEiiEEvT3_S3_T2_PKS4_S6_PKS3_PKT1_21rocsparse_index_base_S6_S6_S8_PS9_SD_SC_S6_S6_S8_SD_SD_SC_SD_SD_,"axG",@progbits,_ZN9rocsparseL14kernel_freerunILi1024ELi64E21rocsparse_complex_numIfEiiEEvT3_S3_T2_PKS4_S6_PKS3_PKT1_21rocsparse_index_base_S6_S6_S8_PS9_SD_SC_S6_S6_S8_SD_SD_SC_SD_SD_,comdat
	.globl	_ZN9rocsparseL14kernel_freerunILi1024ELi64E21rocsparse_complex_numIfEiiEEvT3_S3_T2_PKS4_S6_PKS3_PKT1_21rocsparse_index_base_S6_S6_S8_PS9_SD_SC_S6_S6_S8_SD_SD_SC_SD_SD_ ; -- Begin function _ZN9rocsparseL14kernel_freerunILi1024ELi64E21rocsparse_complex_numIfEiiEEvT3_S3_T2_PKS4_S6_PKS3_PKT1_21rocsparse_index_base_S6_S6_S8_PS9_SD_SC_S6_S6_S8_SD_SD_SC_SD_SD_
	.p2align	8
	.type	_ZN9rocsparseL14kernel_freerunILi1024ELi64E21rocsparse_complex_numIfEiiEEvT3_S3_T2_PKS4_S6_PKS3_PKT1_21rocsparse_index_base_S6_S6_S8_PS9_SD_SC_S6_S6_S8_SD_SD_SC_SD_SD_,@function
_ZN9rocsparseL14kernel_freerunILi1024ELi64E21rocsparse_complex_numIfEiiEEvT3_S3_T2_PKS4_S6_PKS3_PKT1_21rocsparse_index_base_S6_S6_S8_PS9_SD_SC_S6_S6_S8_SD_SD_SC_SD_SD_: ; @_ZN9rocsparseL14kernel_freerunILi1024ELi64E21rocsparse_complex_numIfEiiEEvT3_S3_T2_PKS4_S6_PKS3_PKT1_21rocsparse_index_base_S6_S6_S8_PS9_SD_SC_S6_S6_S8_SD_SD_SC_SD_SD_
; %bb.0:
	s_load_dwordx2 s[34:35], s[4:5], 0x0
	v_lshrrev_b32_e32 v1, 6, v0
	s_lshl_b32 s0, s6, 10
	s_mov_b32 s33, 0
	v_or_b32_e32 v12, s0, v1
	s_waitcnt lgkmcnt(0)
	v_cmp_gt_i32_e32 vcc_lo, s35, v12
	s_cmp_gt_i32 s34, 0
	s_cselect_b32 s1, -1, 0
	s_and_b32 s1, vcc_lo, s1
	s_and_saveexec_b32 s2, s1
	s_cbranch_execz .LBB34_72
; %bb.1:
	s_clause 0x8
	s_load_dword s42, s[4:5], 0x30
	s_load_dword s43, s[4:5], 0x60
	;; [unrolled: 1-line block ×3, first 2 shown]
	s_load_dwordx2 s[6:7], s[4:5], 0x88
	s_load_dwordx2 s[40:41], s[4:5], 0x58
	s_load_dwordx4 s[36:39], s[4:5], 0x98
	s_load_dwordx8 s[8:15], s[4:5], 0x68
	s_load_dwordx8 s[16:23], s[4:5], 0x38
	;; [unrolled: 1-line block ×3, first 2 shown]
	v_and_b32_e32 v0, 63, v0
	s_add_i32 s5, s0, 0x400
	v_mov_b32_e32 v1, 0
	v_cmp_gt_u32_e64 s0, s5, v12
	v_cmp_eq_u32_e64 s1, 0, v0
	s_waitcnt lgkmcnt(0)
	v_subrev_nc_u32_e32 v13, s42, v0
	v_subrev_nc_u32_e32 v14, s43, v0
	;; [unrolled: 1-line block ×3, first 2 shown]
	s_branch .LBB34_3
.LBB34_2:                               ;   in Loop: Header=BB34_3 Depth=1
	s_or_b32 exec_lo, exec_lo, s3
	s_add_i32 s33, s33, 1
	s_cmp_eq_u32 s33, s34
	s_cbranch_scc1 .LBB34_72
.LBB34_3:                               ; =>This Loop Header: Depth=1
                                        ;     Child Loop BB34_5 Depth 2
                                        ;       Child Loop BB34_9 Depth 3
                                        ;         Child Loop BB34_13 Depth 4
                                        ;         Child Loop BB34_43 Depth 4
	;; [unrolled: 1-line block ×3, first 2 shown]
                                        ;     Child Loop BB34_63 Depth 2
                                        ;       Child Loop BB34_66 Depth 3
                                        ;       Child Loop BB34_69 Depth 3
	s_mov_b32 s45, 0
	s_branch .LBB34_5
.LBB34_4:                               ;   in Loop: Header=BB34_5 Depth=2
	s_or_b32 exec_lo, exec_lo, s46
	s_add_i32 s45, s45, 1
	s_cmp_eq_u32 s45, 64
	s_cbranch_scc1 .LBB34_60
.LBB34_5:                               ;   Parent Loop BB34_3 Depth=1
                                        ; =>  This Loop Header: Depth=2
                                        ;       Child Loop BB34_9 Depth 3
                                        ;         Child Loop BB34_13 Depth 4
                                        ;         Child Loop BB34_43 Depth 4
	;; [unrolled: 1-line block ×3, first 2 shown]
	v_lshl_add_u32 v2, s45, 4, v12
	s_mov_b32 s46, exec_lo
	v_cmpx_gt_i32_e64 s35, v2
	s_cbranch_execz .LBB34_4
; %bb.6:                                ;   in Loop: Header=BB34_5 Depth=2
	v_ashrrev_i32_e32 v3, 31, v2
	v_lshlrev_b64 v[4:5], 2, v[2:3]
	v_add_co_u32 v6, vcc_lo, s24, v4
	v_add_co_ci_u32_e64 v7, null, s25, v5, vcc_lo
	v_add_co_u32 v8, vcc_lo, s26, v4
	v_add_co_ci_u32_e64 v9, null, s27, v5, vcc_lo
	global_load_dword v0, v[6:7], off
	global_load_dword v6, v[8:9], off
	s_waitcnt vmcnt(1)
	v_add_nc_u32_e32 v3, v13, v0
	s_waitcnt vmcnt(0)
	v_subrev_nc_u32_e32 v16, s42, v6
	v_cmp_lt_i32_e32 vcc_lo, v3, v16
	s_and_b32 exec_lo, exec_lo, vcc_lo
	s_cbranch_execz .LBB34_4
; %bb.7:                                ;   in Loop: Header=BB34_5 Depth=2
	v_add_co_u32 v6, vcc_lo, s16, v4
	v_add_co_ci_u32_e64 v7, null, s17, v5, vcc_lo
	v_add_co_u32 v4, vcc_lo, s18, v4
	v_add_co_ci_u32_e64 v5, null, s19, v5, vcc_lo
	global_load_dword v0, v[6:7], off
	s_mov_b32 s47, 0
	global_load_dword v4, v[4:5], off
	s_waitcnt vmcnt(1)
	v_subrev_nc_u32_e32 v5, s43, v0
	s_waitcnt vmcnt(0)
	v_sub_nc_u32_e32 v17, v4, v0
	v_ashrrev_i32_e32 v6, 31, v5
	v_cmp_lt_i32_e64 s2, 0, v17
	v_lshlrev_b64 v[7:8], 2, v[5:6]
	v_lshlrev_b64 v[9:10], 3, v[5:6]
	v_add_co_u32 v18, vcc_lo, s20, v7
	v_add_co_ci_u32_e64 v19, null, s21, v8, vcc_lo
	v_add_co_u32 v20, vcc_lo, s22, v9
	v_add_co_ci_u32_e64 v21, null, s23, v10, vcc_lo
	s_branch .LBB34_9
.LBB34_8:                               ;   in Loop: Header=BB34_9 Depth=3
	s_or_b32 exec_lo, exec_lo, s4
	v_add_nc_u32_e32 v3, 64, v3
	v_cmp_ge_i32_e32 vcc_lo, v3, v16
	s_or_b32 s47, vcc_lo, s47
	s_andn2_b32 exec_lo, exec_lo, s47
	s_cbranch_execz .LBB34_4
.LBB34_9:                               ;   Parent Loop BB34_3 Depth=1
                                        ;     Parent Loop BB34_5 Depth=2
                                        ; =>    This Loop Header: Depth=3
                                        ;         Child Loop BB34_13 Depth 4
                                        ;         Child Loop BB34_43 Depth 4
	;; [unrolled: 1-line block ×3, first 2 shown]
	v_ashrrev_i32_e32 v4, 31, v3
	v_mov_b32_e32 v24, 0
	v_lshlrev_b64 v[6:7], 2, v[3:4]
	v_add_co_u32 v6, vcc_lo, s28, v6
	v_add_co_ci_u32_e64 v7, null, s29, v7, vcc_lo
	global_load_dword v0, v[6:7], off
	s_waitcnt vmcnt(0)
	v_subrev_nc_u32_e32 v6, s42, v0
	v_mov_b32_e32 v0, 0
	v_ashrrev_i32_e32 v7, 31, v6
	v_lshlrev_b64 v[8:9], 2, v[6:7]
	v_add_co_u32 v10, vcc_lo, s8, v8
	v_add_co_ci_u32_e64 v11, null, s9, v9, vcc_lo
	v_add_co_u32 v8, vcc_lo, s10, v8
	v_add_co_ci_u32_e64 v9, null, s11, v9, vcc_lo
	global_load_dword v10, v[10:11], off
	global_load_dword v9, v[8:9], off
	v_mov_b32_e32 v11, 0
	s_waitcnt vmcnt(1)
	v_subrev_nc_u32_e32 v8, s44, v10
	s_waitcnt vmcnt(0)
	v_sub_nc_u32_e32 v22, v9, v10
	v_mov_b32_e32 v9, v0
	s_and_saveexec_b32 s4, s2
	s_cbranch_execz .LBB34_17
; %bb.10:                               ;   in Loop: Header=BB34_9 Depth=3
	v_ashrrev_i32_e32 v9, 31, v8
	v_mov_b32_e32 v11, 0
	v_mov_b32_e32 v0, 0
	s_mov_b32 s48, 0
                                        ; implicit-def: $sgpr49
	v_lshlrev_b64 v[23:24], 2, v[8:9]
	v_lshlrev_b64 v[9:10], 3, v[8:9]
	v_add_co_u32 v23, vcc_lo, s12, v23
	v_add_co_ci_u32_e64 v25, null, s13, v24, vcc_lo
	v_add_co_u32 v26, vcc_lo, s14, v9
	v_add_co_ci_u32_e64 v27, null, s15, v10, vcc_lo
	v_mov_b32_e32 v9, 0
	v_mov_b32_e32 v24, 0
	s_branch .LBB34_13
.LBB34_11:                              ;   in Loop: Header=BB34_13 Depth=4
	s_or_b32 exec_lo, exec_lo, s3
	v_cmp_le_i32_e32 vcc_lo, v28, v29
	v_cmp_ge_i32_e64 s3, v28, v29
	v_add_co_ci_u32_e64 v0, null, 0, v0, vcc_lo
	v_add_co_ci_u32_e64 v9, null, 0, v9, s3
	s_andn2_b32 s3, s49, exec_lo
	v_cmp_ge_i32_e32 vcc_lo, v0, v17
	s_and_b32 s49, vcc_lo, exec_lo
	s_or_b32 s49, s3, s49
.LBB34_12:                              ;   in Loop: Header=BB34_13 Depth=4
	s_or_b32 exec_lo, exec_lo, s50
	s_and_b32 s3, exec_lo, s49
	s_or_b32 s48, s3, s48
	s_andn2_b32 exec_lo, exec_lo, s48
	s_cbranch_execz .LBB34_16
.LBB34_13:                              ;   Parent Loop BB34_3 Depth=1
                                        ;     Parent Loop BB34_5 Depth=2
                                        ;       Parent Loop BB34_9 Depth=3
                                        ; =>      This Inner Loop Header: Depth=4
	s_or_b32 s49, s49, exec_lo
	s_mov_b32 s50, exec_lo
	v_cmpx_lt_i32_e64 v9, v22
	s_cbranch_execz .LBB34_12
; %bb.14:                               ;   in Loop: Header=BB34_13 Depth=4
	v_mov_b32_e32 v10, v1
	v_lshlrev_b64 v[28:29], 2, v[0:1]
	s_mov_b32 s3, exec_lo
	v_lshlrev_b64 v[30:31], 2, v[9:10]
	v_add_co_u32 v28, vcc_lo, v18, v28
	v_add_co_ci_u32_e64 v29, null, v19, v29, vcc_lo
	v_add_co_u32 v30, vcc_lo, v23, v30
	v_add_co_ci_u32_e64 v31, null, v25, v31, vcc_lo
	global_load_dword v28, v[28:29], off
	global_load_dword v29, v[30:31], off
	s_waitcnt vmcnt(1)
	v_subrev_nc_u32_e32 v28, s43, v28
	s_waitcnt vmcnt(0)
	v_subrev_nc_u32_e32 v29, s44, v29
	v_cmpx_eq_u32_e64 v28, v29
	s_cbranch_execz .LBB34_11
; %bb.15:                               ;   in Loop: Header=BB34_13 Depth=4
	v_lshlrev_b64 v[30:31], 3, v[0:1]
	v_lshlrev_b64 v[32:33], 3, v[9:10]
	v_add_co_u32 v30, vcc_lo, v20, v30
	v_add_co_ci_u32_e64 v31, null, v21, v31, vcc_lo
	v_add_co_u32 v32, vcc_lo, v26, v32
	v_add_co_ci_u32_e64 v33, null, v27, v33, vcc_lo
	global_load_dwordx2 v[30:31], v[30:31], off
	global_load_dwordx2 v[32:33], v[32:33], off
	s_waitcnt vmcnt(0)
	v_fmac_f32_e32 v11, v30, v32
	v_fmac_f32_e32 v24, v31, v32
	v_fma_f32 v11, -v31, v33, v11
	v_fmac_f32_e32 v24, v30, v33
	s_branch .LBB34_11
.LBB34_16:                              ;   in Loop: Header=BB34_9 Depth=3
	s_or_b32 exec_lo, exec_lo, s48
.LBB34_17:                              ;   in Loop: Header=BB34_9 Depth=3
	s_or_b32 exec_lo, exec_lo, s4
	v_lshlrev_b64 v[25:26], 3, v[3:4]
	v_cmp_le_i32_e64 s3, v2, v6
	s_mov_b32 s48, exec_lo
	v_add_co_u32 v25, vcc_lo, s30, v25
	v_add_co_ci_u32_e64 v26, null, s31, v26, vcc_lo
	global_load_dwordx2 v[25:26], v[25:26], off
	s_waitcnt vmcnt(0)
	v_sub_f32_e32 v23, v25, v11
	v_sub_f32_e32 v4, v26, v24
	v_cmpx_gt_i32_e64 v2, v6
	s_cbranch_execz .LBB34_27
; %bb.18:                               ;   in Loop: Header=BB34_9 Depth=3
	v_lshlrev_b64 v[10:11], 3, v[6:7]
                                        ; implicit-def: $vgpr26
	s_mov_b32 s4, exec_lo
	v_add_co_u32 v10, vcc_lo, s36, v10
	v_add_co_ci_u32_e64 v11, null, s37, v11, vcc_lo
	global_load_dwordx2 v[10:11], v[10:11], off
	s_waitcnt vmcnt(0)
	v_cmp_gt_f32_e32 vcc_lo, 0, v10
	v_cndmask_b32_e64 v24, v10, -v10, vcc_lo
	v_cmp_gt_f32_e32 vcc_lo, 0, v11
	v_cndmask_b32_e64 v25, v11, -v11, vcc_lo
	v_cmpx_ngt_f32_e32 v24, v25
	s_xor_b32 s49, exec_lo, s4
	s_cbranch_execz .LBB34_22
; %bb.19:                               ;   in Loop: Header=BB34_9 Depth=3
	v_mov_b32_e32 v26, 0
	s_mov_b32 s50, exec_lo
	v_cmpx_neq_f32_e32 0, v11
	s_cbranch_execz .LBB34_21
; %bb.20:                               ;   in Loop: Header=BB34_9 Depth=3
	v_div_scale_f32 v26, null, v25, v25, v24
	v_div_scale_f32 v29, vcc_lo, v24, v25, v24
	v_rcp_f32_e32 v27, v26
	v_fma_f32 v28, -v26, v27, 1.0
	v_fmac_f32_e32 v27, v28, v27
	v_mul_f32_e32 v28, v29, v27
	v_fma_f32 v30, -v26, v28, v29
	v_fmac_f32_e32 v28, v30, v27
	v_fma_f32 v26, -v26, v28, v29
	v_div_fmas_f32 v26, v26, v27, v28
	v_div_fixup_f32 v24, v26, v25, v24
	v_fma_f32 v24, v24, v24, 1.0
	v_mul_f32_e32 v26, 0x4f800000, v24
	v_cmp_gt_f32_e32 vcc_lo, 0xf800000, v24
	v_cndmask_b32_e32 v24, v24, v26, vcc_lo
	v_sqrt_f32_e32 v26, v24
	v_add_nc_u32_e32 v27, -1, v26
	v_add_nc_u32_e32 v28, 1, v26
	v_fma_f32 v29, -v27, v26, v24
	v_fma_f32 v30, -v28, v26, v24
	v_cmp_ge_f32_e64 s4, 0, v29
	v_cndmask_b32_e64 v26, v26, v27, s4
	v_cmp_lt_f32_e64 s4, 0, v30
	v_cndmask_b32_e64 v26, v26, v28, s4
	v_mul_f32_e32 v27, 0x37800000, v26
	v_cndmask_b32_e32 v26, v26, v27, vcc_lo
	v_cmp_class_f32_e64 vcc_lo, v24, 0x260
	v_cndmask_b32_e32 v24, v26, v24, vcc_lo
	v_mul_f32_e32 v26, v25, v24
.LBB34_21:                              ;   in Loop: Header=BB34_9 Depth=3
	s_or_b32 exec_lo, exec_lo, s50
                                        ; implicit-def: $vgpr24
                                        ; implicit-def: $vgpr25
.LBB34_22:                              ;   in Loop: Header=BB34_9 Depth=3
	s_andn2_saveexec_b32 s49, s49
	s_cbranch_execz .LBB34_24
; %bb.23:                               ;   in Loop: Header=BB34_9 Depth=3
	v_div_scale_f32 v26, null, v24, v24, v25
	v_div_scale_f32 v29, vcc_lo, v25, v24, v25
	v_rcp_f32_e32 v27, v26
	v_fma_f32 v28, -v26, v27, 1.0
	v_fmac_f32_e32 v27, v28, v27
	v_mul_f32_e32 v28, v29, v27
	v_fma_f32 v30, -v26, v28, v29
	v_fmac_f32_e32 v28, v30, v27
	v_fma_f32 v26, -v26, v28, v29
	v_div_fmas_f32 v26, v26, v27, v28
	v_div_fixup_f32 v25, v26, v24, v25
	v_fma_f32 v25, v25, v25, 1.0
	v_mul_f32_e32 v26, 0x4f800000, v25
	v_cmp_gt_f32_e32 vcc_lo, 0xf800000, v25
	v_cndmask_b32_e32 v25, v25, v26, vcc_lo
	v_sqrt_f32_e32 v26, v25
	v_add_nc_u32_e32 v27, -1, v26
	v_add_nc_u32_e32 v28, 1, v26
	v_fma_f32 v29, -v27, v26, v25
	v_fma_f32 v30, -v28, v26, v25
	v_cmp_ge_f32_e64 s4, 0, v29
	v_cndmask_b32_e64 v26, v26, v27, s4
	v_cmp_lt_f32_e64 s4, 0, v30
	v_cndmask_b32_e64 v26, v26, v28, s4
	v_mul_f32_e32 v27, 0x37800000, v26
	v_cndmask_b32_e32 v26, v26, v27, vcc_lo
	v_cmp_class_f32_e64 vcc_lo, v25, 0x260
	v_cndmask_b32_e32 v25, v26, v25, vcc_lo
	v_mul_f32_e32 v26, v24, v25
.LBB34_24:                              ;   in Loop: Header=BB34_9 Depth=3
	s_or_b32 exec_lo, exec_lo, s49
	v_mov_b32_e32 v24, 0
	v_mov_b32_e32 v25, 0
	s_mov_b32 s4, exec_lo
	v_cmpx_lt_f32_e32 0, v26
	s_cbranch_execz .LBB34_26
; %bb.25:                               ;   in Loop: Header=BB34_9 Depth=3
	v_mul_f32_e32 v24, v11, v11
	v_fmac_f32_e32 v24, v10, v10
	v_div_scale_f32 v25, null, v24, v24, 1.0
	v_div_scale_f32 v28, vcc_lo, 1.0, v24, 1.0
	v_rcp_f32_e32 v26, v25
	v_fma_f32 v27, -v25, v26, 1.0
	v_fmac_f32_e32 v26, v27, v26
	v_mul_f32_e32 v27, v28, v26
	v_fma_f32 v29, -v25, v27, v28
	v_fmac_f32_e32 v27, v29, v26
	v_fma_f32 v25, -v25, v27, v28
	v_mul_f32_e32 v28, v4, v11
	v_mul_f32_e64 v11, v11, -v23
	v_div_fmas_f32 v25, v25, v26, v27
	v_fmac_f32_e32 v28, v23, v10
	v_fmac_f32_e32 v11, v4, v10
	v_div_fixup_f32 v23, v25, v24, 1.0
	v_mul_f32_e32 v24, v28, v23
	v_mul_f32_e32 v25, v11, v23
.LBB34_26:                              ;   in Loop: Header=BB34_9 Depth=3
	s_or_b32 exec_lo, exec_lo, s4
	v_mov_b32_e32 v23, v24
	v_mov_b32_e32 v4, v25
.LBB34_27:                              ;   in Loop: Header=BB34_9 Depth=3
	s_or_b32 exec_lo, exec_lo, s48
	v_cmp_gt_f32_e32 vcc_lo, 0, v23
                                        ; implicit-def: $vgpr24
	s_mov_b32 s4, exec_lo
	v_cndmask_b32_e64 v10, v23, -v23, vcc_lo
	v_cmp_gt_f32_e32 vcc_lo, 0, v4
	v_cndmask_b32_e64 v11, v4, -v4, vcc_lo
	v_cmpx_ngt_f32_e32 v10, v11
	s_xor_b32 s48, exec_lo, s4
	s_cbranch_execnz .LBB34_30
; %bb.28:                               ;   in Loop: Header=BB34_9 Depth=3
	s_andn2_saveexec_b32 s48, s48
	s_cbranch_execnz .LBB34_33
.LBB34_29:                              ;   in Loop: Header=BB34_9 Depth=3
	s_or_b32 exec_lo, exec_lo, s48
	v_cmp_class_f32_e64 s48, v24, 0x1f8
	s_and_saveexec_b32 s4, s48
	s_cbranch_execz .LBB34_8
	s_branch .LBB34_34
.LBB34_30:                              ;   in Loop: Header=BB34_9 Depth=3
	v_mov_b32_e32 v24, 0
	s_mov_b32 s49, exec_lo
	v_cmpx_neq_f32_e32 0, v4
	s_cbranch_execz .LBB34_32
; %bb.31:                               ;   in Loop: Header=BB34_9 Depth=3
	v_div_scale_f32 v24, null, v11, v11, v10
	v_div_scale_f32 v27, vcc_lo, v10, v11, v10
	v_rcp_f32_e32 v25, v24
	v_fma_f32 v26, -v24, v25, 1.0
	v_fmac_f32_e32 v25, v26, v25
	v_mul_f32_e32 v26, v27, v25
	v_fma_f32 v28, -v24, v26, v27
	v_fmac_f32_e32 v26, v28, v25
	v_fma_f32 v24, -v24, v26, v27
	v_div_fmas_f32 v24, v24, v25, v26
	v_div_fixup_f32 v10, v24, v11, v10
	v_fma_f32 v10, v10, v10, 1.0
	v_mul_f32_e32 v24, 0x4f800000, v10
	v_cmp_gt_f32_e32 vcc_lo, 0xf800000, v10
	v_cndmask_b32_e32 v10, v10, v24, vcc_lo
	v_sqrt_f32_e32 v24, v10
	v_add_nc_u32_e32 v25, -1, v24
	v_add_nc_u32_e32 v26, 1, v24
	v_fma_f32 v27, -v25, v24, v10
	v_fma_f32 v28, -v26, v24, v10
	v_cmp_ge_f32_e64 s4, 0, v27
	v_cndmask_b32_e64 v24, v24, v25, s4
	v_cmp_lt_f32_e64 s4, 0, v28
	v_cndmask_b32_e64 v24, v24, v26, s4
	v_mul_f32_e32 v25, 0x37800000, v24
	v_cndmask_b32_e32 v24, v24, v25, vcc_lo
	v_cmp_class_f32_e64 vcc_lo, v10, 0x260
	v_cndmask_b32_e32 v10, v24, v10, vcc_lo
	v_mul_f32_e32 v24, v11, v10
.LBB34_32:                              ;   in Loop: Header=BB34_9 Depth=3
	s_or_b32 exec_lo, exec_lo, s49
                                        ; implicit-def: $vgpr10
                                        ; implicit-def: $vgpr11
	s_andn2_saveexec_b32 s48, s48
	s_cbranch_execz .LBB34_29
.LBB34_33:                              ;   in Loop: Header=BB34_9 Depth=3
	v_div_scale_f32 v24, null, v10, v10, v11
	v_div_scale_f32 v27, vcc_lo, v11, v10, v11
	v_rcp_f32_e32 v25, v24
	v_fma_f32 v26, -v24, v25, 1.0
	v_fmac_f32_e32 v25, v26, v25
	v_mul_f32_e32 v26, v27, v25
	v_fma_f32 v28, -v24, v26, v27
	v_fmac_f32_e32 v26, v28, v25
	v_fma_f32 v24, -v24, v26, v27
	v_div_fmas_f32 v24, v24, v25, v26
	v_div_fixup_f32 v11, v24, v10, v11
	v_fma_f32 v11, v11, v11, 1.0
	v_mul_f32_e32 v24, 0x4f800000, v11
	v_cmp_gt_f32_e32 vcc_lo, 0xf800000, v11
	v_cndmask_b32_e32 v11, v11, v24, vcc_lo
	v_sqrt_f32_e32 v24, v11
	v_add_nc_u32_e32 v25, -1, v24
	v_add_nc_u32_e32 v26, 1, v24
	v_fma_f32 v27, -v25, v24, v11
	v_fma_f32 v28, -v26, v24, v11
	v_cmp_ge_f32_e64 s4, 0, v27
	v_cndmask_b32_e64 v24, v24, v25, s4
	v_cmp_lt_f32_e64 s4, 0, v28
	v_cndmask_b32_e64 v24, v24, v26, s4
	v_mul_f32_e32 v25, 0x37800000, v24
	v_cndmask_b32_e32 v24, v24, v25, vcc_lo
	v_cmp_class_f32_e64 vcc_lo, v11, 0x260
	v_cndmask_b32_e32 v11, v24, v11, vcc_lo
	v_mul_f32_e32 v24, v10, v11
	s_or_b32 exec_lo, exec_lo, s48
	v_cmp_class_f32_e64 s48, v24, 0x1f8
	s_and_saveexec_b32 s4, s48
	s_cbranch_execz .LBB34_8
.LBB34_34:                              ;   in Loop: Header=BB34_9 Depth=3
	s_mov_b32 s48, 0
                                        ; implicit-def: $vgpr10_vgpr11
	s_and_saveexec_b32 s49, s3
	s_xor_b32 s3, exec_lo, s49
	s_cbranch_execnz .LBB34_37
; %bb.35:                               ;   in Loop: Header=BB34_9 Depth=3
	s_andn2_saveexec_b32 s3, s3
	s_cbranch_execnz .LBB34_50
.LBB34_36:                              ;   in Loop: Header=BB34_9 Depth=3
	s_or_b32 exec_lo, exec_lo, s3
	s_and_b32 exec_lo, exec_lo, s48
	s_cbranch_execz .LBB34_8
	s_branch .LBB34_59
.LBB34_37:                              ;   in Loop: Header=BB34_9 Depth=3
	s_mov_b32 s49, exec_lo
                                        ; implicit-def: $vgpr10_vgpr11
	v_cmpx_ge_i32_e64 v2, v6
	s_xor_b32 s49, exec_lo, s49
	s_cbranch_execz .LBB34_39
; %bb.38:                               ;   in Loop: Header=BB34_9 Depth=3
	v_lshlrev_b64 v[6:7], 3, v[6:7]
	s_mov_b32 s48, exec_lo
                                        ; implicit-def: $vgpr9
                                        ; implicit-def: $vgpr22
                                        ; implicit-def: $vgpr8
	v_add_co_u32 v10, vcc_lo, s38, v6
	v_add_co_ci_u32_e64 v11, null, s39, v7, vcc_lo
	global_store_dword v[10:11], v23, off
                                        ; implicit-def: $vgpr23
.LBB34_39:                              ;   in Loop: Header=BB34_9 Depth=3
	s_andn2_saveexec_b32 s49, s49
	s_cbranch_execz .LBB34_49
; %bb.40:                               ;   in Loop: Header=BB34_9 Depth=3
	s_mov_b32 s51, s48
	s_mov_b32 s50, exec_lo
                                        ; implicit-def: $vgpr10_vgpr11
	v_cmpx_lt_i32_e64 v9, v22
	s_cbranch_execz .LBB34_48
; %bb.41:                               ;   in Loop: Header=BB34_9 Depth=3
	s_mov_b32 s52, 0
                                        ; implicit-def: $sgpr51
                                        ; implicit-def: $sgpr54
                                        ; implicit-def: $sgpr53
	s_inst_prefetch 0x1
	s_branch .LBB34_43
	.p2align	6
.LBB34_42:                              ;   in Loop: Header=BB34_43 Depth=4
	s_or_b32 exec_lo, exec_lo, s55
	s_and_b32 s55, exec_lo, s54
	s_or_b32 s52, s55, s52
	s_andn2_b32 s51, s51, exec_lo
	s_and_b32 s55, s53, exec_lo
	s_or_b32 s51, s51, s55
	s_andn2_b32 exec_lo, exec_lo, s52
	s_cbranch_execz .LBB34_45
.LBB34_43:                              ;   Parent Loop BB34_3 Depth=1
                                        ;     Parent Loop BB34_5 Depth=2
                                        ;       Parent Loop BB34_9 Depth=3
                                        ; =>      This Inner Loop Header: Depth=4
	v_add_nc_u32_e32 v6, v8, v9
	s_or_b32 s53, s53, exec_lo
	s_or_b32 s54, s54, exec_lo
	s_mov_b32 s55, exec_lo
	v_ashrrev_i32_e32 v7, 31, v6
	v_lshlrev_b64 v[10:11], 2, v[6:7]
	v_add_co_u32 v10, vcc_lo, s12, v10
	v_add_co_ci_u32_e64 v11, null, s13, v11, vcc_lo
	global_load_dword v0, v[10:11], off
	s_waitcnt vmcnt(0)
	v_subrev_nc_u32_e32 v0, s44, v0
	v_cmpx_ne_u32_e64 v0, v2
	s_cbranch_execz .LBB34_42
; %bb.44:                               ;   in Loop: Header=BB34_43 Depth=4
	v_add_nc_u32_e32 v9, 1, v9
	s_andn2_b32 s54, s54, exec_lo
	s_andn2_b32 s53, s53, exec_lo
	v_cmp_ge_i32_e32 vcc_lo, v9, v22
	s_and_b32 s56, vcc_lo, exec_lo
	s_or_b32 s54, s54, s56
	s_branch .LBB34_42
.LBB34_45:                              ;   in Loop: Header=BB34_9 Depth=3
	s_inst_prefetch 0x2
	s_or_b32 exec_lo, exec_lo, s52
	s_mov_b32 s52, s48
                                        ; implicit-def: $vgpr10_vgpr11
	s_and_saveexec_b32 s53, s51
	s_xor_b32 s51, exec_lo, s53
	s_cbranch_execz .LBB34_47
; %bb.46:                               ;   in Loop: Header=BB34_9 Depth=3
	v_lshlrev_b64 v[6:7], 3, v[6:7]
	s_or_b32 s52, s48, exec_lo
	v_add_co_u32 v10, vcc_lo, s6, v6
	v_add_co_ci_u32_e64 v11, null, s7, v7, vcc_lo
	global_store_dword v[10:11], v23, off
.LBB34_47:                              ;   in Loop: Header=BB34_9 Depth=3
	s_or_b32 exec_lo, exec_lo, s51
	s_andn2_b32 s51, s48, exec_lo
	s_and_b32 s52, s52, exec_lo
	s_or_b32 s51, s51, s52
.LBB34_48:                              ;   in Loop: Header=BB34_9 Depth=3
	s_or_b32 exec_lo, exec_lo, s50
	s_andn2_b32 s48, s48, exec_lo
	s_and_b32 s50, s51, exec_lo
	s_or_b32 s48, s48, s50
.LBB34_49:                              ;   in Loop: Header=BB34_9 Depth=3
	s_or_b32 exec_lo, exec_lo, s49
	s_and_b32 s48, s48, exec_lo
                                        ; implicit-def: $vgpr23
                                        ; implicit-def: $vgpr6_vgpr7
	s_andn2_saveexec_b32 s3, s3
	s_cbranch_execz .LBB34_36
.LBB34_50:                              ;   in Loop: Header=BB34_9 Depth=3
	s_mov_b32 s50, s48
	s_mov_b32 s49, exec_lo
                                        ; implicit-def: $vgpr10_vgpr11
	v_cmpx_lt_i32_e64 v0, v17
	s_cbranch_execz .LBB34_58
; %bb.51:                               ;   in Loop: Header=BB34_9 Depth=3
	s_mov_b32 s51, 0
                                        ; implicit-def: $sgpr50
                                        ; implicit-def: $sgpr53
                                        ; implicit-def: $sgpr52
	s_inst_prefetch 0x1
	s_branch .LBB34_53
	.p2align	6
.LBB34_52:                              ;   in Loop: Header=BB34_53 Depth=4
	s_or_b32 exec_lo, exec_lo, s54
	s_and_b32 s54, exec_lo, s53
	s_or_b32 s51, s54, s51
	s_andn2_b32 s50, s50, exec_lo
	s_and_b32 s54, s52, exec_lo
	s_or_b32 s50, s50, s54
	s_andn2_b32 exec_lo, exec_lo, s51
	s_cbranch_execz .LBB34_55
.LBB34_53:                              ;   Parent Loop BB34_3 Depth=1
                                        ;     Parent Loop BB34_5 Depth=2
                                        ;       Parent Loop BB34_9 Depth=3
                                        ; =>      This Inner Loop Header: Depth=4
	v_add_nc_u32_e32 v7, v5, v0
	s_or_b32 s52, s52, exec_lo
	s_or_b32 s53, s53, exec_lo
	s_mov_b32 s54, exec_lo
	v_ashrrev_i32_e32 v8, 31, v7
	v_lshlrev_b64 v[9:10], 2, v[7:8]
	v_add_co_u32 v9, vcc_lo, s20, v9
	v_add_co_ci_u32_e64 v10, null, s21, v10, vcc_lo
	global_load_dword v9, v[9:10], off
	s_waitcnt vmcnt(0)
	v_subrev_nc_u32_e32 v9, s43, v9
	v_cmpx_ne_u32_e64 v9, v6
	s_cbranch_execz .LBB34_52
; %bb.54:                               ;   in Loop: Header=BB34_53 Depth=4
	v_add_nc_u32_e32 v0, 1, v0
	s_andn2_b32 s53, s53, exec_lo
	s_andn2_b32 s52, s52, exec_lo
	v_cmp_ge_i32_e32 vcc_lo, v0, v17
	s_and_b32 s55, vcc_lo, exec_lo
	s_or_b32 s53, s53, s55
	s_branch .LBB34_52
.LBB34_55:                              ;   in Loop: Header=BB34_9 Depth=3
	s_inst_prefetch 0x2
	s_or_b32 exec_lo, exec_lo, s51
	s_mov_b32 s51, s48
                                        ; implicit-def: $vgpr10_vgpr11
	s_and_saveexec_b32 s52, s50
	s_xor_b32 s50, exec_lo, s52
	s_cbranch_execz .LBB34_57
; %bb.56:                               ;   in Loop: Header=BB34_9 Depth=3
	v_lshlrev_b64 v[6:7], 3, v[7:8]
	s_or_b32 s51, s48, exec_lo
	v_add_co_u32 v10, vcc_lo, s40, v6
	v_add_co_ci_u32_e64 v11, null, s41, v7, vcc_lo
	global_store_dword v[10:11], v23, off
.LBB34_57:                              ;   in Loop: Header=BB34_9 Depth=3
	s_or_b32 exec_lo, exec_lo, s50
	s_andn2_b32 s50, s48, exec_lo
	s_and_b32 s51, s51, exec_lo
	s_or_b32 s50, s50, s51
.LBB34_58:                              ;   in Loop: Header=BB34_9 Depth=3
	s_or_b32 exec_lo, exec_lo, s49
	s_andn2_b32 s48, s48, exec_lo
	s_and_b32 s49, s50, exec_lo
	s_or_b32 s48, s48, s49
	s_or_b32 exec_lo, exec_lo, s3
	s_and_b32 exec_lo, exec_lo, s48
	s_cbranch_execz .LBB34_8
.LBB34_59:                              ;   in Loop: Header=BB34_9 Depth=3
	global_store_dword v[10:11], v4, off offset:4
	s_branch .LBB34_8
.LBB34_60:                              ;   in Loop: Header=BB34_3 Depth=1
	s_and_saveexec_b32 s3, s0
	s_cbranch_execz .LBB34_2
; %bb.61:                               ;   in Loop: Header=BB34_3 Depth=1
	v_mov_b32_e32 v2, v12
	s_mov_b32 s4, 0
	s_branch .LBB34_63
.LBB34_62:                              ;   in Loop: Header=BB34_63 Depth=2
	s_or_b32 exec_lo, exec_lo, s45
	v_add_nc_u32_e32 v2, 16, v2
	v_cmp_le_u32_e32 vcc_lo, s5, v2
	s_or_b32 s4, vcc_lo, s4
	s_andn2_b32 exec_lo, exec_lo, s4
	s_cbranch_execz .LBB34_2
.LBB34_63:                              ;   Parent Loop BB34_3 Depth=1
                                        ; =>  This Loop Header: Depth=2
                                        ;       Child Loop BB34_66 Depth 3
                                        ;       Child Loop BB34_69 Depth 3
	s_mov_b32 s45, exec_lo
	v_cmpx_gt_i32_e64 s35, v2
	s_cbranch_execz .LBB34_62
; %bb.64:                               ;   in Loop: Header=BB34_63 Depth=2
	v_ashrrev_i32_e32 v3, 31, v2
	s_mov_b32 s46, exec_lo
	v_lshlrev_b64 v[4:5], 2, v[2:3]
	v_add_co_u32 v6, vcc_lo, s16, v4
	v_add_co_ci_u32_e64 v7, null, s17, v5, vcc_lo
	v_add_co_u32 v8, vcc_lo, s18, v4
	v_add_co_ci_u32_e64 v9, null, s19, v5, vcc_lo
	global_load_dword v0, v[6:7], off
	global_load_dword v7, v[8:9], off
	s_waitcnt vmcnt(1)
	v_add_nc_u32_e32 v6, v14, v0
	s_waitcnt vmcnt(0)
	v_subrev_nc_u32_e32 v0, s43, v7
	v_cmpx_lt_i32_e64 v6, v0
	s_cbranch_execz .LBB34_67
; %bb.65:                               ;   in Loop: Header=BB34_63 Depth=2
	v_ashrrev_i32_e32 v7, 31, v6
	s_mov_b32 s47, 0
	v_lshlrev_b64 v[9:10], 3, v[6:7]
	v_add_co_u32 v7, vcc_lo, s40, v9
	v_add_co_ci_u32_e64 v8, null, s41, v10, vcc_lo
	v_add_co_u32 v9, vcc_lo, s22, v9
	v_add_co_ci_u32_e64 v10, null, s23, v10, vcc_lo
	.p2align	6
.LBB34_66:                              ;   Parent Loop BB34_3 Depth=1
                                        ;     Parent Loop BB34_63 Depth=2
                                        ; =>    This Inner Loop Header: Depth=3
	global_load_dwordx2 v[16:17], v[7:8], off
	v_add_nc_u32_e32 v6, 64, v6
	v_add_co_u32 v7, vcc_lo, 0x200, v7
	v_add_co_ci_u32_e64 v8, null, 0, v8, vcc_lo
	v_cmp_ge_i32_e32 vcc_lo, v6, v0
	s_or_b32 s47, vcc_lo, s47
	s_waitcnt vmcnt(0)
	global_store_dwordx2 v[9:10], v[16:17], off
	v_add_co_u32 v9, s2, 0x200, v9
	v_add_co_ci_u32_e64 v10, null, 0, v10, s2
	s_andn2_b32 exec_lo, exec_lo, s47
	s_cbranch_execnz .LBB34_66
.LBB34_67:                              ;   in Loop: Header=BB34_63 Depth=2
	s_or_b32 exec_lo, exec_lo, s46
	v_add_co_u32 v6, vcc_lo, s8, v4
	v_add_co_ci_u32_e64 v7, null, s9, v5, vcc_lo
	v_add_co_u32 v4, vcc_lo, s10, v4
	v_add_co_ci_u32_e64 v5, null, s11, v5, vcc_lo
	global_load_dword v0, v[6:7], off
	global_load_dword v5, v[4:5], off
	s_mov_b32 s46, exec_lo
	s_waitcnt vmcnt(1)
	v_add_nc_u32_e32 v4, v15, v0
	s_waitcnt vmcnt(0)
	v_subrev_nc_u32_e32 v0, s44, v5
	v_cmpx_lt_i32_e64 v4, v0
	s_cbranch_execz .LBB34_70
; %bb.68:                               ;   in Loop: Header=BB34_63 Depth=2
	v_ashrrev_i32_e32 v5, 31, v4
	s_mov_b32 s47, 0
	v_lshlrev_b64 v[7:8], 3, v[4:5]
	v_add_co_u32 v5, vcc_lo, s6, v7
	v_add_co_ci_u32_e64 v6, null, s7, v8, vcc_lo
	v_add_co_u32 v7, vcc_lo, s14, v7
	v_add_co_ci_u32_e64 v8, null, s15, v8, vcc_lo
	.p2align	6
.LBB34_69:                              ;   Parent Loop BB34_3 Depth=1
                                        ;     Parent Loop BB34_63 Depth=2
                                        ; =>    This Inner Loop Header: Depth=3
	global_load_dwordx2 v[9:10], v[5:6], off
	v_add_nc_u32_e32 v4, 64, v4
	v_add_co_u32 v5, vcc_lo, 0x200, v5
	v_add_co_ci_u32_e64 v6, null, 0, v6, vcc_lo
	v_cmp_ge_i32_e32 vcc_lo, v4, v0
	s_or_b32 s47, vcc_lo, s47
	s_waitcnt vmcnt(0)
	global_store_dwordx2 v[7:8], v[9:10], off
	v_add_co_u32 v7, s2, 0x200, v7
	v_add_co_ci_u32_e64 v8, null, 0, v8, s2
	s_andn2_b32 exec_lo, exec_lo, s47
	s_cbranch_execnz .LBB34_69
.LBB34_70:                              ;   in Loop: Header=BB34_63 Depth=2
	s_or_b32 exec_lo, exec_lo, s46
	s_and_b32 exec_lo, exec_lo, s1
	s_cbranch_execz .LBB34_62
; %bb.71:                               ;   in Loop: Header=BB34_63 Depth=2
	v_lshlrev_b64 v[3:4], 3, v[2:3]
	v_add_co_u32 v5, vcc_lo, s38, v3
	v_add_co_ci_u32_e64 v6, null, s39, v4, vcc_lo
	v_add_co_u32 v3, vcc_lo, s36, v3
	v_add_co_ci_u32_e64 v4, null, s37, v4, vcc_lo
	global_load_dwordx2 v[5:6], v[5:6], off
	s_waitcnt vmcnt(0)
	global_store_dwordx2 v[3:4], v[5:6], off
	s_branch .LBB34_62
.LBB34_72:
	s_endpgm
	.section	.rodata,"a",@progbits
	.p2align	6, 0x0
	.amdhsa_kernel _ZN9rocsparseL14kernel_freerunILi1024ELi64E21rocsparse_complex_numIfEiiEEvT3_S3_T2_PKS4_S6_PKS3_PKT1_21rocsparse_index_base_S6_S6_S8_PS9_SD_SC_S6_S6_S8_SD_SD_SC_SD_SD_
		.amdhsa_group_segment_fixed_size 0
		.amdhsa_private_segment_fixed_size 0
		.amdhsa_kernarg_size 168
		.amdhsa_user_sgpr_count 6
		.amdhsa_user_sgpr_private_segment_buffer 1
		.amdhsa_user_sgpr_dispatch_ptr 0
		.amdhsa_user_sgpr_queue_ptr 0
		.amdhsa_user_sgpr_kernarg_segment_ptr 1
		.amdhsa_user_sgpr_dispatch_id 0
		.amdhsa_user_sgpr_flat_scratch_init 0
		.amdhsa_user_sgpr_private_segment_size 0
		.amdhsa_wavefront_size32 1
		.amdhsa_uses_dynamic_stack 0
		.amdhsa_system_sgpr_private_segment_wavefront_offset 0
		.amdhsa_system_sgpr_workgroup_id_x 1
		.amdhsa_system_sgpr_workgroup_id_y 0
		.amdhsa_system_sgpr_workgroup_id_z 0
		.amdhsa_system_sgpr_workgroup_info 0
		.amdhsa_system_vgpr_workitem_id 0
		.amdhsa_next_free_vgpr 34
		.amdhsa_next_free_sgpr 57
		.amdhsa_reserve_vcc 1
		.amdhsa_reserve_flat_scratch 0
		.amdhsa_float_round_mode_32 0
		.amdhsa_float_round_mode_16_64 0
		.amdhsa_float_denorm_mode_32 3
		.amdhsa_float_denorm_mode_16_64 3
		.amdhsa_dx10_clamp 1
		.amdhsa_ieee_mode 1
		.amdhsa_fp16_overflow 0
		.amdhsa_workgroup_processor_mode 1
		.amdhsa_memory_ordered 1
		.amdhsa_forward_progress 1
		.amdhsa_shared_vgpr_count 0
		.amdhsa_exception_fp_ieee_invalid_op 0
		.amdhsa_exception_fp_denorm_src 0
		.amdhsa_exception_fp_ieee_div_zero 0
		.amdhsa_exception_fp_ieee_overflow 0
		.amdhsa_exception_fp_ieee_underflow 0
		.amdhsa_exception_fp_ieee_inexact 0
		.amdhsa_exception_int_div_zero 0
	.end_amdhsa_kernel
	.section	.text._ZN9rocsparseL14kernel_freerunILi1024ELi64E21rocsparse_complex_numIfEiiEEvT3_S3_T2_PKS4_S6_PKS3_PKT1_21rocsparse_index_base_S6_S6_S8_PS9_SD_SC_S6_S6_S8_SD_SD_SC_SD_SD_,"axG",@progbits,_ZN9rocsparseL14kernel_freerunILi1024ELi64E21rocsparse_complex_numIfEiiEEvT3_S3_T2_PKS4_S6_PKS3_PKT1_21rocsparse_index_base_S6_S6_S8_PS9_SD_SC_S6_S6_S8_SD_SD_SC_SD_SD_,comdat
.Lfunc_end34:
	.size	_ZN9rocsparseL14kernel_freerunILi1024ELi64E21rocsparse_complex_numIfEiiEEvT3_S3_T2_PKS4_S6_PKS3_PKT1_21rocsparse_index_base_S6_S6_S8_PS9_SD_SC_S6_S6_S8_SD_SD_SC_SD_SD_, .Lfunc_end34-_ZN9rocsparseL14kernel_freerunILi1024ELi64E21rocsparse_complex_numIfEiiEEvT3_S3_T2_PKS4_S6_PKS3_PKT1_21rocsparse_index_base_S6_S6_S8_PS9_SD_SC_S6_S6_S8_SD_SD_SC_SD_SD_
                                        ; -- End function
	.set _ZN9rocsparseL14kernel_freerunILi1024ELi64E21rocsparse_complex_numIfEiiEEvT3_S3_T2_PKS4_S6_PKS3_PKT1_21rocsparse_index_base_S6_S6_S8_PS9_SD_SC_S6_S6_S8_SD_SD_SC_SD_SD_.num_vgpr, 34
	.set _ZN9rocsparseL14kernel_freerunILi1024ELi64E21rocsparse_complex_numIfEiiEEvT3_S3_T2_PKS4_S6_PKS3_PKT1_21rocsparse_index_base_S6_S6_S8_PS9_SD_SC_S6_S6_S8_SD_SD_SC_SD_SD_.num_agpr, 0
	.set _ZN9rocsparseL14kernel_freerunILi1024ELi64E21rocsparse_complex_numIfEiiEEvT3_S3_T2_PKS4_S6_PKS3_PKT1_21rocsparse_index_base_S6_S6_S8_PS9_SD_SC_S6_S6_S8_SD_SD_SC_SD_SD_.numbered_sgpr, 57
	.set _ZN9rocsparseL14kernel_freerunILi1024ELi64E21rocsparse_complex_numIfEiiEEvT3_S3_T2_PKS4_S6_PKS3_PKT1_21rocsparse_index_base_S6_S6_S8_PS9_SD_SC_S6_S6_S8_SD_SD_SC_SD_SD_.num_named_barrier, 0
	.set _ZN9rocsparseL14kernel_freerunILi1024ELi64E21rocsparse_complex_numIfEiiEEvT3_S3_T2_PKS4_S6_PKS3_PKT1_21rocsparse_index_base_S6_S6_S8_PS9_SD_SC_S6_S6_S8_SD_SD_SC_SD_SD_.private_seg_size, 0
	.set _ZN9rocsparseL14kernel_freerunILi1024ELi64E21rocsparse_complex_numIfEiiEEvT3_S3_T2_PKS4_S6_PKS3_PKT1_21rocsparse_index_base_S6_S6_S8_PS9_SD_SC_S6_S6_S8_SD_SD_SC_SD_SD_.uses_vcc, 1
	.set _ZN9rocsparseL14kernel_freerunILi1024ELi64E21rocsparse_complex_numIfEiiEEvT3_S3_T2_PKS4_S6_PKS3_PKT1_21rocsparse_index_base_S6_S6_S8_PS9_SD_SC_S6_S6_S8_SD_SD_SC_SD_SD_.uses_flat_scratch, 0
	.set _ZN9rocsparseL14kernel_freerunILi1024ELi64E21rocsparse_complex_numIfEiiEEvT3_S3_T2_PKS4_S6_PKS3_PKT1_21rocsparse_index_base_S6_S6_S8_PS9_SD_SC_S6_S6_S8_SD_SD_SC_SD_SD_.has_dyn_sized_stack, 0
	.set _ZN9rocsparseL14kernel_freerunILi1024ELi64E21rocsparse_complex_numIfEiiEEvT3_S3_T2_PKS4_S6_PKS3_PKT1_21rocsparse_index_base_S6_S6_S8_PS9_SD_SC_S6_S6_S8_SD_SD_SC_SD_SD_.has_recursion, 0
	.set _ZN9rocsparseL14kernel_freerunILi1024ELi64E21rocsparse_complex_numIfEiiEEvT3_S3_T2_PKS4_S6_PKS3_PKT1_21rocsparse_index_base_S6_S6_S8_PS9_SD_SC_S6_S6_S8_SD_SD_SC_SD_SD_.has_indirect_call, 0
	.section	.AMDGPU.csdata,"",@progbits
; Kernel info:
; codeLenInByte = 3552
; TotalNumSgprs: 59
; NumVgprs: 34
; ScratchSize: 0
; MemoryBound: 0
; FloatMode: 240
; IeeeMode: 1
; LDSByteSize: 0 bytes/workgroup (compile time only)
; SGPRBlocks: 0
; VGPRBlocks: 4
; NumSGPRsForWavesPerEU: 59
; NumVGPRsForWavesPerEU: 34
; Occupancy: 16
; WaveLimiterHint : 1
; COMPUTE_PGM_RSRC2:SCRATCH_EN: 0
; COMPUTE_PGM_RSRC2:USER_SGPR: 6
; COMPUTE_PGM_RSRC2:TRAP_HANDLER: 0
; COMPUTE_PGM_RSRC2:TGID_X_EN: 1
; COMPUTE_PGM_RSRC2:TGID_Y_EN: 0
; COMPUTE_PGM_RSRC2:TGID_Z_EN: 0
; COMPUTE_PGM_RSRC2:TIDIG_COMP_CNT: 0
	.section	.text._ZN9rocsparseL6kernelILi1024ELi1E21rocsparse_complex_numIfEiiEEvbbbT3_PS3_NS_15floating_traitsIT1_E6data_tES3_T2_PKS9_SB_PKS3_PKS6_21rocsparse_index_base_SB_SB_SD_PS6_SH_SG_SB_SB_SD_SH_SH_SG_SH_SH_PS8_SI_PKS8_,"axG",@progbits,_ZN9rocsparseL6kernelILi1024ELi1E21rocsparse_complex_numIfEiiEEvbbbT3_PS3_NS_15floating_traitsIT1_E6data_tES3_T2_PKS9_SB_PKS3_PKS6_21rocsparse_index_base_SB_SB_SD_PS6_SH_SG_SB_SB_SD_SH_SH_SG_SH_SH_PS8_SI_PKS8_,comdat
	.globl	_ZN9rocsparseL6kernelILi1024ELi1E21rocsparse_complex_numIfEiiEEvbbbT3_PS3_NS_15floating_traitsIT1_E6data_tES3_T2_PKS9_SB_PKS3_PKS6_21rocsparse_index_base_SB_SB_SD_PS6_SH_SG_SB_SB_SD_SH_SH_SG_SH_SH_PS8_SI_PKS8_ ; -- Begin function _ZN9rocsparseL6kernelILi1024ELi1E21rocsparse_complex_numIfEiiEEvbbbT3_PS3_NS_15floating_traitsIT1_E6data_tES3_T2_PKS9_SB_PKS3_PKS6_21rocsparse_index_base_SB_SB_SD_PS6_SH_SG_SB_SB_SD_SH_SH_SG_SH_SH_PS8_SI_PKS8_
	.p2align	8
	.type	_ZN9rocsparseL6kernelILi1024ELi1E21rocsparse_complex_numIfEiiEEvbbbT3_PS3_NS_15floating_traitsIT1_E6data_tES3_T2_PKS9_SB_PKS3_PKS6_21rocsparse_index_base_SB_SB_SD_PS6_SH_SG_SB_SB_SD_SH_SH_SG_SH_SH_PS8_SI_PKS8_,@function
_ZN9rocsparseL6kernelILi1024ELi1E21rocsparse_complex_numIfEiiEEvbbbT3_PS3_NS_15floating_traitsIT1_E6data_tES3_T2_PKS9_SB_PKS3_PKS6_21rocsparse_index_base_SB_SB_SD_PS6_SH_SG_SB_SB_SD_SH_SH_SG_SH_SH_PS8_SI_PKS8_: ; @_ZN9rocsparseL6kernelILi1024ELi1E21rocsparse_complex_numIfEiiEEvbbbT3_PS3_NS_15floating_traitsIT1_E6data_tES3_T2_PKS9_SB_PKS3_PKS6_21rocsparse_index_base_SB_SB_SD_PS6_SH_SG_SB_SB_SD_SH_SH_SG_SH_SH_PS8_SI_PKS8_
; %bb.0:
	s_clause 0x3
	s_load_dword s0, s[4:5], 0x0
	s_load_dwordx2 s[16:17], s[4:5], 0x0
	s_load_dwordx2 s[18:19], s[4:5], 0x10
	s_load_dwordx4 s[28:31], s[4:5], 0xb8
	v_mov_b32_e32 v3, 0
	v_lshlrev_b32_e32 v18, 2, v0
	v_mov_b32_e32 v19, 0
	v_mov_b32_e32 v17, 0
	s_mov_b32 s58, 0
	ds_write_b32 v18, v3
	s_waitcnt lgkmcnt(0)
	s_barrier
	buffer_gl0_inv
	s_bitcmp1_b32 s0, 0
	s_cselect_b32 s57, -1, 0
	s_bitcmp1_b32 s0, 8
	s_cselect_b32 s56, -1, 0
	;; [unrolled: 2-line block ×3, first 2 shown]
	s_lshl_b32 s63, s6, 10
	s_cmp_gt_i32 s17, 0
	v_or_b32_e32 v1, s63, v0
	s_cselect_b32 s0, -1, 0
	v_cmp_gt_i32_e32 vcc_lo, s19, v1
	s_and_b32 s0, s0, vcc_lo
	s_and_saveexec_b32 s59, s0
	s_cbranch_execnz .LBB35_3
; %bb.1:
	s_or_b32 exec_lo, exec_lo, s59
	s_andn2_b32 vcc_lo, exec_lo, s57
	s_cbranch_vccz .LBB35_185
.LBB35_2:
	v_cmp_eq_u32_e32 vcc_lo, 0, v0
	s_and_b32 s0, vcc_lo, s56
	s_and_saveexec_b32 s1, s0
	s_cbranch_execnz .LBB35_209
	s_branch .LBB35_215
.LBB35_3:
	s_clause 0x1
	s_load_dwordx8 s[20:27], s[4:5], 0x48
	s_load_dwordx8 s[36:43], s[4:5], 0x20
	v_ashrrev_i32_e32 v2, 31, v1
	s_addk_i32 s63, 0x400
	v_cmp_gt_u32_e64 s0, 0x200, v0
	v_cmp_gt_u32_e64 s1, 0x100, v0
	;; [unrolled: 1-line block ×3, first 2 shown]
	v_lshlrev_b64 v[2:3], 2, v[1:2]
	v_cmp_gt_u32_e64 s3, 64, v0
	v_cmp_gt_u32_e64 s6, 32, v0
	;; [unrolled: 1-line block ×6, first 2 shown]
	v_cmp_eq_u32_e64 s11, 0, v0
	v_mov_b32_e32 v17, 0
	v_cmp_gt_u32_e64 s12, s63, v1
	v_mov_b32_e32 v19, 0
	s_and_b32 s15, s56, s33
	s_xor_b32 s64, s56, -1
	s_waitcnt lgkmcnt(0)
	v_add_co_u32 v4, vcc_lo, s20, v2
	v_add_co_ci_u32_e64 v5, null, s21, v3, vcc_lo
	v_add_co_u32 v6, vcc_lo, s22, v2
	v_add_co_ci_u32_e64 v7, null, s23, v3, vcc_lo
	global_load_dword v8, v[4:5], off
	v_add_co_u32 v4, vcc_lo, s38, v2
	v_add_co_ci_u32_e64 v5, null, s39, v3, vcc_lo
	v_add_co_u32 v2, vcc_lo, s36, v2
	v_add_co_ci_u32_e64 v3, null, s37, v3, vcc_lo
	global_load_dword v6, v[6:7], off
	global_load_dword v7, v[4:5], off
	;; [unrolled: 1-line block ×3, first 2 shown]
	s_clause 0x7
	s_load_dword s60, s[4:5], 0x70
	s_load_dwordx2 s[34:35], s[4:5], 0x68
	s_load_dwordx2 s[52:53], s[4:5], 0xc8
	s_load_dwordx4 s[36:39], s[4:5], 0xa8
	s_load_dwordx8 s[44:51], s[4:5], 0x78
	s_load_dword s61, s[4:5], 0x40
	s_load_dwordx2 s[54:55], s[4:5], 0x98
	s_load_dword s62, s[4:5], 0xa0
	v_mov_b32_e32 v4, 0
	s_xor_b32 s65, s15, -1
	s_mov_b32 s66, 0
	s_waitcnt vmcnt(3) lgkmcnt(0)
	v_subrev_nc_u32_e32 v2, s60, v8
	v_ashrrev_i32_e32 v3, 31, v2
	s_waitcnt vmcnt(2)
	v_sub_nc_u32_e32 v20, v6, v8
	s_waitcnt vmcnt(1)
	v_subrev_nc_u32_e32 v21, s61, v7
	v_lshlrev_b64 v[5:6], 2, v[2:3]
	s_waitcnt vmcnt(0)
	v_cmp_lt_i32_e64 s13, v9, v7
	v_lshlrev_b64 v[7:8], 3, v[2:3]
	v_subrev_nc_u32_e32 v22, s61, v9
	v_cmp_lt_i32_e64 s14, 0, v20
	v_add_co_u32 v23, vcc_lo, s24, v5
	v_add_co_ci_u32_e64 v24, null, s25, v6, vcc_lo
	v_add_co_u32 v25, vcc_lo, s26, v7
	v_add_co_ci_u32_e64 v26, null, s27, v8, vcc_lo
	s_branch .LBB35_5
.LBB35_4:                               ;   in Loop: Header=BB35_5 Depth=1
	s_or_b32 exec_lo, exec_lo, s15
	s_and_b32 s15, exec_lo, s16
	s_or_b32 s58, s15, s58
	s_andn2_b32 exec_lo, exec_lo, s58
	s_cbranch_execz .LBB35_184
.LBB35_5:                               ; =>This Loop Header: Depth=1
                                        ;     Child Loop BB35_12 Depth 2
                                        ;       Child Loop BB35_16 Depth 3
                                        ;       Child Loop BB35_51 Depth 3
	;; [unrolled: 1-line block ×5, first 2 shown]
                                        ;     Child Loop BB35_165 Depth 2
                                        ;       Child Loop BB35_168 Depth 3
                                        ;       Child Loop BB35_171 Depth 3
	v_cndmask_b32_e64 v19, v19, 0, s56
	v_cndmask_b32_e64 v17, v17, 0, s33
	s_and_saveexec_b32 s67, s13
	s_cbranch_execnz .LBB35_9
; %bb.6:                                ;   in Loop: Header=BB35_5 Depth=1
	s_or_b32 exec_lo, exec_lo, s67
	s_andn2_b32 vcc_lo, exec_lo, s56
	s_cbranch_vccz .LBB35_120
.LBB35_7:                               ;   in Loop: Header=BB35_5 Depth=1
	s_andn2_b32 vcc_lo, exec_lo, s33
	s_cbranch_vccz .LBB35_141
.LBB35_8:                               ;   in Loop: Header=BB35_5 Depth=1
	s_and_saveexec_b32 s16, s12
	s_cbranch_execnz .LBB35_162
	s_branch .LBB35_172
.LBB35_9:                               ;   in Loop: Header=BB35_5 Depth=1
	v_mov_b32_e32 v5, v22
	s_mov_b32 s68, 0
	s_branch .LBB35_12
.LBB35_10:                              ;   in Loop: Header=BB35_12 Depth=2
	s_or_b32 exec_lo, exec_lo, s15
.LBB35_11:                              ;   in Loop: Header=BB35_12 Depth=2
	s_or_b32 exec_lo, exec_lo, s16
	v_add_nc_u32_e32 v5, 1, v5
	v_cmp_ge_i32_e32 vcc_lo, v5, v21
	s_or_b32 s68, vcc_lo, s68
	s_andn2_b32 exec_lo, exec_lo, s68
	s_cbranch_execz .LBB35_119
.LBB35_12:                              ;   Parent Loop BB35_5 Depth=1
                                        ; =>  This Loop Header: Depth=2
                                        ;       Child Loop BB35_16 Depth 3
                                        ;       Child Loop BB35_51 Depth 3
	;; [unrolled: 1-line block ×5, first 2 shown]
	v_ashrrev_i32_e32 v6, 31, v5
	v_mov_b32_e32 v27, 0
	v_mov_b32_e32 v28, 0
	v_lshlrev_b64 v[7:8], 2, v[5:6]
	v_add_co_u32 v7, vcc_lo, s40, v7
	v_add_co_ci_u32_e64 v8, null, s41, v8, vcc_lo
	global_load_dword v3, v[7:8], off
	s_waitcnt vmcnt(0)
	v_subrev_nc_u32_e32 v7, s61, v3
	v_mov_b32_e32 v3, 0
	v_ashrrev_i32_e32 v8, 31, v7
	v_lshlrev_b64 v[9:10], 2, v[7:8]
	v_add_co_u32 v11, vcc_lo, s44, v9
	v_add_co_ci_u32_e64 v12, null, s45, v10, vcc_lo
	v_add_co_u32 v9, vcc_lo, s46, v9
	v_add_co_ci_u32_e64 v10, null, s47, v10, vcc_lo
	global_load_dword v12, v[11:12], off
	global_load_dword v9, v[9:10], off
	s_waitcnt vmcnt(1)
	v_subrev_nc_u32_e32 v11, s62, v12
	s_waitcnt vmcnt(0)
	v_sub_nc_u32_e32 v29, v9, v12
	v_mov_b32_e32 v12, v3
	s_and_saveexec_b32 s16, s14
	s_cbranch_execz .LBB35_20
; %bb.13:                               ;   in Loop: Header=BB35_12 Depth=2
	v_ashrrev_i32_e32 v12, 31, v11
	v_mov_b32_e32 v27, 0
	v_mov_b32_e32 v3, 0
	;; [unrolled: 1-line block ×3, first 2 shown]
	s_mov_b32 s69, 0
	v_lshlrev_b64 v[9:10], 2, v[11:12]
	v_lshlrev_b64 v[12:13], 3, v[11:12]
                                        ; implicit-def: $sgpr70
	v_add_co_u32 v9, vcc_lo, s48, v9
	v_add_co_ci_u32_e64 v10, null, s49, v10, vcc_lo
	v_add_co_u32 v14, vcc_lo, s50, v12
	v_add_co_ci_u32_e64 v15, null, s51, v13, vcc_lo
	v_mov_b32_e32 v12, 0
	s_branch .LBB35_16
.LBB35_14:                              ;   in Loop: Header=BB35_16 Depth=3
	s_or_b32 exec_lo, exec_lo, s15
	v_cmp_le_i32_e32 vcc_lo, v16, v30
	v_cmp_ge_i32_e64 s15, v16, v30
	v_add_co_ci_u32_e64 v3, null, 0, v3, vcc_lo
	v_add_co_ci_u32_e64 v12, null, 0, v12, s15
	s_andn2_b32 s15, s70, exec_lo
	v_cmp_ge_i32_e32 vcc_lo, v3, v20
	s_and_b32 s70, vcc_lo, exec_lo
	s_or_b32 s70, s15, s70
.LBB35_15:                              ;   in Loop: Header=BB35_16 Depth=3
	s_or_b32 exec_lo, exec_lo, s71
	s_and_b32 s15, exec_lo, s70
	s_or_b32 s69, s15, s69
	s_andn2_b32 exec_lo, exec_lo, s69
	s_cbranch_execz .LBB35_19
.LBB35_16:                              ;   Parent Loop BB35_5 Depth=1
                                        ;     Parent Loop BB35_12 Depth=2
                                        ; =>    This Inner Loop Header: Depth=3
	s_or_b32 s70, s70, exec_lo
	s_mov_b32 s71, exec_lo
	v_cmpx_lt_i32_e64 v12, v29
	s_cbranch_execz .LBB35_15
; %bb.17:                               ;   in Loop: Header=BB35_16 Depth=3
	v_mov_b32_e32 v13, v4
	v_lshlrev_b64 v[30:31], 2, v[3:4]
	s_mov_b32 s15, exec_lo
	v_lshlrev_b64 v[32:33], 2, v[12:13]
	v_add_co_u32 v30, vcc_lo, v23, v30
	v_add_co_ci_u32_e64 v31, null, v24, v31, vcc_lo
	v_add_co_u32 v32, vcc_lo, v9, v32
	v_add_co_ci_u32_e64 v33, null, v10, v33, vcc_lo
	global_load_dword v16, v[30:31], off
	global_load_dword v30, v[32:33], off
	s_waitcnt vmcnt(1)
	v_subrev_nc_u32_e32 v16, s60, v16
	s_waitcnt vmcnt(0)
	v_subrev_nc_u32_e32 v30, s62, v30
	v_cmpx_eq_u32_e64 v16, v30
	s_cbranch_execz .LBB35_14
; %bb.18:                               ;   in Loop: Header=BB35_16 Depth=3
	v_lshlrev_b64 v[31:32], 3, v[3:4]
	v_lshlrev_b64 v[33:34], 3, v[12:13]
	v_add_co_u32 v31, vcc_lo, v25, v31
	v_add_co_ci_u32_e64 v32, null, v26, v32, vcc_lo
	v_add_co_u32 v33, vcc_lo, v14, v33
	v_add_co_ci_u32_e64 v34, null, v15, v34, vcc_lo
	global_load_dwordx2 v[31:32], v[31:32], off
	global_load_dwordx2 v[33:34], v[33:34], off
	s_waitcnt vmcnt(0)
	v_fmac_f32_e32 v27, v31, v33
	v_fmac_f32_e32 v28, v32, v33
	v_fma_f32 v27, -v32, v34, v27
	v_fmac_f32_e32 v28, v31, v34
	s_branch .LBB35_14
.LBB35_19:                              ;   in Loop: Header=BB35_12 Depth=2
	s_or_b32 exec_lo, exec_lo, s69
.LBB35_20:                              ;   in Loop: Header=BB35_12 Depth=2
	s_or_b32 exec_lo, exec_lo, s16
	v_lshlrev_b64 v[9:10], 3, v[5:6]
	v_cmp_le_i32_e64 s15, v1, v7
	s_mov_b32 s69, exec_lo
	v_add_co_u32 v9, vcc_lo, s42, v9
	v_add_co_ci_u32_e64 v10, null, s43, v10, vcc_lo
	global_load_dwordx2 v[9:10], v[9:10], off
	s_waitcnt vmcnt(0)
	v_sub_f32_e32 v13, v9, v27
	v_sub_f32_e32 v14, v10, v28
	v_cmpx_gt_i32_e64 v1, v7
	s_cbranch_execz .LBB35_30
; %bb.21:                               ;   in Loop: Header=BB35_12 Depth=2
	v_lshlrev_b64 v[15:16], 3, v[7:8]
                                        ; implicit-def: $vgpr31
	s_mov_b32 s16, exec_lo
	v_add_co_u32 v15, vcc_lo, s36, v15
	v_add_co_ci_u32_e64 v16, null, s37, v16, vcc_lo
	global_load_dwordx2 v[15:16], v[15:16], off
	s_waitcnt vmcnt(0)
	v_cmp_gt_f32_e32 vcc_lo, 0, v15
	v_cndmask_b32_e64 v6, v15, -v15, vcc_lo
	v_cmp_gt_f32_e32 vcc_lo, 0, v16
	v_cndmask_b32_e64 v30, v16, -v16, vcc_lo
	v_cmpx_ngt_f32_e32 v6, v30
	s_xor_b32 s70, exec_lo, s16
	s_cbranch_execz .LBB35_25
; %bb.22:                               ;   in Loop: Header=BB35_12 Depth=2
	v_mov_b32_e32 v31, 0
	s_mov_b32 s71, exec_lo
	v_cmpx_neq_f32_e32 0, v16
	s_cbranch_execz .LBB35_24
; %bb.23:                               ;   in Loop: Header=BB35_12 Depth=2
	v_div_scale_f32 v31, null, v30, v30, v6
	v_div_scale_f32 v34, vcc_lo, v6, v30, v6
	v_rcp_f32_e32 v32, v31
	v_fma_f32 v33, -v31, v32, 1.0
	v_fmac_f32_e32 v32, v33, v32
	v_mul_f32_e32 v33, v34, v32
	v_fma_f32 v35, -v31, v33, v34
	v_fmac_f32_e32 v33, v35, v32
	v_fma_f32 v31, -v31, v33, v34
	v_div_fmas_f32 v31, v31, v32, v33
	v_div_fixup_f32 v6, v31, v30, v6
	v_fma_f32 v6, v6, v6, 1.0
	v_mul_f32_e32 v31, 0x4f800000, v6
	v_cmp_gt_f32_e32 vcc_lo, 0xf800000, v6
	v_cndmask_b32_e32 v6, v6, v31, vcc_lo
	v_sqrt_f32_e32 v31, v6
	v_add_nc_u32_e32 v32, -1, v31
	v_add_nc_u32_e32 v33, 1, v31
	v_fma_f32 v34, -v32, v31, v6
	v_fma_f32 v35, -v33, v31, v6
	v_cmp_ge_f32_e64 s16, 0, v34
	v_cndmask_b32_e64 v31, v31, v32, s16
	v_cmp_lt_f32_e64 s16, 0, v35
	v_cndmask_b32_e64 v31, v31, v33, s16
	v_mul_f32_e32 v32, 0x37800000, v31
	v_cndmask_b32_e32 v31, v31, v32, vcc_lo
	v_cmp_class_f32_e64 vcc_lo, v6, 0x260
	v_cndmask_b32_e32 v6, v31, v6, vcc_lo
	v_mul_f32_e32 v31, v30, v6
.LBB35_24:                              ;   in Loop: Header=BB35_12 Depth=2
	s_or_b32 exec_lo, exec_lo, s71
                                        ; implicit-def: $vgpr6
                                        ; implicit-def: $vgpr30
.LBB35_25:                              ;   in Loop: Header=BB35_12 Depth=2
	s_andn2_saveexec_b32 s70, s70
	s_cbranch_execz .LBB35_27
; %bb.26:                               ;   in Loop: Header=BB35_12 Depth=2
	v_div_scale_f32 v31, null, v6, v6, v30
	v_div_scale_f32 v34, vcc_lo, v30, v6, v30
	v_rcp_f32_e32 v32, v31
	v_fma_f32 v33, -v31, v32, 1.0
	v_fmac_f32_e32 v32, v33, v32
	v_mul_f32_e32 v33, v34, v32
	v_fma_f32 v35, -v31, v33, v34
	v_fmac_f32_e32 v33, v35, v32
	v_fma_f32 v31, -v31, v33, v34
	v_div_fmas_f32 v31, v31, v32, v33
	v_div_fixup_f32 v30, v31, v6, v30
	v_fma_f32 v30, v30, v30, 1.0
	v_mul_f32_e32 v31, 0x4f800000, v30
	v_cmp_gt_f32_e32 vcc_lo, 0xf800000, v30
	v_cndmask_b32_e32 v30, v30, v31, vcc_lo
	v_sqrt_f32_e32 v31, v30
	v_add_nc_u32_e32 v32, -1, v31
	v_add_nc_u32_e32 v33, 1, v31
	v_fma_f32 v34, -v32, v31, v30
	v_fma_f32 v35, -v33, v31, v30
	v_cmp_ge_f32_e64 s16, 0, v34
	v_cndmask_b32_e64 v31, v31, v32, s16
	v_cmp_lt_f32_e64 s16, 0, v35
	v_cndmask_b32_e64 v31, v31, v33, s16
	v_mul_f32_e32 v32, 0x37800000, v31
	v_cndmask_b32_e32 v31, v31, v32, vcc_lo
	v_cmp_class_f32_e64 vcc_lo, v30, 0x260
	v_cndmask_b32_e32 v30, v31, v30, vcc_lo
	v_mul_f32_e32 v31, v6, v30
.LBB35_27:                              ;   in Loop: Header=BB35_12 Depth=2
	s_or_b32 exec_lo, exec_lo, s70
	v_mov_b32_e32 v6, 0
	v_mov_b32_e32 v30, 0
	s_mov_b32 s16, exec_lo
	v_cmpx_lt_f32_e32 0, v31
	s_cbranch_execz .LBB35_29
; %bb.28:                               ;   in Loop: Header=BB35_12 Depth=2
	v_mul_f32_e32 v6, v16, v16
	v_fmac_f32_e32 v6, v15, v15
	v_div_scale_f32 v30, null, v6, v6, 1.0
	v_div_scale_f32 v33, vcc_lo, 1.0, v6, 1.0
	v_rcp_f32_e32 v31, v30
	v_fma_f32 v32, -v30, v31, 1.0
	v_fmac_f32_e32 v31, v32, v31
	v_mul_f32_e32 v32, v33, v31
	v_fma_f32 v34, -v30, v32, v33
	v_fmac_f32_e32 v32, v34, v31
	v_fma_f32 v30, -v30, v32, v33
	v_mul_f32_e32 v33, v14, v16
	v_mul_f32_e64 v16, v16, -v13
	v_div_fmas_f32 v30, v30, v31, v32
	v_fmac_f32_e32 v33, v13, v15
	v_fmac_f32_e32 v16, v14, v15
	v_div_fixup_f32 v6, v30, v6, 1.0
	v_mul_f32_e32 v30, v33, v6
	v_mul_f32_e32 v6, v16, v6
.LBB35_29:                              ;   in Loop: Header=BB35_12 Depth=2
	s_or_b32 exec_lo, exec_lo, s16
	v_mov_b32_e32 v14, v6
	v_mov_b32_e32 v13, v30
.LBB35_30:                              ;   in Loop: Header=BB35_12 Depth=2
	s_or_b32 exec_lo, exec_lo, s69
	v_cmp_gt_f32_e32 vcc_lo, 0, v13
                                        ; implicit-def: $vgpr16
	s_mov_b32 s16, exec_lo
	v_cndmask_b32_e64 v6, v13, -v13, vcc_lo
	v_cmp_gt_f32_e32 vcc_lo, 0, v14
	v_cndmask_b32_e64 v15, v14, -v14, vcc_lo
	v_cmpx_ngt_f32_e32 v6, v15
	s_xor_b32 s69, exec_lo, s16
	s_cbranch_execnz .LBB35_34
; %bb.31:                               ;   in Loop: Header=BB35_12 Depth=2
	s_andn2_saveexec_b32 s69, s69
	s_cbranch_execnz .LBB35_37
.LBB35_32:                              ;   in Loop: Header=BB35_12 Depth=2
	s_or_b32 exec_lo, exec_lo, s69
	v_cmp_class_f32_e64 s16, v16, 0x1f8
	s_and_saveexec_b32 s69, s16
	s_cbranch_execnz .LBB35_38
.LBB35_33:                              ;   in Loop: Header=BB35_12 Depth=2
	s_or_b32 exec_lo, exec_lo, s69
	s_and_b32 s15, s33, s16
	s_and_saveexec_b32 s16, s15
	s_cbranch_execz .LBB35_11
	s_branch .LBB35_79
.LBB35_34:                              ;   in Loop: Header=BB35_12 Depth=2
	v_mov_b32_e32 v16, 0
	s_mov_b32 s70, exec_lo
	v_cmpx_neq_f32_e32 0, v14
	s_cbranch_execz .LBB35_36
; %bb.35:                               ;   in Loop: Header=BB35_12 Depth=2
	v_div_scale_f32 v16, null, v15, v15, v6
	v_div_scale_f32 v32, vcc_lo, v6, v15, v6
	v_rcp_f32_e32 v30, v16
	v_fma_f32 v31, -v16, v30, 1.0
	v_fmac_f32_e32 v30, v31, v30
	v_mul_f32_e32 v31, v32, v30
	v_fma_f32 v33, -v16, v31, v32
	v_fmac_f32_e32 v31, v33, v30
	v_fma_f32 v16, -v16, v31, v32
	v_div_fmas_f32 v16, v16, v30, v31
	v_div_fixup_f32 v6, v16, v15, v6
	v_fma_f32 v6, v6, v6, 1.0
	v_mul_f32_e32 v16, 0x4f800000, v6
	v_cmp_gt_f32_e32 vcc_lo, 0xf800000, v6
	v_cndmask_b32_e32 v6, v6, v16, vcc_lo
	v_sqrt_f32_e32 v16, v6
	v_add_nc_u32_e32 v30, -1, v16
	v_add_nc_u32_e32 v31, 1, v16
	v_fma_f32 v32, -v30, v16, v6
	v_fma_f32 v33, -v31, v16, v6
	v_cmp_ge_f32_e64 s16, 0, v32
	v_cndmask_b32_e64 v16, v16, v30, s16
	v_cmp_lt_f32_e64 s16, 0, v33
	v_cndmask_b32_e64 v16, v16, v31, s16
	v_mul_f32_e32 v30, 0x37800000, v16
	v_cndmask_b32_e32 v16, v16, v30, vcc_lo
	v_cmp_class_f32_e64 vcc_lo, v6, 0x260
	v_cndmask_b32_e32 v6, v16, v6, vcc_lo
	v_mul_f32_e32 v16, v15, v6
.LBB35_36:                              ;   in Loop: Header=BB35_12 Depth=2
	s_or_b32 exec_lo, exec_lo, s70
                                        ; implicit-def: $vgpr6
                                        ; implicit-def: $vgpr15
	s_andn2_saveexec_b32 s69, s69
	s_cbranch_execz .LBB35_32
.LBB35_37:                              ;   in Loop: Header=BB35_12 Depth=2
	v_div_scale_f32 v16, null, v6, v6, v15
	v_div_scale_f32 v32, vcc_lo, v15, v6, v15
	v_rcp_f32_e32 v30, v16
	v_fma_f32 v31, -v16, v30, 1.0
	v_fmac_f32_e32 v30, v31, v30
	v_mul_f32_e32 v31, v32, v30
	v_fma_f32 v33, -v16, v31, v32
	v_fmac_f32_e32 v31, v33, v30
	v_fma_f32 v16, -v16, v31, v32
	v_div_fmas_f32 v16, v16, v30, v31
	v_div_fixup_f32 v15, v16, v6, v15
	v_fma_f32 v15, v15, v15, 1.0
	v_mul_f32_e32 v16, 0x4f800000, v15
	v_cmp_gt_f32_e32 vcc_lo, 0xf800000, v15
	v_cndmask_b32_e32 v15, v15, v16, vcc_lo
	v_sqrt_f32_e32 v16, v15
	v_add_nc_u32_e32 v30, -1, v16
	v_add_nc_u32_e32 v31, 1, v16
	v_fma_f32 v32, -v30, v16, v15
	v_fma_f32 v33, -v31, v16, v15
	v_cmp_ge_f32_e64 s16, 0, v32
	v_cndmask_b32_e64 v16, v16, v30, s16
	v_cmp_lt_f32_e64 s16, 0, v33
	v_cndmask_b32_e64 v16, v16, v31, s16
	v_mul_f32_e32 v30, 0x37800000, v16
	v_cndmask_b32_e32 v16, v16, v30, vcc_lo
	v_cmp_class_f32_e64 vcc_lo, v15, 0x260
	v_cndmask_b32_e32 v15, v16, v15, vcc_lo
	v_mul_f32_e32 v16, v6, v15
	s_or_b32 exec_lo, exec_lo, s69
	v_cmp_class_f32_e64 s16, v16, 0x1f8
	s_and_saveexec_b32 s69, s16
	s_cbranch_execz .LBB35_33
.LBB35_38:                              ;   in Loop: Header=BB35_12 Depth=2
	s_and_saveexec_b32 s70, s15
	s_xor_b32 s70, exec_lo, s70
	s_cbranch_execz .LBB35_63
; %bb.39:                               ;   in Loop: Header=BB35_12 Depth=2
	s_mov_b32 s15, exec_lo
	v_cmpx_ge_i32_e64 v1, v7
	s_xor_b32 s71, exec_lo, s15
	s_cbranch_execz .LBB35_47
; %bb.40:                               ;   in Loop: Header=BB35_12 Depth=2
	v_lshlrev_b64 v[15:16], 3, v[7:8]
	v_add_co_u32 v30, vcc_lo, s38, v15
	v_add_co_ci_u32_e64 v31, null, s39, v16, vcc_lo
	s_andn2_b32 vcc_lo, exec_lo, s56
	global_store_dwordx2 v[30:31], v[13:14], off
	s_cbranch_vccnz .LBB35_46
; %bb.41:                               ;   in Loop: Header=BB35_12 Depth=2
	v_add_co_u32 v15, vcc_lo, s36, v15
	v_add_co_ci_u32_e64 v16, null, s37, v16, vcc_lo
	s_mov_b32 s15, exec_lo
	global_load_dwordx2 v[15:16], v[15:16], off
	s_waitcnt vmcnt(0)
	v_sub_f32_e32 v6, v15, v13
	v_sub_f32_e32 v15, v16, v14
                                        ; implicit-def: $vgpr14
	v_cmp_gt_f32_e32 vcc_lo, 0, v6
	v_cndmask_b32_e64 v6, v6, -v6, vcc_lo
	v_cmp_gt_f32_e32 vcc_lo, 0, v15
	v_cndmask_b32_e64 v13, v15, -v15, vcc_lo
	v_cmpx_ngt_f32_e32 v6, v13
	s_xor_b32 s72, exec_lo, s15
	s_cbranch_execnz .LBB35_107
; %bb.42:                               ;   in Loop: Header=BB35_12 Depth=2
	s_andn2_saveexec_b32 s72, s72
	s_cbranch_execnz .LBB35_110
.LBB35_43:                              ;   in Loop: Header=BB35_12 Depth=2
	s_or_b32 exec_lo, exec_lo, s72
	v_cmp_class_f32_e64 s72, v14, 0x1f8
	s_and_saveexec_b32 s15, s72
.LBB35_44:                              ;   in Loop: Header=BB35_12 Depth=2
	v_cmp_lt_f32_e32 vcc_lo, v19, v14
	v_cndmask_b32_e32 v19, v19, v14, vcc_lo
.LBB35_45:                              ;   in Loop: Header=BB35_12 Depth=2
	s_or_b32 exec_lo, exec_lo, s15
.LBB35_46:                              ;   in Loop: Header=BB35_12 Depth=2
                                        ; implicit-def: $vgpr13
.LBB35_47:                              ;   in Loop: Header=BB35_12 Depth=2
	s_andn2_saveexec_b32 s71, s71
	s_cbranch_execz .LBB35_62
; %bb.48:                               ;   in Loop: Header=BB35_12 Depth=2
	s_mov_b32 s72, exec_lo
	v_cmpx_lt_i32_e64 v12, v29
	s_cbranch_execz .LBB35_61
; %bb.49:                               ;   in Loop: Header=BB35_12 Depth=2
	v_mov_b32_e32 v6, v12
	s_mov_b32 s15, 0
                                        ; implicit-def: $sgpr73
                                        ; implicit-def: $sgpr75
                                        ; implicit-def: $sgpr74
	s_inst_prefetch 0x1
	s_branch .LBB35_51
	.p2align	6
.LBB35_50:                              ;   in Loop: Header=BB35_51 Depth=3
	s_or_b32 exec_lo, exec_lo, s76
	s_and_b32 s76, exec_lo, s75
	s_or_b32 s15, s76, s15
	s_andn2_b32 s73, s73, exec_lo
	s_and_b32 s76, s74, exec_lo
	s_or_b32 s73, s73, s76
	s_andn2_b32 exec_lo, exec_lo, s15
	s_cbranch_execz .LBB35_53
.LBB35_51:                              ;   Parent Loop BB35_5 Depth=1
                                        ;     Parent Loop BB35_12 Depth=2
                                        ; =>    This Inner Loop Header: Depth=3
	v_add_nc_u32_e32 v15, v11, v6
	s_or_b32 s74, s74, exec_lo
	s_or_b32 s75, s75, exec_lo
	s_mov_b32 s76, exec_lo
	v_ashrrev_i32_e32 v16, 31, v15
	v_lshlrev_b64 v[30:31], 2, v[15:16]
	v_add_co_u32 v30, vcc_lo, s48, v30
	v_add_co_ci_u32_e64 v31, null, s49, v31, vcc_lo
	global_load_dword v30, v[30:31], off
	s_waitcnt vmcnt(0)
	v_subrev_nc_u32_e32 v30, s62, v30
	v_cmpx_ne_u32_e64 v30, v1
	s_cbranch_execz .LBB35_50
; %bb.52:                               ;   in Loop: Header=BB35_51 Depth=3
	v_add_nc_u32_e32 v6, 1, v6
	s_andn2_b32 s75, s75, exec_lo
	s_andn2_b32 s74, s74, exec_lo
	v_cmp_ge_i32_e32 vcc_lo, v6, v29
	s_and_b32 s77, vcc_lo, exec_lo
	s_or_b32 s75, s75, s77
	s_branch .LBB35_50
.LBB35_53:                              ;   in Loop: Header=BB35_12 Depth=2
	s_inst_prefetch 0x2
	s_or_b32 exec_lo, exec_lo, s15
	s_and_saveexec_b32 s15, s73
	s_xor_b32 s73, exec_lo, s15
	s_cbranch_execz .LBB35_60
; %bb.54:                               ;   in Loop: Header=BB35_12 Depth=2
	v_lshlrev_b64 v[15:16], 3, v[15:16]
	v_add_co_u32 v30, vcc_lo, s54, v15
	v_add_co_ci_u32_e64 v31, null, s55, v16, vcc_lo
	s_andn2_b32 vcc_lo, exec_lo, s56
	global_store_dwordx2 v[30:31], v[13:14], off
	s_cbranch_vccnz .LBB35_60
; %bb.55:                               ;   in Loop: Header=BB35_12 Depth=2
	v_add_co_u32 v15, vcc_lo, s50, v15
	v_add_co_ci_u32_e64 v16, null, s51, v16, vcc_lo
	s_mov_b32 s15, exec_lo
	global_load_dwordx2 v[15:16], v[15:16], off
	s_waitcnt vmcnt(0)
	v_sub_f32_e32 v6, v15, v13
	v_sub_f32_e32 v15, v16, v14
                                        ; implicit-def: $vgpr14
	v_cmp_gt_f32_e32 vcc_lo, 0, v6
	v_cndmask_b32_e64 v6, v6, -v6, vcc_lo
	v_cmp_gt_f32_e32 vcc_lo, 0, v15
	v_cndmask_b32_e64 v13, v15, -v15, vcc_lo
	v_cmpx_ngt_f32_e32 v6, v13
	s_xor_b32 s74, exec_lo, s15
	s_cbranch_execnz .LBB35_115
; %bb.56:                               ;   in Loop: Header=BB35_12 Depth=2
	s_andn2_saveexec_b32 s74, s74
	s_cbranch_execnz .LBB35_118
.LBB35_57:                              ;   in Loop: Header=BB35_12 Depth=2
	s_or_b32 exec_lo, exec_lo, s74
	v_cmp_class_f32_e64 s74, v14, 0x1f8
	s_and_saveexec_b32 s15, s74
.LBB35_58:                              ;   in Loop: Header=BB35_12 Depth=2
	v_cmp_lt_f32_e32 vcc_lo, v19, v14
	v_cndmask_b32_e32 v19, v19, v14, vcc_lo
.LBB35_59:                              ;   in Loop: Header=BB35_12 Depth=2
	s_or_b32 exec_lo, exec_lo, s15
.LBB35_60:                              ;   in Loop: Header=BB35_12 Depth=2
	s_or_b32 exec_lo, exec_lo, s73
.LBB35_61:                              ;   in Loop: Header=BB35_12 Depth=2
	s_or_b32 exec_lo, exec_lo, s72
.LBB35_62:                              ;   in Loop: Header=BB35_12 Depth=2
	s_or_b32 exec_lo, exec_lo, s71
                                        ; implicit-def: $vgpr13
.LBB35_63:                              ;   in Loop: Header=BB35_12 Depth=2
	s_andn2_saveexec_b32 s70, s70
	s_cbranch_execz .LBB35_78
; %bb.64:                               ;   in Loop: Header=BB35_12 Depth=2
	s_mov_b32 s71, exec_lo
	v_cmpx_lt_i32_e64 v3, v20
	s_cbranch_execz .LBB35_77
; %bb.65:                               ;   in Loop: Header=BB35_12 Depth=2
	v_mov_b32_e32 v6, v3
	s_mov_b32 s15, 0
                                        ; implicit-def: $sgpr72
                                        ; implicit-def: $sgpr74
                                        ; implicit-def: $sgpr73
	s_inst_prefetch 0x1
	s_branch .LBB35_67
	.p2align	6
.LBB35_66:                              ;   in Loop: Header=BB35_67 Depth=3
	s_or_b32 exec_lo, exec_lo, s75
	s_and_b32 s75, exec_lo, s74
	s_or_b32 s15, s75, s15
	s_andn2_b32 s72, s72, exec_lo
	s_and_b32 s75, s73, exec_lo
	s_or_b32 s72, s72, s75
	s_andn2_b32 exec_lo, exec_lo, s15
	s_cbranch_execz .LBB35_69
.LBB35_67:                              ;   Parent Loop BB35_5 Depth=1
                                        ;     Parent Loop BB35_12 Depth=2
                                        ; =>    This Inner Loop Header: Depth=3
	v_add_nc_u32_e32 v15, v2, v6
	s_or_b32 s73, s73, exec_lo
	s_or_b32 s74, s74, exec_lo
	s_mov_b32 s75, exec_lo
	v_ashrrev_i32_e32 v16, 31, v15
	v_lshlrev_b64 v[30:31], 2, v[15:16]
	v_add_co_u32 v30, vcc_lo, s24, v30
	v_add_co_ci_u32_e64 v31, null, s25, v31, vcc_lo
	global_load_dword v30, v[30:31], off
	s_waitcnt vmcnt(0)
	v_subrev_nc_u32_e32 v30, s60, v30
	v_cmpx_ne_u32_e64 v30, v7
	s_cbranch_execz .LBB35_66
; %bb.68:                               ;   in Loop: Header=BB35_67 Depth=3
	v_add_nc_u32_e32 v6, 1, v6
	s_andn2_b32 s74, s74, exec_lo
	s_andn2_b32 s73, s73, exec_lo
	v_cmp_ge_i32_e32 vcc_lo, v6, v20
	s_and_b32 s76, vcc_lo, exec_lo
	s_or_b32 s74, s74, s76
	s_branch .LBB35_66
.LBB35_69:                              ;   in Loop: Header=BB35_12 Depth=2
	s_inst_prefetch 0x2
	s_or_b32 exec_lo, exec_lo, s15
	s_and_saveexec_b32 s15, s72
	s_xor_b32 s72, exec_lo, s15
	s_cbranch_execz .LBB35_76
; %bb.70:                               ;   in Loop: Header=BB35_12 Depth=2
	v_lshlrev_b64 v[15:16], 3, v[15:16]
	v_add_co_u32 v30, vcc_lo, s34, v15
	v_add_co_ci_u32_e64 v31, null, s35, v16, vcc_lo
	s_andn2_b32 vcc_lo, exec_lo, s56
	global_store_dwordx2 v[30:31], v[13:14], off
	s_cbranch_vccnz .LBB35_76
; %bb.71:                               ;   in Loop: Header=BB35_12 Depth=2
	v_add_co_u32 v15, vcc_lo, s26, v15
	v_add_co_ci_u32_e64 v16, null, s27, v16, vcc_lo
	s_mov_b32 s15, exec_lo
	global_load_dwordx2 v[15:16], v[15:16], off
	s_waitcnt vmcnt(0)
	v_sub_f32_e32 v6, v15, v13
	v_sub_f32_e32 v15, v16, v14
                                        ; implicit-def: $vgpr14
	v_cmp_gt_f32_e32 vcc_lo, 0, v6
	v_cndmask_b32_e64 v6, v6, -v6, vcc_lo
	v_cmp_gt_f32_e32 vcc_lo, 0, v15
	v_cndmask_b32_e64 v13, v15, -v15, vcc_lo
	v_cmpx_ngt_f32_e32 v6, v13
	s_xor_b32 s73, exec_lo, s15
	s_cbranch_execnz .LBB35_111
; %bb.72:                               ;   in Loop: Header=BB35_12 Depth=2
	s_andn2_saveexec_b32 s73, s73
	s_cbranch_execnz .LBB35_114
.LBB35_73:                              ;   in Loop: Header=BB35_12 Depth=2
	s_or_b32 exec_lo, exec_lo, s73
	v_cmp_class_f32_e64 s73, v14, 0x1f8
	s_and_saveexec_b32 s15, s73
.LBB35_74:                              ;   in Loop: Header=BB35_12 Depth=2
	v_cmp_lt_f32_e32 vcc_lo, v19, v14
	v_cndmask_b32_e32 v19, v19, v14, vcc_lo
.LBB35_75:                              ;   in Loop: Header=BB35_12 Depth=2
	s_or_b32 exec_lo, exec_lo, s15
.LBB35_76:                              ;   in Loop: Header=BB35_12 Depth=2
	s_or_b32 exec_lo, exec_lo, s72
.LBB35_77:                              ;   in Loop: Header=BB35_12 Depth=2
	s_or_b32 exec_lo, exec_lo, s71
.LBB35_78:                              ;   in Loop: Header=BB35_12 Depth=2
	s_or_b32 exec_lo, exec_lo, s70
	s_or_b32 exec_lo, exec_lo, s69
	s_and_b32 s15, s33, s16
	s_and_saveexec_b32 s16, s15
	s_cbranch_execz .LBB35_11
.LBB35_79:                              ;   in Loop: Header=BB35_12 Depth=2
	s_mov_b32 s15, exec_lo
	v_cmpx_ge_i32_e64 v12, v29
	s_xor_b32 s15, exec_lo, s15
	s_cbranch_execnz .LBB35_86
; %bb.80:                               ;   in Loop: Header=BB35_12 Depth=2
	s_andn2_saveexec_b32 s15, s15
	s_cbranch_execnz .LBB35_100
.LBB35_81:                              ;   in Loop: Header=BB35_12 Depth=2
	s_or_b32 exec_lo, exec_lo, s15
	s_mov_b32 s15, exec_lo
	v_cmpx_eq_u32_e64 v1, v7
	s_cbranch_execz .LBB35_83
.LBB35_82:                              ;   in Loop: Header=BB35_12 Depth=2
	v_lshlrev_b64 v[6:7], 3, v[7:8]
	v_add_co_u32 v6, vcc_lo, s36, v6
	v_add_co_ci_u32_e64 v7, null, s37, v7, vcc_lo
	global_load_dwordx2 v[6:7], v[6:7], off
	s_waitcnt vmcnt(0)
	v_add_f32_e32 v27, v27, v6
	v_add_f32_e32 v28, v28, v7
.LBB35_83:                              ;   in Loop: Header=BB35_12 Depth=2
	s_or_b32 exec_lo, exec_lo, s15
	v_sub_f32_e32 v3, v9, v27
	v_sub_f32_e32 v8, v10, v28
                                        ; implicit-def: $vgpr7
	s_mov_b32 s15, exec_lo
	v_cmp_gt_f32_e32 vcc_lo, 0, v3
	v_cndmask_b32_e64 v3, v3, -v3, vcc_lo
	v_cmp_gt_f32_e32 vcc_lo, 0, v8
	v_cndmask_b32_e64 v6, v8, -v8, vcc_lo
	v_cmpx_ngt_f32_e32 v3, v6
	s_xor_b32 s69, exec_lo, s15
	s_cbranch_execnz .LBB35_91
; %bb.84:                               ;   in Loop: Header=BB35_12 Depth=2
	s_andn2_saveexec_b32 s69, s69
	s_cbranch_execnz .LBB35_94
.LBB35_85:                              ;   in Loop: Header=BB35_12 Depth=2
	s_or_b32 exec_lo, exec_lo, s69
	v_cmp_class_f32_e64 s69, v7, 0x1f8
	s_and_saveexec_b32 s15, s69
	s_cbranch_execz .LBB35_10
	s_branch .LBB35_95
.LBB35_86:                              ;   in Loop: Header=BB35_12 Depth=2
	s_mov_b32 s69, exec_lo
	v_cmpx_lt_i32_e64 v3, v20
	s_cbranch_execz .LBB35_99
; %bb.87:                               ;   in Loop: Header=BB35_12 Depth=2
	s_mov_b32 s71, 0
                                        ; implicit-def: $sgpr70
                                        ; implicit-def: $sgpr73
                                        ; implicit-def: $sgpr72
	s_inst_prefetch 0x1
	s_branch .LBB35_89
	.p2align	6
.LBB35_88:                              ;   in Loop: Header=BB35_89 Depth=3
	s_or_b32 exec_lo, exec_lo, s74
	s_and_b32 s74, exec_lo, s73
	s_or_b32 s71, s74, s71
	s_andn2_b32 s70, s70, exec_lo
	s_and_b32 s74, s72, exec_lo
	s_or_b32 s70, s70, s74
	s_andn2_b32 exec_lo, exec_lo, s71
	s_cbranch_execz .LBB35_96
.LBB35_89:                              ;   Parent Loop BB35_5 Depth=1
                                        ;     Parent Loop BB35_12 Depth=2
                                        ; =>    This Inner Loop Header: Depth=3
	v_add_nc_u32_e32 v11, v2, v3
	s_or_b32 s72, s72, exec_lo
	s_or_b32 s73, s73, exec_lo
	s_mov_b32 s74, exec_lo
	v_ashrrev_i32_e32 v12, 31, v11
	v_lshlrev_b64 v[13:14], 2, v[11:12]
	v_add_co_u32 v13, vcc_lo, s24, v13
	v_add_co_ci_u32_e64 v14, null, s25, v14, vcc_lo
	global_load_dword v6, v[13:14], off
	s_waitcnt vmcnt(0)
	v_subrev_nc_u32_e32 v6, s60, v6
	v_cmpx_ne_u32_e64 v6, v7
	s_cbranch_execz .LBB35_88
; %bb.90:                               ;   in Loop: Header=BB35_89 Depth=3
	v_add_nc_u32_e32 v3, 1, v3
	s_andn2_b32 s73, s73, exec_lo
	s_andn2_b32 s72, s72, exec_lo
	v_cmp_ge_i32_e32 vcc_lo, v3, v20
	s_and_b32 s75, vcc_lo, exec_lo
	s_or_b32 s73, s73, s75
	s_branch .LBB35_88
.LBB35_91:                              ;   in Loop: Header=BB35_12 Depth=2
	v_mov_b32_e32 v7, 0
	s_mov_b32 s70, exec_lo
	v_cmpx_neq_f32_e32 0, v8
	s_cbranch_execz .LBB35_93
; %bb.92:                               ;   in Loop: Header=BB35_12 Depth=2
	v_div_scale_f32 v7, null, v6, v6, v3
	v_div_scale_f32 v10, vcc_lo, v3, v6, v3
	v_rcp_f32_e32 v8, v7
	v_fma_f32 v9, -v7, v8, 1.0
	v_fmac_f32_e32 v8, v9, v8
	v_mul_f32_e32 v9, v10, v8
	v_fma_f32 v11, -v7, v9, v10
	v_fmac_f32_e32 v9, v11, v8
	v_fma_f32 v7, -v7, v9, v10
	v_div_fmas_f32 v7, v7, v8, v9
	v_div_fixup_f32 v3, v7, v6, v3
	v_fma_f32 v3, v3, v3, 1.0
	v_mul_f32_e32 v7, 0x4f800000, v3
	v_cmp_gt_f32_e32 vcc_lo, 0xf800000, v3
	v_cndmask_b32_e32 v3, v3, v7, vcc_lo
	v_sqrt_f32_e32 v7, v3
	v_add_nc_u32_e32 v8, -1, v7
	v_add_nc_u32_e32 v9, 1, v7
	v_fma_f32 v10, -v8, v7, v3
	v_fma_f32 v11, -v9, v7, v3
	v_cmp_ge_f32_e64 s15, 0, v10
	v_cndmask_b32_e64 v7, v7, v8, s15
	v_cmp_lt_f32_e64 s15, 0, v11
	v_cndmask_b32_e64 v7, v7, v9, s15
	v_mul_f32_e32 v8, 0x37800000, v7
	v_cndmask_b32_e32 v7, v7, v8, vcc_lo
	v_cmp_class_f32_e64 vcc_lo, v3, 0x260
	v_cndmask_b32_e32 v3, v7, v3, vcc_lo
	v_mul_f32_e32 v7, v6, v3
.LBB35_93:                              ;   in Loop: Header=BB35_12 Depth=2
	s_or_b32 exec_lo, exec_lo, s70
                                        ; implicit-def: $vgpr3
                                        ; implicit-def: $vgpr6
	s_andn2_saveexec_b32 s69, s69
	s_cbranch_execz .LBB35_85
.LBB35_94:                              ;   in Loop: Header=BB35_12 Depth=2
	v_div_scale_f32 v7, null, v3, v3, v6
	v_div_scale_f32 v10, vcc_lo, v6, v3, v6
	v_rcp_f32_e32 v8, v7
	v_fma_f32 v9, -v7, v8, 1.0
	v_fmac_f32_e32 v8, v9, v8
	v_mul_f32_e32 v9, v10, v8
	v_fma_f32 v11, -v7, v9, v10
	v_fmac_f32_e32 v9, v11, v8
	v_fma_f32 v7, -v7, v9, v10
	v_div_fmas_f32 v7, v7, v8, v9
	v_div_fixup_f32 v6, v7, v3, v6
	v_fma_f32 v6, v6, v6, 1.0
	v_mul_f32_e32 v7, 0x4f800000, v6
	v_cmp_gt_f32_e32 vcc_lo, 0xf800000, v6
	v_cndmask_b32_e32 v6, v6, v7, vcc_lo
	v_sqrt_f32_e32 v7, v6
	v_add_nc_u32_e32 v8, -1, v7
	v_add_nc_u32_e32 v9, 1, v7
	v_fma_f32 v10, -v8, v7, v6
	v_fma_f32 v11, -v9, v7, v6
	v_cmp_ge_f32_e64 s15, 0, v10
	v_cndmask_b32_e64 v7, v7, v8, s15
	v_cmp_lt_f32_e64 s15, 0, v11
	v_cndmask_b32_e64 v7, v7, v9, s15
	v_mul_f32_e32 v8, 0x37800000, v7
	v_cndmask_b32_e32 v7, v7, v8, vcc_lo
	v_cmp_class_f32_e64 vcc_lo, v6, 0x260
	v_cndmask_b32_e32 v6, v7, v6, vcc_lo
	v_mul_f32_e32 v7, v3, v6
	s_or_b32 exec_lo, exec_lo, s69
	v_cmp_class_f32_e64 s69, v7, 0x1f8
	s_and_saveexec_b32 s15, s69
	s_cbranch_execz .LBB35_10
.LBB35_95:                              ;   in Loop: Header=BB35_12 Depth=2
	v_cmp_lt_f32_e32 vcc_lo, v17, v7
	v_cndmask_b32_e32 v17, v17, v7, vcc_lo
	s_branch .LBB35_10
.LBB35_96:                              ;   in Loop: Header=BB35_12 Depth=2
	s_inst_prefetch 0x2
	s_or_b32 exec_lo, exec_lo, s71
	s_and_saveexec_b32 s71, s70
	s_xor_b32 s70, exec_lo, s71
	s_cbranch_execz .LBB35_98
; %bb.97:                               ;   in Loop: Header=BB35_12 Depth=2
	v_lshlrev_b64 v[11:12], 3, v[11:12]
	v_lshlrev_b64 v[13:14], 3, v[7:8]
	v_add_co_u32 v11, vcc_lo, s26, v11
	v_add_co_ci_u32_e64 v12, null, s27, v12, vcc_lo
	v_add_co_u32 v13, vcc_lo, s36, v13
	v_add_co_ci_u32_e64 v14, null, s37, v14, vcc_lo
	global_load_dwordx2 v[11:12], v[11:12], off
	global_load_dwordx2 v[13:14], v[13:14], off
	s_waitcnt vmcnt(0)
	v_mul_f32_e64 v3, v14, -v12
	v_mul_f32_e32 v6, v14, v11
	v_fmac_f32_e32 v3, v11, v13
	v_fmac_f32_e32 v6, v12, v13
	v_add_f32_e32 v27, v27, v3
	v_add_f32_e32 v28, v28, v6
.LBB35_98:                              ;   in Loop: Header=BB35_12 Depth=2
	s_or_b32 exec_lo, exec_lo, s70
.LBB35_99:                              ;   in Loop: Header=BB35_12 Depth=2
	s_or_b32 exec_lo, exec_lo, s69
                                        ; implicit-def: $vgpr12
                                        ; implicit-def: $vgpr11
                                        ; implicit-def: $vgpr29
	s_andn2_saveexec_b32 s15, s15
	s_cbranch_execz .LBB35_81
.LBB35_100:                             ;   in Loop: Header=BB35_12 Depth=2
	s_mov_b32 s70, 0
                                        ; implicit-def: $sgpr69
                                        ; implicit-def: $sgpr72
                                        ; implicit-def: $sgpr71
	s_inst_prefetch 0x1
	s_branch .LBB35_102
	.p2align	6
.LBB35_101:                             ;   in Loop: Header=BB35_102 Depth=3
	s_or_b32 exec_lo, exec_lo, s73
	s_and_b32 s73, exec_lo, s72
	s_or_b32 s70, s73, s70
	s_andn2_b32 s69, s69, exec_lo
	s_and_b32 s73, s71, exec_lo
	s_or_b32 s69, s69, s73
	s_andn2_b32 exec_lo, exec_lo, s70
	s_cbranch_execz .LBB35_104
.LBB35_102:                             ;   Parent Loop BB35_5 Depth=1
                                        ;     Parent Loop BB35_12 Depth=2
                                        ; =>    This Inner Loop Header: Depth=3
	v_add_nc_u32_e32 v13, v11, v12
	s_or_b32 s71, s71, exec_lo
	s_or_b32 s72, s72, exec_lo
	s_mov_b32 s73, exec_lo
	v_ashrrev_i32_e32 v14, 31, v13
	v_lshlrev_b64 v[15:16], 2, v[13:14]
	v_add_co_u32 v15, vcc_lo, s48, v15
	v_add_co_ci_u32_e64 v16, null, s49, v16, vcc_lo
	global_load_dword v3, v[15:16], off
	s_waitcnt vmcnt(0)
	v_subrev_nc_u32_e32 v3, s62, v3
	v_cmpx_ne_u32_e64 v3, v1
	s_cbranch_execz .LBB35_101
; %bb.103:                              ;   in Loop: Header=BB35_102 Depth=3
	v_add_nc_u32_e32 v12, 1, v12
	s_andn2_b32 s72, s72, exec_lo
	s_andn2_b32 s71, s71, exec_lo
	v_cmp_ge_i32_e32 vcc_lo, v12, v29
	s_and_b32 s74, vcc_lo, exec_lo
	s_or_b32 s72, s72, s74
	s_branch .LBB35_101
.LBB35_104:                             ;   in Loop: Header=BB35_12 Depth=2
	s_inst_prefetch 0x2
	s_or_b32 exec_lo, exec_lo, s70
	s_and_saveexec_b32 s70, s69
	s_xor_b32 s69, exec_lo, s70
	s_cbranch_execz .LBB35_106
; %bb.105:                              ;   in Loop: Header=BB35_12 Depth=2
	v_lshlrev_b64 v[11:12], 3, v[13:14]
	v_add_co_u32 v11, vcc_lo, s50, v11
	v_add_co_ci_u32_e64 v12, null, s51, v12, vcc_lo
	global_load_dwordx2 v[11:12], v[11:12], off
	s_waitcnt vmcnt(0)
	v_add_f32_e32 v27, v27, v11
	v_add_f32_e32 v28, v28, v12
.LBB35_106:                             ;   in Loop: Header=BB35_12 Depth=2
	s_or_b32 exec_lo, exec_lo, s69
	s_or_b32 exec_lo, exec_lo, s15
	s_mov_b32 s15, exec_lo
	v_cmpx_eq_u32_e64 v1, v7
	s_cbranch_execnz .LBB35_82
	s_branch .LBB35_83
.LBB35_107:                             ;   in Loop: Header=BB35_12 Depth=2
	v_mov_b32_e32 v14, 0
	s_mov_b32 s73, exec_lo
	v_cmpx_neq_f32_e32 0, v15
	s_cbranch_execz .LBB35_109
; %bb.108:                              ;   in Loop: Header=BB35_12 Depth=2
	v_div_scale_f32 v14, null, v13, v13, v6
	v_div_scale_f32 v30, vcc_lo, v6, v13, v6
	v_rcp_f32_e32 v15, v14
	v_fma_f32 v16, -v14, v15, 1.0
	v_fmac_f32_e32 v15, v16, v15
	v_mul_f32_e32 v16, v30, v15
	v_fma_f32 v31, -v14, v16, v30
	v_fmac_f32_e32 v16, v31, v15
	v_fma_f32 v14, -v14, v16, v30
	v_div_fmas_f32 v14, v14, v15, v16
	v_div_fixup_f32 v6, v14, v13, v6
	v_fma_f32 v6, v6, v6, 1.0
	v_mul_f32_e32 v14, 0x4f800000, v6
	v_cmp_gt_f32_e32 vcc_lo, 0xf800000, v6
	v_cndmask_b32_e32 v6, v6, v14, vcc_lo
	v_sqrt_f32_e32 v14, v6
	v_add_nc_u32_e32 v15, -1, v14
	v_add_nc_u32_e32 v16, 1, v14
	v_fma_f32 v30, -v15, v14, v6
	v_fma_f32 v31, -v16, v14, v6
	v_cmp_ge_f32_e64 s15, 0, v30
	v_cndmask_b32_e64 v14, v14, v15, s15
	v_cmp_lt_f32_e64 s15, 0, v31
	v_cndmask_b32_e64 v14, v14, v16, s15
	v_mul_f32_e32 v15, 0x37800000, v14
	v_cndmask_b32_e32 v14, v14, v15, vcc_lo
	v_cmp_class_f32_e64 vcc_lo, v6, 0x260
	v_cndmask_b32_e32 v6, v14, v6, vcc_lo
	v_mul_f32_e32 v14, v13, v6
.LBB35_109:                             ;   in Loop: Header=BB35_12 Depth=2
	s_or_b32 exec_lo, exec_lo, s73
                                        ; implicit-def: $vgpr6
                                        ; implicit-def: $vgpr13
	s_andn2_saveexec_b32 s72, s72
	s_cbranch_execz .LBB35_43
.LBB35_110:                             ;   in Loop: Header=BB35_12 Depth=2
	v_div_scale_f32 v14, null, v6, v6, v13
	v_div_scale_f32 v30, vcc_lo, v13, v6, v13
	v_rcp_f32_e32 v15, v14
	v_fma_f32 v16, -v14, v15, 1.0
	v_fmac_f32_e32 v15, v16, v15
	v_mul_f32_e32 v16, v30, v15
	v_fma_f32 v31, -v14, v16, v30
	v_fmac_f32_e32 v16, v31, v15
	v_fma_f32 v14, -v14, v16, v30
	v_div_fmas_f32 v14, v14, v15, v16
	v_div_fixup_f32 v13, v14, v6, v13
	v_fma_f32 v13, v13, v13, 1.0
	v_mul_f32_e32 v14, 0x4f800000, v13
	v_cmp_gt_f32_e32 vcc_lo, 0xf800000, v13
	v_cndmask_b32_e32 v13, v13, v14, vcc_lo
	v_sqrt_f32_e32 v14, v13
	v_add_nc_u32_e32 v15, -1, v14
	v_add_nc_u32_e32 v16, 1, v14
	v_fma_f32 v30, -v15, v14, v13
	v_fma_f32 v31, -v16, v14, v13
	v_cmp_ge_f32_e64 s15, 0, v30
	v_cndmask_b32_e64 v14, v14, v15, s15
	v_cmp_lt_f32_e64 s15, 0, v31
	v_cndmask_b32_e64 v14, v14, v16, s15
	v_mul_f32_e32 v15, 0x37800000, v14
	v_cndmask_b32_e32 v14, v14, v15, vcc_lo
	v_cmp_class_f32_e64 vcc_lo, v13, 0x260
	v_cndmask_b32_e32 v13, v14, v13, vcc_lo
	v_mul_f32_e32 v14, v6, v13
	s_or_b32 exec_lo, exec_lo, s72
	v_cmp_class_f32_e64 s72, v14, 0x1f8
	s_and_saveexec_b32 s15, s72
	s_cbranch_execnz .LBB35_44
	s_branch .LBB35_45
.LBB35_111:                             ;   in Loop: Header=BB35_12 Depth=2
	v_mov_b32_e32 v14, 0
	s_mov_b32 s74, exec_lo
	v_cmpx_neq_f32_e32 0, v15
	s_cbranch_execz .LBB35_113
; %bb.112:                              ;   in Loop: Header=BB35_12 Depth=2
	v_div_scale_f32 v14, null, v13, v13, v6
	v_div_scale_f32 v30, vcc_lo, v6, v13, v6
	v_rcp_f32_e32 v15, v14
	v_fma_f32 v16, -v14, v15, 1.0
	v_fmac_f32_e32 v15, v16, v15
	v_mul_f32_e32 v16, v30, v15
	v_fma_f32 v31, -v14, v16, v30
	v_fmac_f32_e32 v16, v31, v15
	v_fma_f32 v14, -v14, v16, v30
	v_div_fmas_f32 v14, v14, v15, v16
	v_div_fixup_f32 v6, v14, v13, v6
	v_fma_f32 v6, v6, v6, 1.0
	v_mul_f32_e32 v14, 0x4f800000, v6
	v_cmp_gt_f32_e32 vcc_lo, 0xf800000, v6
	v_cndmask_b32_e32 v6, v6, v14, vcc_lo
	v_sqrt_f32_e32 v14, v6
	v_add_nc_u32_e32 v15, -1, v14
	v_add_nc_u32_e32 v16, 1, v14
	v_fma_f32 v30, -v15, v14, v6
	v_fma_f32 v31, -v16, v14, v6
	v_cmp_ge_f32_e64 s15, 0, v30
	v_cndmask_b32_e64 v14, v14, v15, s15
	v_cmp_lt_f32_e64 s15, 0, v31
	v_cndmask_b32_e64 v14, v14, v16, s15
	v_mul_f32_e32 v15, 0x37800000, v14
	v_cndmask_b32_e32 v14, v14, v15, vcc_lo
	v_cmp_class_f32_e64 vcc_lo, v6, 0x260
	v_cndmask_b32_e32 v6, v14, v6, vcc_lo
	v_mul_f32_e32 v14, v13, v6
.LBB35_113:                             ;   in Loop: Header=BB35_12 Depth=2
	s_or_b32 exec_lo, exec_lo, s74
                                        ; implicit-def: $vgpr6
                                        ; implicit-def: $vgpr13
	s_andn2_saveexec_b32 s73, s73
	s_cbranch_execz .LBB35_73
.LBB35_114:                             ;   in Loop: Header=BB35_12 Depth=2
	v_div_scale_f32 v14, null, v6, v6, v13
	v_div_scale_f32 v30, vcc_lo, v13, v6, v13
	v_rcp_f32_e32 v15, v14
	v_fma_f32 v16, -v14, v15, 1.0
	v_fmac_f32_e32 v15, v16, v15
	v_mul_f32_e32 v16, v30, v15
	v_fma_f32 v31, -v14, v16, v30
	v_fmac_f32_e32 v16, v31, v15
	v_fma_f32 v14, -v14, v16, v30
	v_div_fmas_f32 v14, v14, v15, v16
	v_div_fixup_f32 v13, v14, v6, v13
	v_fma_f32 v13, v13, v13, 1.0
	v_mul_f32_e32 v14, 0x4f800000, v13
	v_cmp_gt_f32_e32 vcc_lo, 0xf800000, v13
	v_cndmask_b32_e32 v13, v13, v14, vcc_lo
	v_sqrt_f32_e32 v14, v13
	v_add_nc_u32_e32 v15, -1, v14
	v_add_nc_u32_e32 v16, 1, v14
	v_fma_f32 v30, -v15, v14, v13
	v_fma_f32 v31, -v16, v14, v13
	v_cmp_ge_f32_e64 s15, 0, v30
	v_cndmask_b32_e64 v14, v14, v15, s15
	v_cmp_lt_f32_e64 s15, 0, v31
	v_cndmask_b32_e64 v14, v14, v16, s15
	v_mul_f32_e32 v15, 0x37800000, v14
	v_cndmask_b32_e32 v14, v14, v15, vcc_lo
	v_cmp_class_f32_e64 vcc_lo, v13, 0x260
	v_cndmask_b32_e32 v13, v14, v13, vcc_lo
	v_mul_f32_e32 v14, v6, v13
	s_or_b32 exec_lo, exec_lo, s73
	v_cmp_class_f32_e64 s73, v14, 0x1f8
	s_and_saveexec_b32 s15, s73
	s_cbranch_execnz .LBB35_74
	s_branch .LBB35_75
.LBB35_115:                             ;   in Loop: Header=BB35_12 Depth=2
	v_mov_b32_e32 v14, 0
	s_mov_b32 s75, exec_lo
	v_cmpx_neq_f32_e32 0, v15
	s_cbranch_execz .LBB35_117
; %bb.116:                              ;   in Loop: Header=BB35_12 Depth=2
	v_div_scale_f32 v14, null, v13, v13, v6
	v_div_scale_f32 v30, vcc_lo, v6, v13, v6
	v_rcp_f32_e32 v15, v14
	v_fma_f32 v16, -v14, v15, 1.0
	v_fmac_f32_e32 v15, v16, v15
	v_mul_f32_e32 v16, v30, v15
	v_fma_f32 v31, -v14, v16, v30
	v_fmac_f32_e32 v16, v31, v15
	v_fma_f32 v14, -v14, v16, v30
	v_div_fmas_f32 v14, v14, v15, v16
	v_div_fixup_f32 v6, v14, v13, v6
	v_fma_f32 v6, v6, v6, 1.0
	v_mul_f32_e32 v14, 0x4f800000, v6
	v_cmp_gt_f32_e32 vcc_lo, 0xf800000, v6
	v_cndmask_b32_e32 v6, v6, v14, vcc_lo
	v_sqrt_f32_e32 v14, v6
	v_add_nc_u32_e32 v15, -1, v14
	v_add_nc_u32_e32 v16, 1, v14
	v_fma_f32 v30, -v15, v14, v6
	v_fma_f32 v31, -v16, v14, v6
	v_cmp_ge_f32_e64 s15, 0, v30
	v_cndmask_b32_e64 v14, v14, v15, s15
	v_cmp_lt_f32_e64 s15, 0, v31
	v_cndmask_b32_e64 v14, v14, v16, s15
	v_mul_f32_e32 v15, 0x37800000, v14
	v_cndmask_b32_e32 v14, v14, v15, vcc_lo
	v_cmp_class_f32_e64 vcc_lo, v6, 0x260
	v_cndmask_b32_e32 v6, v14, v6, vcc_lo
	v_mul_f32_e32 v14, v13, v6
.LBB35_117:                             ;   in Loop: Header=BB35_12 Depth=2
	s_or_b32 exec_lo, exec_lo, s75
                                        ; implicit-def: $vgpr6
                                        ; implicit-def: $vgpr13
	s_andn2_saveexec_b32 s74, s74
	s_cbranch_execz .LBB35_57
.LBB35_118:                             ;   in Loop: Header=BB35_12 Depth=2
	v_div_scale_f32 v14, null, v6, v6, v13
	v_div_scale_f32 v30, vcc_lo, v13, v6, v13
	v_rcp_f32_e32 v15, v14
	v_fma_f32 v16, -v14, v15, 1.0
	v_fmac_f32_e32 v15, v16, v15
	v_mul_f32_e32 v16, v30, v15
	v_fma_f32 v31, -v14, v16, v30
	v_fmac_f32_e32 v16, v31, v15
	v_fma_f32 v14, -v14, v16, v30
	v_div_fmas_f32 v14, v14, v15, v16
	v_div_fixup_f32 v13, v14, v6, v13
	v_fma_f32 v13, v13, v13, 1.0
	v_mul_f32_e32 v14, 0x4f800000, v13
	v_cmp_gt_f32_e32 vcc_lo, 0xf800000, v13
	v_cndmask_b32_e32 v13, v13, v14, vcc_lo
	v_sqrt_f32_e32 v14, v13
	v_add_nc_u32_e32 v15, -1, v14
	v_add_nc_u32_e32 v16, 1, v14
	v_fma_f32 v30, -v15, v14, v13
	v_fma_f32 v31, -v16, v14, v13
	v_cmp_ge_f32_e64 s15, 0, v30
	v_cndmask_b32_e64 v14, v14, v15, s15
	v_cmp_lt_f32_e64 s15, 0, v31
	v_cndmask_b32_e64 v14, v14, v16, s15
	v_mul_f32_e32 v15, 0x37800000, v14
	v_cndmask_b32_e32 v14, v14, v15, vcc_lo
	v_cmp_class_f32_e64 vcc_lo, v13, 0x260
	v_cndmask_b32_e32 v13, v14, v13, vcc_lo
	v_mul_f32_e32 v14, v6, v13
	s_or_b32 exec_lo, exec_lo, s74
	v_cmp_class_f32_e64 s74, v14, 0x1f8
	s_and_saveexec_b32 s15, s74
	s_cbranch_execnz .LBB35_58
	s_branch .LBB35_59
.LBB35_119:                             ;   in Loop: Header=BB35_5 Depth=1
	s_or_b32 exec_lo, exec_lo, s68
	s_or_b32 exec_lo, exec_lo, s67
	s_andn2_b32 vcc_lo, exec_lo, s56
	s_cbranch_vccnz .LBB35_7
.LBB35_120:                             ;   in Loop: Header=BB35_5 Depth=1
	ds_write_b32 v18, v19
	s_waitcnt lgkmcnt(0)
	s_waitcnt_vscnt null, 0x0
	s_barrier
	buffer_gl0_inv
	s_and_saveexec_b32 s15, s0
	s_cbranch_execz .LBB35_122
; %bb.121:                              ;   in Loop: Header=BB35_5 Depth=1
	ds_read2st64_b32 v[5:6], v18 offset1:8
	s_waitcnt lgkmcnt(0)
	v_cmp_lt_f32_e32 vcc_lo, v5, v6
	v_cndmask_b32_e32 v3, v5, v6, vcc_lo
	ds_write_b32 v18, v3
.LBB35_122:                             ;   in Loop: Header=BB35_5 Depth=1
	s_or_b32 exec_lo, exec_lo, s15
	s_waitcnt lgkmcnt(0)
	s_barrier
	buffer_gl0_inv
	s_and_saveexec_b32 s15, s1
	s_cbranch_execz .LBB35_124
; %bb.123:                              ;   in Loop: Header=BB35_5 Depth=1
	ds_read2st64_b32 v[5:6], v18 offset1:4
	s_waitcnt lgkmcnt(0)
	v_cmp_lt_f32_e32 vcc_lo, v5, v6
	v_cndmask_b32_e32 v3, v5, v6, vcc_lo
	ds_write_b32 v18, v3
.LBB35_124:                             ;   in Loop: Header=BB35_5 Depth=1
	s_or_b32 exec_lo, exec_lo, s15
	s_waitcnt lgkmcnt(0)
	;; [unrolled: 13-line block ×4, first 2 shown]
	s_barrier
	buffer_gl0_inv
	s_and_saveexec_b32 s15, s6
	s_cbranch_execz .LBB35_130
; %bb.129:                              ;   in Loop: Header=BB35_5 Depth=1
	ds_read2_b32 v[5:6], v18 offset1:32
	s_waitcnt lgkmcnt(0)
	v_cmp_lt_f32_e32 vcc_lo, v5, v6
	v_cndmask_b32_e32 v3, v5, v6, vcc_lo
	ds_write_b32 v18, v3
.LBB35_130:                             ;   in Loop: Header=BB35_5 Depth=1
	s_or_b32 exec_lo, exec_lo, s15
	s_waitcnt lgkmcnt(0)
	s_barrier
	buffer_gl0_inv
	s_and_saveexec_b32 s15, s7
	s_cbranch_execz .LBB35_132
; %bb.131:                              ;   in Loop: Header=BB35_5 Depth=1
	ds_read2_b32 v[5:6], v18 offset1:16
	s_waitcnt lgkmcnt(0)
	v_cmp_lt_f32_e32 vcc_lo, v5, v6
	v_cndmask_b32_e32 v3, v5, v6, vcc_lo
	ds_write_b32 v18, v3
.LBB35_132:                             ;   in Loop: Header=BB35_5 Depth=1
	s_or_b32 exec_lo, exec_lo, s15
	s_waitcnt lgkmcnt(0)
	;; [unrolled: 13-line block ×5, first 2 shown]
	s_barrier
	buffer_gl0_inv
	s_and_saveexec_b32 s15, s11
	s_cbranch_execz .LBB35_140
; %bb.139:                              ;   in Loop: Header=BB35_5 Depth=1
	ds_read_b64 v[5:6], v4
	s_waitcnt lgkmcnt(0)
	v_cmp_lt_f32_e32 vcc_lo, v5, v6
	v_cndmask_b32_e32 v3, v5, v6, vcc_lo
	ds_write_b32 v4, v3
.LBB35_140:                             ;   in Loop: Header=BB35_5 Depth=1
	s_or_b32 exec_lo, exec_lo, s15
	s_waitcnt lgkmcnt(0)
	s_barrier
	buffer_gl0_inv
	ds_read_b32 v3, v4
	s_load_dword s15, s[52:53], 0x0
	s_waitcnt lgkmcnt(0)
	v_div_scale_f32 v5, null, s15, s15, v3
	v_rcp_f32_e32 v6, v5
	v_fma_f32 v7, -v5, v6, 1.0
	v_fmac_f32_e32 v6, v7, v6
	v_div_scale_f32 v7, vcc_lo, v3, s15, v3
	v_mul_f32_e32 v8, v7, v6
	v_fma_f32 v9, -v5, v8, v7
	v_fmac_f32_e32 v8, v9, v6
	v_fma_f32 v5, -v5, v8, v7
	v_div_fmas_f32 v5, v5, v6, v8
	v_div_fixup_f32 v19, v5, s15, v3
	s_andn2_b32 vcc_lo, exec_lo, s33
	s_cbranch_vccnz .LBB35_8
.LBB35_141:                             ;   in Loop: Header=BB35_5 Depth=1
	ds_write_b32 v18, v17
	s_waitcnt lgkmcnt(0)
	s_waitcnt_vscnt null, 0x0
	s_barrier
	buffer_gl0_inv
	s_and_saveexec_b32 s15, s0
	s_cbranch_execz .LBB35_143
; %bb.142:                              ;   in Loop: Header=BB35_5 Depth=1
	ds_read2st64_b32 v[5:6], v18 offset1:8
	s_waitcnt lgkmcnt(0)
	v_cmp_lt_f32_e32 vcc_lo, v5, v6
	v_cndmask_b32_e32 v3, v5, v6, vcc_lo
	ds_write_b32 v18, v3
.LBB35_143:                             ;   in Loop: Header=BB35_5 Depth=1
	s_or_b32 exec_lo, exec_lo, s15
	s_waitcnt lgkmcnt(0)
	s_barrier
	buffer_gl0_inv
	s_and_saveexec_b32 s15, s1
	s_cbranch_execz .LBB35_145
; %bb.144:                              ;   in Loop: Header=BB35_5 Depth=1
	ds_read2st64_b32 v[5:6], v18 offset1:4
	s_waitcnt lgkmcnt(0)
	v_cmp_lt_f32_e32 vcc_lo, v5, v6
	v_cndmask_b32_e32 v3, v5, v6, vcc_lo
	ds_write_b32 v18, v3
.LBB35_145:                             ;   in Loop: Header=BB35_5 Depth=1
	s_or_b32 exec_lo, exec_lo, s15
	s_waitcnt lgkmcnt(0)
	;; [unrolled: 13-line block ×4, first 2 shown]
	s_barrier
	buffer_gl0_inv
	s_and_saveexec_b32 s15, s6
	s_cbranch_execz .LBB35_151
; %bb.150:                              ;   in Loop: Header=BB35_5 Depth=1
	ds_read2_b32 v[5:6], v18 offset1:32
	s_waitcnt lgkmcnt(0)
	v_cmp_lt_f32_e32 vcc_lo, v5, v6
	v_cndmask_b32_e32 v3, v5, v6, vcc_lo
	ds_write_b32 v18, v3
.LBB35_151:                             ;   in Loop: Header=BB35_5 Depth=1
	s_or_b32 exec_lo, exec_lo, s15
	s_waitcnt lgkmcnt(0)
	s_barrier
	buffer_gl0_inv
	s_and_saveexec_b32 s15, s7
	s_cbranch_execz .LBB35_153
; %bb.152:                              ;   in Loop: Header=BB35_5 Depth=1
	ds_read2_b32 v[5:6], v18 offset1:16
	s_waitcnt lgkmcnt(0)
	v_cmp_lt_f32_e32 vcc_lo, v5, v6
	v_cndmask_b32_e32 v3, v5, v6, vcc_lo
	ds_write_b32 v18, v3
.LBB35_153:                             ;   in Loop: Header=BB35_5 Depth=1
	s_or_b32 exec_lo, exec_lo, s15
	s_waitcnt lgkmcnt(0)
	;; [unrolled: 13-line block ×5, first 2 shown]
	s_barrier
	buffer_gl0_inv
	s_and_saveexec_b32 s15, s11
	s_cbranch_execz .LBB35_161
; %bb.160:                              ;   in Loop: Header=BB35_5 Depth=1
	ds_read_b64 v[5:6], v4
	s_waitcnt lgkmcnt(0)
	v_cmp_lt_f32_e32 vcc_lo, v5, v6
	v_cndmask_b32_e32 v3, v5, v6, vcc_lo
	ds_write_b32 v4, v3
.LBB35_161:                             ;   in Loop: Header=BB35_5 Depth=1
	s_or_b32 exec_lo, exec_lo, s15
	s_waitcnt lgkmcnt(0)
	s_barrier
	buffer_gl0_inv
	ds_read_b32 v3, v4
	s_load_dword s15, s[52:53], 0x0
	s_waitcnt lgkmcnt(0)
	v_div_scale_f32 v5, null, s15, s15, v3
	v_rcp_f32_e32 v6, v5
	v_fma_f32 v7, -v5, v6, 1.0
	v_fmac_f32_e32 v6, v7, v6
	v_div_scale_f32 v7, vcc_lo, v3, s15, v3
	v_mul_f32_e32 v8, v7, v6
	v_fma_f32 v9, -v5, v8, v7
	v_fmac_f32_e32 v8, v9, v6
	v_fma_f32 v5, -v5, v8, v7
	v_div_fmas_f32 v5, v5, v6, v8
	v_div_fixup_f32 v17, v5, s15, v3
	s_and_saveexec_b32 s16, s12
	s_cbranch_execz .LBB35_172
.LBB35_162:                             ;   in Loop: Header=BB35_5 Depth=1
	v_mov_b32_e32 v5, v1
	s_mov_b32 s67, 0
	s_branch .LBB35_165
.LBB35_163:                             ;   in Loop: Header=BB35_165 Depth=2
	s_or_b32 exec_lo, exec_lo, s69
	v_lshlrev_b64 v[6:7], 3, v[5:6]
	v_add_co_u32 v8, vcc_lo, s38, v6
	v_add_co_ci_u32_e64 v9, null, s39, v7, vcc_lo
	v_add_co_u32 v6, vcc_lo, s36, v6
	v_add_co_ci_u32_e64 v7, null, s37, v7, vcc_lo
	global_load_dwordx2 v[8:9], v[8:9], off
	s_waitcnt vmcnt(0)
	global_store_dwordx2 v[6:7], v[8:9], off
.LBB35_164:                             ;   in Loop: Header=BB35_165 Depth=2
	s_or_b32 exec_lo, exec_lo, s68
	v_add_nc_u32_e32 v5, 0x400, v5
	v_cmp_le_u32_e32 vcc_lo, s63, v5
	s_or_b32 s67, vcc_lo, s67
	s_andn2_b32 exec_lo, exec_lo, s67
	s_cbranch_execz .LBB35_172
.LBB35_165:                             ;   Parent Loop BB35_5 Depth=1
                                        ; =>  This Loop Header: Depth=2
                                        ;       Child Loop BB35_168 Depth 3
                                        ;       Child Loop BB35_171 Depth 3
	s_mov_b32 s68, exec_lo
	v_cmpx_gt_i32_e64 s19, v5
	s_cbranch_execz .LBB35_164
; %bb.166:                              ;   in Loop: Header=BB35_165 Depth=2
	v_ashrrev_i32_e32 v6, 31, v5
	s_mov_b32 s69, exec_lo
	v_lshlrev_b64 v[7:8], 2, v[5:6]
	v_add_co_u32 v9, vcc_lo, s20, v7
	v_add_co_ci_u32_e64 v10, null, s21, v8, vcc_lo
	v_add_co_u32 v11, vcc_lo, s22, v7
	v_add_co_ci_u32_e64 v12, null, s23, v8, vcc_lo
	global_load_dword v9, v[9:10], off
	global_load_dword v3, v[11:12], off
	s_waitcnt vmcnt(0)
	v_cmpx_lt_i32_e64 v9, v3
	s_cbranch_execz .LBB35_169
; %bb.167:                              ;   in Loop: Header=BB35_165 Depth=2
	v_subrev_nc_u32_e32 v9, s60, v9
	v_subrev_nc_u32_e32 v3, s60, v3
	s_mov_b32 s70, 0
	v_ashrrev_i32_e32 v10, 31, v9
	v_lshlrev_b64 v[12:13], 3, v[9:10]
	v_add_co_u32 v10, vcc_lo, s34, v12
	v_add_co_ci_u32_e64 v11, null, s35, v13, vcc_lo
	v_add_co_u32 v12, vcc_lo, s26, v12
	v_add_co_ci_u32_e64 v13, null, s27, v13, vcc_lo
	.p2align	6
.LBB35_168:                             ;   Parent Loop BB35_5 Depth=1
                                        ;     Parent Loop BB35_165 Depth=2
                                        ; =>    This Inner Loop Header: Depth=3
	global_load_dwordx2 v[14:15], v[10:11], off
	v_add_nc_u32_e32 v9, 1, v9
	v_add_co_u32 v10, vcc_lo, v10, 8
	v_add_co_ci_u32_e64 v11, null, 0, v11, vcc_lo
	v_cmp_ge_i32_e32 vcc_lo, v9, v3
	s_or_b32 s70, vcc_lo, s70
	s_waitcnt vmcnt(0)
	global_store_dwordx2 v[12:13], v[14:15], off
	v_add_co_u32 v12, s15, v12, 8
	v_add_co_ci_u32_e64 v13, null, 0, v13, s15
	s_andn2_b32 exec_lo, exec_lo, s70
	s_cbranch_execnz .LBB35_168
.LBB35_169:                             ;   in Loop: Header=BB35_165 Depth=2
	s_or_b32 exec_lo, exec_lo, s69
	v_add_co_u32 v9, vcc_lo, s44, v7
	v_add_co_ci_u32_e64 v10, null, s45, v8, vcc_lo
	v_add_co_u32 v11, vcc_lo, s46, v7
	v_add_co_ci_u32_e64 v12, null, s47, v8, vcc_lo
	global_load_dword v7, v[9:10], off
	global_load_dword v3, v[11:12], off
	s_mov_b32 s69, exec_lo
	s_waitcnt vmcnt(0)
	v_cmpx_lt_i32_e64 v7, v3
	s_cbranch_execz .LBB35_163
; %bb.170:                              ;   in Loop: Header=BB35_165 Depth=2
	v_subrev_nc_u32_e32 v7, s62, v7
	v_subrev_nc_u32_e32 v3, s62, v3
	s_mov_b32 s70, 0
	v_ashrrev_i32_e32 v8, 31, v7
	v_lshlrev_b64 v[10:11], 3, v[7:8]
	v_add_co_u32 v8, vcc_lo, s54, v10
	v_add_co_ci_u32_e64 v9, null, s55, v11, vcc_lo
	v_add_co_u32 v10, vcc_lo, s50, v10
	v_add_co_ci_u32_e64 v11, null, s51, v11, vcc_lo
	.p2align	6
.LBB35_171:                             ;   Parent Loop BB35_5 Depth=1
                                        ;     Parent Loop BB35_165 Depth=2
                                        ; =>    This Inner Loop Header: Depth=3
	global_load_dwordx2 v[12:13], v[8:9], off
	v_add_nc_u32_e32 v7, 1, v7
	v_add_co_u32 v8, vcc_lo, v8, 8
	v_add_co_ci_u32_e64 v9, null, 0, v9, vcc_lo
	v_cmp_ge_i32_e32 vcc_lo, v7, v3
	s_or_b32 s70, vcc_lo, s70
	s_waitcnt vmcnt(0)
	global_store_dwordx2 v[10:11], v[12:13], off
	v_add_co_u32 v10, s15, v10, 8
	v_add_co_ci_u32_e64 v11, null, 0, v11, s15
	s_andn2_b32 exec_lo, exec_lo, s70
	s_cbranch_execnz .LBB35_171
	s_branch .LBB35_163
.LBB35_172:                             ;   in Loop: Header=BB35_5 Depth=1
	s_or_b32 exec_lo, exec_lo, s16
	s_mov_b32 s16, -1
	s_and_b32 vcc_lo, exec_lo, s57
	s_mov_b32 s67, -1
	s_cbranch_vccz .LBB35_182
; %bb.173:                              ;   in Loop: Header=BB35_5 Depth=1
	s_and_b32 vcc_lo, exec_lo, s65
	s_mov_b32 s15, -1
                                        ; implicit-def: $sgpr67
	s_cbranch_vccz .LBB35_179
; %bb.174:                              ;   in Loop: Header=BB35_5 Depth=1
	s_and_b32 vcc_lo, exec_lo, s64
                                        ; implicit-def: $sgpr67
	s_cbranch_vccz .LBB35_176
; %bb.175:                              ;   in Loop: Header=BB35_5 Depth=1
	v_cmp_ge_f32_e64 s67, s18, v17
	s_mov_b32 s15, 0
.LBB35_176:                             ;   in Loop: Header=BB35_5 Depth=1
	s_andn2_b32 vcc_lo, exec_lo, s15
	s_cbranch_vccnz .LBB35_178
; %bb.177:                              ;   in Loop: Header=BB35_5 Depth=1
	v_cmp_ge_f32_e32 vcc_lo, s18, v19
	s_andn2_b32 s15, s67, exec_lo
	s_and_b32 s67, vcc_lo, exec_lo
	s_or_b32 s67, s15, s67
.LBB35_178:                             ;   in Loop: Header=BB35_5 Depth=1
	s_mov_b32 s15, 0
.LBB35_179:                             ;   in Loop: Header=BB35_5 Depth=1
	s_andn2_b32 vcc_lo, exec_lo, s15
	s_cbranch_vccnz .LBB35_181
; %bb.180:                              ;   in Loop: Header=BB35_5 Depth=1
	v_cmp_ge_f32_e32 vcc_lo, s18, v19
	v_cmp_ge_f32_e64 s15, s18, v17
	s_andn2_b32 s67, s67, exec_lo
	s_and_b32 s15, vcc_lo, s15
	s_and_b32 s15, s15, exec_lo
	s_or_b32 s67, s67, s15
.LBB35_181:                             ;   in Loop: Header=BB35_5 Depth=1
	s_xor_b32 s67, s67, -1
.LBB35_182:                             ;   in Loop: Header=BB35_5 Depth=1
	v_mov_b32_e32 v3, s66
	s_and_saveexec_b32 s15, s67
	s_cbranch_execz .LBB35_4
; %bb.183:                              ;   in Loop: Header=BB35_5 Depth=1
	s_add_i32 s66, s66, 1
	v_mov_b32_e32 v3, s17
	s_cmp_eq_u32 s66, s17
	s_cselect_b32 s16, -1, 0
	s_orn2_b32 s16, s16, exec_lo
	s_branch .LBB35_4
.LBB35_184:
	s_or_b32 exec_lo, exec_lo, s58
	s_or_b32 exec_lo, exec_lo, s59
	s_andn2_b32 vcc_lo, exec_lo, s57
	s_cbranch_vccnz .LBB35_2
.LBB35_185:
	v_or_b32_e32 v1, 0x1000, v18
	s_mov_b32 s0, exec_lo
	ds_write_b32 v18, v3 offset:4096
	s_waitcnt lgkmcnt(0)
	s_waitcnt_vscnt null, 0x0
	s_barrier
	buffer_gl0_inv
	v_cmpx_gt_u32_e32 0x200, v0
	s_cbranch_execz .LBB35_187
; %bb.186:
	ds_read2st64_b32 v[2:3], v1 offset1:8
	s_waitcnt lgkmcnt(0)
	v_max_i32_e32 v2, v2, v3
	ds_write_b32 v1, v2
.LBB35_187:
	s_or_b32 exec_lo, exec_lo, s0
	s_mov_b32 s0, exec_lo
	s_waitcnt lgkmcnt(0)
	s_barrier
	buffer_gl0_inv
	v_cmpx_gt_u32_e32 0x100, v0
	s_cbranch_execz .LBB35_189
; %bb.188:
	ds_read2st64_b32 v[2:3], v1 offset1:4
	s_waitcnt lgkmcnt(0)
	v_max_i32_e32 v2, v2, v3
	ds_write_b32 v1, v2
.LBB35_189:
	s_or_b32 exec_lo, exec_lo, s0
	s_mov_b32 s0, exec_lo
	s_waitcnt lgkmcnt(0)
	;; [unrolled: 13-line block ×4, first 2 shown]
	s_barrier
	buffer_gl0_inv
	v_cmpx_gt_u32_e32 32, v0
	s_cbranch_execz .LBB35_195
; %bb.194:
	ds_read2_b32 v[2:3], v1 offset1:32
	s_waitcnt lgkmcnt(0)
	v_max_i32_e32 v2, v2, v3
	ds_write_b32 v1, v2
.LBB35_195:
	s_or_b32 exec_lo, exec_lo, s0
	s_mov_b32 s0, exec_lo
	s_waitcnt lgkmcnt(0)
	s_barrier
	buffer_gl0_inv
	v_cmpx_gt_u32_e32 16, v0
	s_cbranch_execz .LBB35_197
; %bb.196:
	ds_read2_b32 v[2:3], v1 offset1:16
	s_waitcnt lgkmcnt(0)
	v_max_i32_e32 v2, v2, v3
	ds_write_b32 v1, v2
.LBB35_197:
	s_or_b32 exec_lo, exec_lo, s0
	s_mov_b32 s0, exec_lo
	s_waitcnt lgkmcnt(0)
	;; [unrolled: 13-line block ×4, first 2 shown]
	s_barrier
	buffer_gl0_inv
	v_cmpx_gt_u32_e32 2, v0
	s_cbranch_execz .LBB35_203
; %bb.202:
	ds_read2_b32 v[2:3], v1 offset1:2
	s_waitcnt lgkmcnt(0)
	v_max_i32_e32 v2, v2, v3
	ds_write_b32 v1, v2
.LBB35_203:
	s_or_b32 exec_lo, exec_lo, s0
	v_cmp_eq_u32_e32 vcc_lo, 0, v0
	s_waitcnt lgkmcnt(0)
	s_barrier
	buffer_gl0_inv
	s_and_saveexec_b32 s0, vcc_lo
	s_cbranch_execz .LBB35_205
; %bb.204:
	v_mov_b32_e32 v3, 0
	ds_read_b64 v[1:2], v3 offset:4096
	s_waitcnt lgkmcnt(0)
	v_max_i32_e32 v1, v1, v2
	ds_write_b32 v3, v1 offset:4096
.LBB35_205:
	s_or_b32 exec_lo, exec_lo, s0
	s_waitcnt lgkmcnt(0)
	s_barrier
	buffer_gl0_inv
	s_and_saveexec_b32 s0, vcc_lo
	s_cbranch_execz .LBB35_208
; %bb.206:
	v_mbcnt_lo_u32_b32 v1, exec_lo, 0
	v_cmp_eq_u32_e32 vcc_lo, 0, v1
	s_and_b32 exec_lo, exec_lo, vcc_lo
	s_cbranch_execz .LBB35_208
; %bb.207:
	v_mov_b32_e32 v1, 0
	s_load_dwordx2 s[2:3], s[4:5], 0x8
	ds_read_b32 v2, v1 offset:4096
	s_waitcnt lgkmcnt(0)
	v_add_nc_u32_e32 v2, 1, v2
	global_atomic_smax v1, v2, s[2:3]
.LBB35_208:
	s_or_b32 exec_lo, exec_lo, s0
	v_cmp_eq_u32_e32 vcc_lo, 0, v0
	s_and_b32 s0, vcc_lo, s56
	s_and_saveexec_b32 s1, s0
	s_cbranch_execz .LBB35_215
.LBB35_209:
	v_mov_b32_e32 v0, 0x7fc00000
	s_mov_b32 s0, exec_lo
.LBB35_210:                             ; =>This Inner Loop Header: Depth=1
	s_ff1_i32_b32 s2, s0
	v_max_f32_e32 v0, v0, v0
	v_readlane_b32 s3, v19, s2
	s_lshl_b32 s2, 1, s2
	s_andn2_b32 s0, s0, s2
	s_cmp_lg_u32 s0, 0
	v_max_f32_e64 v1, s3, s3
	v_max_f32_e32 v0, v0, v1
	s_cbranch_scc1 .LBB35_210
; %bb.211:
	v_mbcnt_lo_u32_b32 v1, exec_lo, 0
	s_mov_b32 s2, 0
	s_mov_b32 s3, exec_lo
	v_cmpx_eq_u32_e32 0, v1
	s_xor_b32 s3, exec_lo, s3
	s_cbranch_execz .LBB35_215
; %bb.212:
	v_mov_b32_e32 v2, 0
	v_max_f32_e32 v3, v0, v0
	global_load_dword v1, v2, s[28:29]
.LBB35_213:                             ; =>This Inner Loop Header: Depth=1
	s_waitcnt vmcnt(0)
	v_max_f32_e32 v0, v1, v1
	v_max_f32_e32 v0, v0, v3
	global_atomic_cmpswap v0, v2, v[0:1], s[28:29] glc
	s_waitcnt vmcnt(0)
	v_cmp_eq_u32_e64 s0, v0, v1
	v_mov_b32_e32 v1, v0
	s_or_b32 s2, s0, s2
	s_andn2_b32 exec_lo, exec_lo, s2
	s_cbranch_execnz .LBB35_213
; %bb.214:
	s_or_b32 exec_lo, exec_lo, s2
.LBB35_215:
	s_or_b32 exec_lo, exec_lo, s1
	s_and_b32 s0, vcc_lo, s33
	s_and_saveexec_b32 s1, s0
	s_cbranch_execz .LBB35_221
; %bb.216:
	v_mov_b32_e32 v0, 0x7fc00000
	s_mov_b32 s0, exec_lo
.LBB35_217:                             ; =>This Inner Loop Header: Depth=1
	s_ff1_i32_b32 s1, s0
	v_max_f32_e32 v0, v0, v0
	v_readlane_b32 s2, v17, s1
	s_lshl_b32 s1, 1, s1
	s_andn2_b32 s0, s0, s1
	s_cmp_lg_u32 s0, 0
	v_max_f32_e64 v1, s2, s2
	v_max_f32_e32 v0, v0, v1
	s_cbranch_scc1 .LBB35_217
; %bb.218:
	v_mbcnt_lo_u32_b32 v1, exec_lo, 0
	s_mov_b32 s0, 0
	s_mov_b32 s1, exec_lo
	v_cmpx_eq_u32_e32 0, v1
	s_xor_b32 s1, exec_lo, s1
	s_cbranch_execz .LBB35_221
; %bb.219:
	v_mov_b32_e32 v2, 0
	v_max_f32_e32 v3, v0, v0
	global_load_dword v1, v2, s[30:31]
.LBB35_220:                             ; =>This Inner Loop Header: Depth=1
	s_waitcnt vmcnt(0)
	v_max_f32_e32 v0, v1, v1
	v_max_f32_e32 v0, v0, v3
	global_atomic_cmpswap v0, v2, v[0:1], s[30:31] glc
	s_waitcnt vmcnt(0)
	v_cmp_eq_u32_e32 vcc_lo, v0, v1
	v_mov_b32_e32 v1, v0
	s_or_b32 s0, vcc_lo, s0
	s_andn2_b32 exec_lo, exec_lo, s0
	s_cbranch_execnz .LBB35_220
.LBB35_221:
	s_endpgm
	.section	.rodata,"a",@progbits
	.p2align	6, 0x0
	.amdhsa_kernel _ZN9rocsparseL6kernelILi1024ELi1E21rocsparse_complex_numIfEiiEEvbbbT3_PS3_NS_15floating_traitsIT1_E6data_tES3_T2_PKS9_SB_PKS3_PKS6_21rocsparse_index_base_SB_SB_SD_PS6_SH_SG_SB_SB_SD_SH_SH_SG_SH_SH_PS8_SI_PKS8_
		.amdhsa_group_segment_fixed_size 8192
		.amdhsa_private_segment_fixed_size 0
		.amdhsa_kernarg_size 208
		.amdhsa_user_sgpr_count 6
		.amdhsa_user_sgpr_private_segment_buffer 1
		.amdhsa_user_sgpr_dispatch_ptr 0
		.amdhsa_user_sgpr_queue_ptr 0
		.amdhsa_user_sgpr_kernarg_segment_ptr 1
		.amdhsa_user_sgpr_dispatch_id 0
		.amdhsa_user_sgpr_flat_scratch_init 0
		.amdhsa_user_sgpr_private_segment_size 0
		.amdhsa_wavefront_size32 1
		.amdhsa_uses_dynamic_stack 0
		.amdhsa_system_sgpr_private_segment_wavefront_offset 0
		.amdhsa_system_sgpr_workgroup_id_x 1
		.amdhsa_system_sgpr_workgroup_id_y 0
		.amdhsa_system_sgpr_workgroup_id_z 0
		.amdhsa_system_sgpr_workgroup_info 0
		.amdhsa_system_vgpr_workitem_id 0
		.amdhsa_next_free_vgpr 36
		.amdhsa_next_free_sgpr 78
		.amdhsa_reserve_vcc 1
		.amdhsa_reserve_flat_scratch 0
		.amdhsa_float_round_mode_32 0
		.amdhsa_float_round_mode_16_64 0
		.amdhsa_float_denorm_mode_32 3
		.amdhsa_float_denorm_mode_16_64 3
		.amdhsa_dx10_clamp 1
		.amdhsa_ieee_mode 1
		.amdhsa_fp16_overflow 0
		.amdhsa_workgroup_processor_mode 1
		.amdhsa_memory_ordered 1
		.amdhsa_forward_progress 1
		.amdhsa_shared_vgpr_count 0
		.amdhsa_exception_fp_ieee_invalid_op 0
		.amdhsa_exception_fp_denorm_src 0
		.amdhsa_exception_fp_ieee_div_zero 0
		.amdhsa_exception_fp_ieee_overflow 0
		.amdhsa_exception_fp_ieee_underflow 0
		.amdhsa_exception_fp_ieee_inexact 0
		.amdhsa_exception_int_div_zero 0
	.end_amdhsa_kernel
	.section	.text._ZN9rocsparseL6kernelILi1024ELi1E21rocsparse_complex_numIfEiiEEvbbbT3_PS3_NS_15floating_traitsIT1_E6data_tES3_T2_PKS9_SB_PKS3_PKS6_21rocsparse_index_base_SB_SB_SD_PS6_SH_SG_SB_SB_SD_SH_SH_SG_SH_SH_PS8_SI_PKS8_,"axG",@progbits,_ZN9rocsparseL6kernelILi1024ELi1E21rocsparse_complex_numIfEiiEEvbbbT3_PS3_NS_15floating_traitsIT1_E6data_tES3_T2_PKS9_SB_PKS3_PKS6_21rocsparse_index_base_SB_SB_SD_PS6_SH_SG_SB_SB_SD_SH_SH_SG_SH_SH_PS8_SI_PKS8_,comdat
.Lfunc_end35:
	.size	_ZN9rocsparseL6kernelILi1024ELi1E21rocsparse_complex_numIfEiiEEvbbbT3_PS3_NS_15floating_traitsIT1_E6data_tES3_T2_PKS9_SB_PKS3_PKS6_21rocsparse_index_base_SB_SB_SD_PS6_SH_SG_SB_SB_SD_SH_SH_SG_SH_SH_PS8_SI_PKS8_, .Lfunc_end35-_ZN9rocsparseL6kernelILi1024ELi1E21rocsparse_complex_numIfEiiEEvbbbT3_PS3_NS_15floating_traitsIT1_E6data_tES3_T2_PKS9_SB_PKS3_PKS6_21rocsparse_index_base_SB_SB_SD_PS6_SH_SG_SB_SB_SD_SH_SH_SG_SH_SH_PS8_SI_PKS8_
                                        ; -- End function
	.set _ZN9rocsparseL6kernelILi1024ELi1E21rocsparse_complex_numIfEiiEEvbbbT3_PS3_NS_15floating_traitsIT1_E6data_tES3_T2_PKS9_SB_PKS3_PKS6_21rocsparse_index_base_SB_SB_SD_PS6_SH_SG_SB_SB_SD_SH_SH_SG_SH_SH_PS8_SI_PKS8_.num_vgpr, 36
	.set _ZN9rocsparseL6kernelILi1024ELi1E21rocsparse_complex_numIfEiiEEvbbbT3_PS3_NS_15floating_traitsIT1_E6data_tES3_T2_PKS9_SB_PKS3_PKS6_21rocsparse_index_base_SB_SB_SD_PS6_SH_SG_SB_SB_SD_SH_SH_SG_SH_SH_PS8_SI_PKS8_.num_agpr, 0
	.set _ZN9rocsparseL6kernelILi1024ELi1E21rocsparse_complex_numIfEiiEEvbbbT3_PS3_NS_15floating_traitsIT1_E6data_tES3_T2_PKS9_SB_PKS3_PKS6_21rocsparse_index_base_SB_SB_SD_PS6_SH_SG_SB_SB_SD_SH_SH_SG_SH_SH_PS8_SI_PKS8_.numbered_sgpr, 78
	.set _ZN9rocsparseL6kernelILi1024ELi1E21rocsparse_complex_numIfEiiEEvbbbT3_PS3_NS_15floating_traitsIT1_E6data_tES3_T2_PKS9_SB_PKS3_PKS6_21rocsparse_index_base_SB_SB_SD_PS6_SH_SG_SB_SB_SD_SH_SH_SG_SH_SH_PS8_SI_PKS8_.num_named_barrier, 0
	.set _ZN9rocsparseL6kernelILi1024ELi1E21rocsparse_complex_numIfEiiEEvbbbT3_PS3_NS_15floating_traitsIT1_E6data_tES3_T2_PKS9_SB_PKS3_PKS6_21rocsparse_index_base_SB_SB_SD_PS6_SH_SG_SB_SB_SD_SH_SH_SG_SH_SH_PS8_SI_PKS8_.private_seg_size, 0
	.set _ZN9rocsparseL6kernelILi1024ELi1E21rocsparse_complex_numIfEiiEEvbbbT3_PS3_NS_15floating_traitsIT1_E6data_tES3_T2_PKS9_SB_PKS3_PKS6_21rocsparse_index_base_SB_SB_SD_PS6_SH_SG_SB_SB_SD_SH_SH_SG_SH_SH_PS8_SI_PKS8_.uses_vcc, 1
	.set _ZN9rocsparseL6kernelILi1024ELi1E21rocsparse_complex_numIfEiiEEvbbbT3_PS3_NS_15floating_traitsIT1_E6data_tES3_T2_PKS9_SB_PKS3_PKS6_21rocsparse_index_base_SB_SB_SD_PS6_SH_SG_SB_SB_SD_SH_SH_SG_SH_SH_PS8_SI_PKS8_.uses_flat_scratch, 0
	.set _ZN9rocsparseL6kernelILi1024ELi1E21rocsparse_complex_numIfEiiEEvbbbT3_PS3_NS_15floating_traitsIT1_E6data_tES3_T2_PKS9_SB_PKS3_PKS6_21rocsparse_index_base_SB_SB_SD_PS6_SH_SG_SB_SB_SD_SH_SH_SG_SH_SH_PS8_SI_PKS8_.has_dyn_sized_stack, 0
	.set _ZN9rocsparseL6kernelILi1024ELi1E21rocsparse_complex_numIfEiiEEvbbbT3_PS3_NS_15floating_traitsIT1_E6data_tES3_T2_PKS9_SB_PKS3_PKS6_21rocsparse_index_base_SB_SB_SD_PS6_SH_SG_SB_SB_SD_SH_SH_SG_SH_SH_PS8_SI_PKS8_.has_recursion, 0
	.set _ZN9rocsparseL6kernelILi1024ELi1E21rocsparse_complex_numIfEiiEEvbbbT3_PS3_NS_15floating_traitsIT1_E6data_tES3_T2_PKS9_SB_PKS3_PKS6_21rocsparse_index_base_SB_SB_SD_PS6_SH_SG_SB_SB_SD_SH_SH_SG_SH_SH_PS8_SI_PKS8_.has_indirect_call, 0
	.section	.AMDGPU.csdata,"",@progbits
; Kernel info:
; codeLenInByte = 9132
; TotalNumSgprs: 80
; NumVgprs: 36
; ScratchSize: 0
; MemoryBound: 0
; FloatMode: 240
; IeeeMode: 1
; LDSByteSize: 8192 bytes/workgroup (compile time only)
; SGPRBlocks: 0
; VGPRBlocks: 4
; NumSGPRsForWavesPerEU: 80
; NumVGPRsForWavesPerEU: 36
; Occupancy: 16
; WaveLimiterHint : 1
; COMPUTE_PGM_RSRC2:SCRATCH_EN: 0
; COMPUTE_PGM_RSRC2:USER_SGPR: 6
; COMPUTE_PGM_RSRC2:TRAP_HANDLER: 0
; COMPUTE_PGM_RSRC2:TGID_X_EN: 1
; COMPUTE_PGM_RSRC2:TGID_Y_EN: 0
; COMPUTE_PGM_RSRC2:TGID_Z_EN: 0
; COMPUTE_PGM_RSRC2:TIDIG_COMP_CNT: 0
	.section	.text._ZN9rocsparseL6kernelILi1024ELi2E21rocsparse_complex_numIfEiiEEvbbbT3_PS3_NS_15floating_traitsIT1_E6data_tES3_T2_PKS9_SB_PKS3_PKS6_21rocsparse_index_base_SB_SB_SD_PS6_SH_SG_SB_SB_SD_SH_SH_SG_SH_SH_PS8_SI_PKS8_,"axG",@progbits,_ZN9rocsparseL6kernelILi1024ELi2E21rocsparse_complex_numIfEiiEEvbbbT3_PS3_NS_15floating_traitsIT1_E6data_tES3_T2_PKS9_SB_PKS3_PKS6_21rocsparse_index_base_SB_SB_SD_PS6_SH_SG_SB_SB_SD_SH_SH_SG_SH_SH_PS8_SI_PKS8_,comdat
	.globl	_ZN9rocsparseL6kernelILi1024ELi2E21rocsparse_complex_numIfEiiEEvbbbT3_PS3_NS_15floating_traitsIT1_E6data_tES3_T2_PKS9_SB_PKS3_PKS6_21rocsparse_index_base_SB_SB_SD_PS6_SH_SG_SB_SB_SD_SH_SH_SG_SH_SH_PS8_SI_PKS8_ ; -- Begin function _ZN9rocsparseL6kernelILi1024ELi2E21rocsparse_complex_numIfEiiEEvbbbT3_PS3_NS_15floating_traitsIT1_E6data_tES3_T2_PKS9_SB_PKS3_PKS6_21rocsparse_index_base_SB_SB_SD_PS6_SH_SG_SB_SB_SD_SH_SH_SG_SH_SH_PS8_SI_PKS8_
	.p2align	8
	.type	_ZN9rocsparseL6kernelILi1024ELi2E21rocsparse_complex_numIfEiiEEvbbbT3_PS3_NS_15floating_traitsIT1_E6data_tES3_T2_PKS9_SB_PKS3_PKS6_21rocsparse_index_base_SB_SB_SD_PS6_SH_SG_SB_SB_SD_SH_SH_SG_SH_SH_PS8_SI_PKS8_,@function
_ZN9rocsparseL6kernelILi1024ELi2E21rocsparse_complex_numIfEiiEEvbbbT3_PS3_NS_15floating_traitsIT1_E6data_tES3_T2_PKS9_SB_PKS3_PKS6_21rocsparse_index_base_SB_SB_SD_PS6_SH_SG_SB_SB_SD_SH_SH_SG_SH_SH_PS8_SI_PKS8_: ; @_ZN9rocsparseL6kernelILi1024ELi2E21rocsparse_complex_numIfEiiEEvbbbT3_PS3_NS_15floating_traitsIT1_E6data_tES3_T2_PKS9_SB_PKS3_PKS6_21rocsparse_index_base_SB_SB_SD_PS6_SH_SG_SB_SB_SD_SH_SH_SG_SH_SH_PS8_SI_PKS8_
; %bb.0:
	s_clause 0x3
	s_load_dword s0, s[4:5], 0x0
	s_load_dwordx2 s[16:17], s[4:5], 0x0
	s_load_dwordx2 s[18:19], s[4:5], 0x10
	s_load_dwordx4 s[28:31], s[4:5], 0xb8
	v_lshrrev_b32_e32 v19, 1, v0
	v_mov_b32_e32 v1, 0
	v_lshlrev_b32_e32 v17, 2, v0
	v_and_b32_e32 v21, 1, v0
	v_mbcnt_lo_u32_b32 v22, -1, 0
	v_mov_b32_e32 v20, 0
	v_mov_b32_e32 v18, 0
	s_mov_b32 s62, 0
	ds_write_b32 v17, v1
	s_waitcnt lgkmcnt(0)
	s_barrier
	buffer_gl0_inv
	s_bitcmp1_b32 s0, 0
	s_cselect_b32 s61, -1, 0
	s_bitcmp1_b32 s0, 8
	s_cselect_b32 s60, -1, 0
	;; [unrolled: 2-line block ×3, first 2 shown]
	s_lshl_b32 s67, s6, 10
	s_cmp_gt_i32 s17, 0
	v_or_b32_e32 v23, s67, v19
	s_cselect_b32 s0, -1, 0
	v_cmp_gt_i32_e32 vcc_lo, s19, v23
	s_and_b32 s0, s0, vcc_lo
	s_and_saveexec_b32 s63, s0
	s_cbranch_execnz .LBB36_3
; %bb.1:
	s_or_b32 exec_lo, exec_lo, s63
	s_andn2_b32 vcc_lo, exec_lo, s61
	s_cbranch_vccz .LBB36_190
.LBB36_2:
	v_cmp_eq_u32_e32 vcc_lo, 0, v0
	s_and_b32 s0, vcc_lo, s60
	s_and_saveexec_b32 s1, s0
	s_cbranch_execnz .LBB36_214
	s_branch .LBB36_220
.LBB36_3:
	s_clause 0x9
	s_load_dword s64, s[4:5], 0x40
	s_load_dwordx2 s[34:35], s[4:5], 0xc8
	s_load_dwordx4 s[52:55], s[4:5], 0xa8
	s_load_dwordx2 s[56:57], s[4:5], 0x68
	s_load_dword s65, s[4:5], 0x70
	s_load_dwordx2 s[58:59], s[4:5], 0x98
	s_load_dword s66, s[4:5], 0xa0
	s_load_dwordx8 s[20:27], s[4:5], 0x78
	s_load_dwordx8 s[36:43], s[4:5], 0x48
	;; [unrolled: 1-line block ×3, first 2 shown]
	s_addk_i32 s67, 0x400
	v_cmp_eq_u32_e64 s0, 0, v21
	v_cmp_ne_u32_e64 s1, 0, v21
	v_lshlrev_b32_e32 v24, 2, v19
	v_cmp_gt_u32_e64 s2, 0x100, v0
	v_cmp_gt_u32_e64 s3, 0x80, v0
	;; [unrolled: 1-line block ×6, first 2 shown]
	s_waitcnt lgkmcnt(0)
	v_subrev_nc_u32_e32 v25, s64, v21
	v_cmp_gt_u32_e64 s10, 8, v0
	v_cmp_gt_u32_e64 s11, 4, v0
	;; [unrolled: 1-line block ×3, first 2 shown]
	v_cmp_eq_u32_e64 s13, 0, v0
	v_subrev_nc_u32_e32 v26, s65, v21
	v_subrev_nc_u32_e32 v27, s66, v21
	v_mov_b32_e32 v2, 0
	v_mov_b32_e32 v18, 0
	;; [unrolled: 1-line block ×3, first 2 shown]
	s_and_b32 s14, s60, s33
	s_xor_b32 s68, s60, -1
	s_xor_b32 s69, s14, -1
	s_mov_b32 s70, 0
	s_branch .LBB36_5
.LBB36_4:                               ;   in Loop: Header=BB36_5 Depth=1
	s_or_b32 exec_lo, exec_lo, s14
	s_and_b32 s14, exec_lo, s15
	s_or_b32 s62, s14, s62
	s_andn2_b32 exec_lo, exec_lo, s62
	s_cbranch_execz .LBB36_189
.LBB36_5:                               ; =>This Loop Header: Depth=1
                                        ;     Child Loop BB36_9 Depth 2
                                        ;       Child Loop BB36_14 Depth 3
                                        ;         Child Loop BB36_18 Depth 4
                                        ;         Child Loop BB36_53 Depth 4
                                        ;         Child Loop BB36_69 Depth 4
                                        ;         Child Loop BB36_91 Depth 4
                                        ;         Child Loop BB36_104 Depth 4
                                        ;     Child Loop BB36_168 Depth 2
                                        ;       Child Loop BB36_171 Depth 3
                                        ;       Child Loop BB36_174 Depth 3
	v_cndmask_b32_e64 v20, v20, 0, s60
	v_cndmask_b32_e64 v18, v18, 0, s33
	s_mov_b32 s14, 0
	s_mov_b32 s71, -1
	s_branch .LBB36_9
.LBB36_6:                               ;   in Loop: Header=BB36_9 Depth=2
	s_or_b32 exec_lo, exec_lo, s74
.LBB36_7:                               ;   in Loop: Header=BB36_9 Depth=2
	s_or_b32 exec_lo, exec_lo, s73
.LBB36_8:                               ;   in Loop: Header=BB36_9 Depth=2
	s_or_b32 exec_lo, exec_lo, s72
	s_xor_b32 s15, s71, -1
	s_movk_i32 s14, 0x200
	s_and_b32 vcc_lo, exec_lo, s15
	s_mov_b32 s71, 0
	s_cbranch_vccnz .LBB36_121
.LBB36_9:                               ;   Parent Loop BB36_5 Depth=1
                                        ; =>  This Loop Header: Depth=2
                                        ;       Child Loop BB36_14 Depth 3
                                        ;         Child Loop BB36_18 Depth 4
                                        ;         Child Loop BB36_53 Depth 4
	;; [unrolled: 1-line block ×5, first 2 shown]
	v_or_b32_e32 v3, s14, v23
	s_mov_b32 s72, exec_lo
	v_cmpx_gt_i32_e64 s19, v3
	s_cbranch_execz .LBB36_8
; %bb.10:                               ;   in Loop: Header=BB36_9 Depth=2
	v_ashrrev_i32_e32 v4, 31, v3
	s_mov_b32 s73, exec_lo
	v_lshlrev_b64 v[5:6], 2, v[3:4]
	v_add_co_u32 v7, vcc_lo, s44, v5
	v_add_co_ci_u32_e64 v8, null, s45, v6, vcc_lo
	v_add_co_u32 v9, vcc_lo, s46, v5
	v_add_co_ci_u32_e64 v10, null, s47, v6, vcc_lo
	global_load_dword v1, v[7:8], off
	global_load_dword v7, v[9:10], off
	s_waitcnt vmcnt(1)
	v_add_nc_u32_e32 v4, v25, v1
	s_waitcnt vmcnt(0)
	v_subrev_nc_u32_e32 v28, s64, v7
	v_cmpx_lt_i32_e64 v4, v28
	s_cbranch_execz .LBB36_7
; %bb.11:                               ;   in Loop: Header=BB36_9 Depth=2
	v_add_co_u32 v7, vcc_lo, s36, v5
	v_add_co_ci_u32_e64 v8, null, s37, v6, vcc_lo
	v_add_co_u32 v5, vcc_lo, s38, v5
	v_add_co_ci_u32_e64 v6, null, s39, v6, vcc_lo
	global_load_dword v1, v[7:8], off
	s_mov_b32 s74, 0
	global_load_dword v5, v[5:6], off
	s_waitcnt vmcnt(1)
	v_subrev_nc_u32_e32 v6, s65, v1
	s_waitcnt vmcnt(0)
	v_sub_nc_u32_e32 v29, v5, v1
	v_ashrrev_i32_e32 v7, 31, v6
	v_cmp_lt_i32_e64 s14, 0, v29
	v_lshlrev_b64 v[8:9], 2, v[6:7]
	v_lshlrev_b64 v[10:11], 3, v[6:7]
	v_add_co_u32 v30, vcc_lo, s40, v8
	v_add_co_ci_u32_e64 v31, null, s41, v9, vcc_lo
	v_add_co_u32 v32, vcc_lo, s42, v10
	v_add_co_ci_u32_e64 v33, null, s43, v11, vcc_lo
	s_branch .LBB36_14
.LBB36_12:                              ;   in Loop: Header=BB36_14 Depth=3
	s_or_b32 exec_lo, exec_lo, s15
.LBB36_13:                              ;   in Loop: Header=BB36_14 Depth=3
	s_or_b32 exec_lo, exec_lo, s16
	v_add_nc_u32_e32 v4, 2, v4
	v_cmp_ge_i32_e32 vcc_lo, v4, v28
	s_or_b32 s74, vcc_lo, s74
	s_andn2_b32 exec_lo, exec_lo, s74
	s_cbranch_execz .LBB36_6
.LBB36_14:                              ;   Parent Loop BB36_5 Depth=1
                                        ;     Parent Loop BB36_9 Depth=2
                                        ; =>    This Loop Header: Depth=3
                                        ;         Child Loop BB36_18 Depth 4
                                        ;         Child Loop BB36_53 Depth 4
	;; [unrolled: 1-line block ×5, first 2 shown]
	v_ashrrev_i32_e32 v5, 31, v4
	v_mov_b32_e32 v34, 0
	v_mov_b32_e32 v35, 0
	v_lshlrev_b64 v[7:8], 2, v[4:5]
	v_add_co_u32 v7, vcc_lo, s48, v7
	v_add_co_ci_u32_e64 v8, null, s49, v8, vcc_lo
	global_load_dword v1, v[7:8], off
	s_waitcnt vmcnt(0)
	v_subrev_nc_u32_e32 v7, s64, v1
	v_mov_b32_e32 v1, 0
	v_ashrrev_i32_e32 v8, 31, v7
	v_lshlrev_b64 v[9:10], 2, v[7:8]
	v_add_co_u32 v11, vcc_lo, s20, v9
	v_add_co_ci_u32_e64 v12, null, s21, v10, vcc_lo
	v_add_co_u32 v9, vcc_lo, s22, v9
	v_add_co_ci_u32_e64 v10, null, s23, v10, vcc_lo
	global_load_dword v12, v[11:12], off
	global_load_dword v9, v[9:10], off
	s_waitcnt vmcnt(1)
	v_subrev_nc_u32_e32 v11, s66, v12
	s_waitcnt vmcnt(0)
	v_sub_nc_u32_e32 v36, v9, v12
	v_mov_b32_e32 v12, v1
	s_and_saveexec_b32 s16, s14
	s_cbranch_execz .LBB36_22
; %bb.15:                               ;   in Loop: Header=BB36_14 Depth=3
	v_ashrrev_i32_e32 v12, 31, v11
	v_mov_b32_e32 v34, 0
	v_mov_b32_e32 v1, 0
	;; [unrolled: 1-line block ×3, first 2 shown]
	s_mov_b32 s75, 0
	v_lshlrev_b64 v[9:10], 2, v[11:12]
	v_lshlrev_b64 v[12:13], 3, v[11:12]
                                        ; implicit-def: $sgpr76
	v_add_co_u32 v9, vcc_lo, s24, v9
	v_add_co_ci_u32_e64 v10, null, s25, v10, vcc_lo
	v_add_co_u32 v14, vcc_lo, s26, v12
	v_add_co_ci_u32_e64 v15, null, s27, v13, vcc_lo
	v_mov_b32_e32 v12, 0
	s_branch .LBB36_18
.LBB36_16:                              ;   in Loop: Header=BB36_18 Depth=4
	s_or_b32 exec_lo, exec_lo, s15
	v_cmp_le_i32_e32 vcc_lo, v16, v37
	v_cmp_ge_i32_e64 s15, v16, v37
	v_add_co_ci_u32_e64 v1, null, 0, v1, vcc_lo
	v_add_co_ci_u32_e64 v12, null, 0, v12, s15
	s_andn2_b32 s15, s76, exec_lo
	v_cmp_ge_i32_e32 vcc_lo, v1, v29
	s_and_b32 s76, vcc_lo, exec_lo
	s_or_b32 s76, s15, s76
.LBB36_17:                              ;   in Loop: Header=BB36_18 Depth=4
	s_or_b32 exec_lo, exec_lo, s77
	s_and_b32 s15, exec_lo, s76
	s_or_b32 s75, s15, s75
	s_andn2_b32 exec_lo, exec_lo, s75
	s_cbranch_execz .LBB36_21
.LBB36_18:                              ;   Parent Loop BB36_5 Depth=1
                                        ;     Parent Loop BB36_9 Depth=2
                                        ;       Parent Loop BB36_14 Depth=3
                                        ; =>      This Inner Loop Header: Depth=4
	s_or_b32 s76, s76, exec_lo
	s_mov_b32 s77, exec_lo
	v_cmpx_lt_i32_e64 v12, v36
	s_cbranch_execz .LBB36_17
; %bb.19:                               ;   in Loop: Header=BB36_18 Depth=4
	v_mov_b32_e32 v13, v2
	v_lshlrev_b64 v[37:38], 2, v[1:2]
	s_mov_b32 s15, exec_lo
	v_lshlrev_b64 v[39:40], 2, v[12:13]
	v_add_co_u32 v37, vcc_lo, v30, v37
	v_add_co_ci_u32_e64 v38, null, v31, v38, vcc_lo
	v_add_co_u32 v39, vcc_lo, v9, v39
	v_add_co_ci_u32_e64 v40, null, v10, v40, vcc_lo
	global_load_dword v16, v[37:38], off
	global_load_dword v37, v[39:40], off
	s_waitcnt vmcnt(1)
	v_subrev_nc_u32_e32 v16, s65, v16
	s_waitcnt vmcnt(0)
	v_subrev_nc_u32_e32 v37, s66, v37
	v_cmpx_eq_u32_e64 v16, v37
	s_cbranch_execz .LBB36_16
; %bb.20:                               ;   in Loop: Header=BB36_18 Depth=4
	v_lshlrev_b64 v[38:39], 3, v[1:2]
	v_lshlrev_b64 v[40:41], 3, v[12:13]
	v_add_co_u32 v38, vcc_lo, v32, v38
	v_add_co_ci_u32_e64 v39, null, v33, v39, vcc_lo
	v_add_co_u32 v40, vcc_lo, v14, v40
	v_add_co_ci_u32_e64 v41, null, v15, v41, vcc_lo
	global_load_dwordx2 v[38:39], v[38:39], off
	global_load_dwordx2 v[40:41], v[40:41], off
	s_waitcnt vmcnt(0)
	v_fmac_f32_e32 v34, v38, v40
	v_fmac_f32_e32 v35, v39, v40
	v_fma_f32 v34, -v39, v41, v34
	v_fmac_f32_e32 v35, v38, v41
	s_branch .LBB36_16
.LBB36_21:                              ;   in Loop: Header=BB36_14 Depth=3
	s_or_b32 exec_lo, exec_lo, s75
.LBB36_22:                              ;   in Loop: Header=BB36_14 Depth=3
	s_or_b32 exec_lo, exec_lo, s16
	v_lshlrev_b64 v[9:10], 3, v[4:5]
	v_cmp_le_i32_e64 s15, v3, v7
	s_mov_b32 s75, exec_lo
	v_add_co_u32 v9, vcc_lo, s50, v9
	v_add_co_ci_u32_e64 v10, null, s51, v10, vcc_lo
	global_load_dwordx2 v[9:10], v[9:10], off
	s_waitcnt vmcnt(0)
	v_sub_f32_e32 v13, v9, v34
	v_sub_f32_e32 v14, v10, v35
	v_cmpx_gt_i32_e64 v3, v7
	s_cbranch_execz .LBB36_32
; %bb.23:                               ;   in Loop: Header=BB36_14 Depth=3
	v_lshlrev_b64 v[15:16], 3, v[7:8]
                                        ; implicit-def: $vgpr38
	s_mov_b32 s16, exec_lo
	v_add_co_u32 v15, vcc_lo, s52, v15
	v_add_co_ci_u32_e64 v16, null, s53, v16, vcc_lo
	global_load_dwordx2 v[15:16], v[15:16], off
	s_waitcnt vmcnt(0)
	v_cmp_gt_f32_e32 vcc_lo, 0, v15
	v_cndmask_b32_e64 v5, v15, -v15, vcc_lo
	v_cmp_gt_f32_e32 vcc_lo, 0, v16
	v_cndmask_b32_e64 v37, v16, -v16, vcc_lo
	v_cmpx_ngt_f32_e32 v5, v37
	s_xor_b32 s76, exec_lo, s16
	s_cbranch_execz .LBB36_27
; %bb.24:                               ;   in Loop: Header=BB36_14 Depth=3
	v_mov_b32_e32 v38, 0
	s_mov_b32 s77, exec_lo
	v_cmpx_neq_f32_e32 0, v16
	s_cbranch_execz .LBB36_26
; %bb.25:                               ;   in Loop: Header=BB36_14 Depth=3
	v_div_scale_f32 v38, null, v37, v37, v5
	v_div_scale_f32 v41, vcc_lo, v5, v37, v5
	v_rcp_f32_e32 v39, v38
	v_fma_f32 v40, -v38, v39, 1.0
	v_fmac_f32_e32 v39, v40, v39
	v_mul_f32_e32 v40, v41, v39
	v_fma_f32 v42, -v38, v40, v41
	v_fmac_f32_e32 v40, v42, v39
	v_fma_f32 v38, -v38, v40, v41
	v_div_fmas_f32 v38, v38, v39, v40
	v_div_fixup_f32 v5, v38, v37, v5
	v_fma_f32 v5, v5, v5, 1.0
	v_mul_f32_e32 v38, 0x4f800000, v5
	v_cmp_gt_f32_e32 vcc_lo, 0xf800000, v5
	v_cndmask_b32_e32 v5, v5, v38, vcc_lo
	v_sqrt_f32_e32 v38, v5
	v_add_nc_u32_e32 v39, -1, v38
	v_add_nc_u32_e32 v40, 1, v38
	v_fma_f32 v41, -v39, v38, v5
	v_fma_f32 v42, -v40, v38, v5
	v_cmp_ge_f32_e64 s16, 0, v41
	v_cndmask_b32_e64 v38, v38, v39, s16
	v_cmp_lt_f32_e64 s16, 0, v42
	v_cndmask_b32_e64 v38, v38, v40, s16
	v_mul_f32_e32 v39, 0x37800000, v38
	v_cndmask_b32_e32 v38, v38, v39, vcc_lo
	v_cmp_class_f32_e64 vcc_lo, v5, 0x260
	v_cndmask_b32_e32 v5, v38, v5, vcc_lo
	v_mul_f32_e32 v38, v37, v5
.LBB36_26:                              ;   in Loop: Header=BB36_14 Depth=3
	s_or_b32 exec_lo, exec_lo, s77
                                        ; implicit-def: $vgpr5
                                        ; implicit-def: $vgpr37
.LBB36_27:                              ;   in Loop: Header=BB36_14 Depth=3
	s_andn2_saveexec_b32 s76, s76
	s_cbranch_execz .LBB36_29
; %bb.28:                               ;   in Loop: Header=BB36_14 Depth=3
	v_div_scale_f32 v38, null, v5, v5, v37
	v_div_scale_f32 v41, vcc_lo, v37, v5, v37
	v_rcp_f32_e32 v39, v38
	v_fma_f32 v40, -v38, v39, 1.0
	v_fmac_f32_e32 v39, v40, v39
	v_mul_f32_e32 v40, v41, v39
	v_fma_f32 v42, -v38, v40, v41
	v_fmac_f32_e32 v40, v42, v39
	v_fma_f32 v38, -v38, v40, v41
	v_div_fmas_f32 v38, v38, v39, v40
	v_div_fixup_f32 v37, v38, v5, v37
	v_fma_f32 v37, v37, v37, 1.0
	v_mul_f32_e32 v38, 0x4f800000, v37
	v_cmp_gt_f32_e32 vcc_lo, 0xf800000, v37
	v_cndmask_b32_e32 v37, v37, v38, vcc_lo
	v_sqrt_f32_e32 v38, v37
	v_add_nc_u32_e32 v39, -1, v38
	v_add_nc_u32_e32 v40, 1, v38
	v_fma_f32 v41, -v39, v38, v37
	v_fma_f32 v42, -v40, v38, v37
	v_cmp_ge_f32_e64 s16, 0, v41
	v_cndmask_b32_e64 v38, v38, v39, s16
	v_cmp_lt_f32_e64 s16, 0, v42
	v_cndmask_b32_e64 v38, v38, v40, s16
	v_mul_f32_e32 v39, 0x37800000, v38
	v_cndmask_b32_e32 v38, v38, v39, vcc_lo
	v_cmp_class_f32_e64 vcc_lo, v37, 0x260
	v_cndmask_b32_e32 v37, v38, v37, vcc_lo
	v_mul_f32_e32 v38, v5, v37
.LBB36_29:                              ;   in Loop: Header=BB36_14 Depth=3
	s_or_b32 exec_lo, exec_lo, s76
	v_mov_b32_e32 v5, 0
	v_mov_b32_e32 v37, 0
	s_mov_b32 s16, exec_lo
	v_cmpx_lt_f32_e32 0, v38
	s_cbranch_execz .LBB36_31
; %bb.30:                               ;   in Loop: Header=BB36_14 Depth=3
	v_mul_f32_e32 v5, v16, v16
	v_fmac_f32_e32 v5, v15, v15
	v_div_scale_f32 v37, null, v5, v5, 1.0
	v_div_scale_f32 v40, vcc_lo, 1.0, v5, 1.0
	v_rcp_f32_e32 v38, v37
	v_fma_f32 v39, -v37, v38, 1.0
	v_fmac_f32_e32 v38, v39, v38
	v_mul_f32_e32 v39, v40, v38
	v_fma_f32 v41, -v37, v39, v40
	v_fmac_f32_e32 v39, v41, v38
	v_fma_f32 v37, -v37, v39, v40
	v_mul_f32_e32 v40, v14, v16
	v_mul_f32_e64 v16, v16, -v13
	v_div_fmas_f32 v37, v37, v38, v39
	v_fmac_f32_e32 v40, v13, v15
	v_fmac_f32_e32 v16, v14, v15
	v_div_fixup_f32 v5, v37, v5, 1.0
	v_mul_f32_e32 v37, v40, v5
	v_mul_f32_e32 v5, v16, v5
.LBB36_31:                              ;   in Loop: Header=BB36_14 Depth=3
	s_or_b32 exec_lo, exec_lo, s16
	v_mov_b32_e32 v14, v5
	v_mov_b32_e32 v13, v37
.LBB36_32:                              ;   in Loop: Header=BB36_14 Depth=3
	s_or_b32 exec_lo, exec_lo, s75
	v_cmp_gt_f32_e32 vcc_lo, 0, v13
                                        ; implicit-def: $vgpr16
	s_mov_b32 s16, exec_lo
	v_cndmask_b32_e64 v5, v13, -v13, vcc_lo
	v_cmp_gt_f32_e32 vcc_lo, 0, v14
	v_cndmask_b32_e64 v15, v14, -v14, vcc_lo
	v_cmpx_ngt_f32_e32 v5, v15
	s_xor_b32 s75, exec_lo, s16
	s_cbranch_execnz .LBB36_36
; %bb.33:                               ;   in Loop: Header=BB36_14 Depth=3
	s_andn2_saveexec_b32 s75, s75
	s_cbranch_execnz .LBB36_39
.LBB36_34:                              ;   in Loop: Header=BB36_14 Depth=3
	s_or_b32 exec_lo, exec_lo, s75
	v_cmp_class_f32_e64 s16, v16, 0x1f8
	s_and_saveexec_b32 s75, s16
	s_cbranch_execnz .LBB36_40
.LBB36_35:                              ;   in Loop: Header=BB36_14 Depth=3
	s_or_b32 exec_lo, exec_lo, s75
	s_and_b32 s15, s33, s16
	s_and_saveexec_b32 s16, s15
	s_cbranch_execz .LBB36_13
	s_branch .LBB36_81
.LBB36_36:                              ;   in Loop: Header=BB36_14 Depth=3
	v_mov_b32_e32 v16, 0
	s_mov_b32 s76, exec_lo
	v_cmpx_neq_f32_e32 0, v14
	s_cbranch_execz .LBB36_38
; %bb.37:                               ;   in Loop: Header=BB36_14 Depth=3
	v_div_scale_f32 v16, null, v15, v15, v5
	v_div_scale_f32 v39, vcc_lo, v5, v15, v5
	v_rcp_f32_e32 v37, v16
	v_fma_f32 v38, -v16, v37, 1.0
	v_fmac_f32_e32 v37, v38, v37
	v_mul_f32_e32 v38, v39, v37
	v_fma_f32 v40, -v16, v38, v39
	v_fmac_f32_e32 v38, v40, v37
	v_fma_f32 v16, -v16, v38, v39
	v_div_fmas_f32 v16, v16, v37, v38
	v_div_fixup_f32 v5, v16, v15, v5
	v_fma_f32 v5, v5, v5, 1.0
	v_mul_f32_e32 v16, 0x4f800000, v5
	v_cmp_gt_f32_e32 vcc_lo, 0xf800000, v5
	v_cndmask_b32_e32 v5, v5, v16, vcc_lo
	v_sqrt_f32_e32 v16, v5
	v_add_nc_u32_e32 v37, -1, v16
	v_add_nc_u32_e32 v38, 1, v16
	v_fma_f32 v39, -v37, v16, v5
	v_fma_f32 v40, -v38, v16, v5
	v_cmp_ge_f32_e64 s16, 0, v39
	v_cndmask_b32_e64 v16, v16, v37, s16
	v_cmp_lt_f32_e64 s16, 0, v40
	v_cndmask_b32_e64 v16, v16, v38, s16
	v_mul_f32_e32 v37, 0x37800000, v16
	v_cndmask_b32_e32 v16, v16, v37, vcc_lo
	v_cmp_class_f32_e64 vcc_lo, v5, 0x260
	v_cndmask_b32_e32 v5, v16, v5, vcc_lo
	v_mul_f32_e32 v16, v15, v5
.LBB36_38:                              ;   in Loop: Header=BB36_14 Depth=3
	s_or_b32 exec_lo, exec_lo, s76
                                        ; implicit-def: $vgpr5
                                        ; implicit-def: $vgpr15
	s_andn2_saveexec_b32 s75, s75
	s_cbranch_execz .LBB36_34
.LBB36_39:                              ;   in Loop: Header=BB36_14 Depth=3
	v_div_scale_f32 v16, null, v5, v5, v15
	v_div_scale_f32 v39, vcc_lo, v15, v5, v15
	v_rcp_f32_e32 v37, v16
	v_fma_f32 v38, -v16, v37, 1.0
	v_fmac_f32_e32 v37, v38, v37
	v_mul_f32_e32 v38, v39, v37
	v_fma_f32 v40, -v16, v38, v39
	v_fmac_f32_e32 v38, v40, v37
	v_fma_f32 v16, -v16, v38, v39
	v_div_fmas_f32 v16, v16, v37, v38
	v_div_fixup_f32 v15, v16, v5, v15
	v_fma_f32 v15, v15, v15, 1.0
	v_mul_f32_e32 v16, 0x4f800000, v15
	v_cmp_gt_f32_e32 vcc_lo, 0xf800000, v15
	v_cndmask_b32_e32 v15, v15, v16, vcc_lo
	v_sqrt_f32_e32 v16, v15
	v_add_nc_u32_e32 v37, -1, v16
	v_add_nc_u32_e32 v38, 1, v16
	v_fma_f32 v39, -v37, v16, v15
	v_fma_f32 v40, -v38, v16, v15
	v_cmp_ge_f32_e64 s16, 0, v39
	v_cndmask_b32_e64 v16, v16, v37, s16
	v_cmp_lt_f32_e64 s16, 0, v40
	v_cndmask_b32_e64 v16, v16, v38, s16
	v_mul_f32_e32 v37, 0x37800000, v16
	v_cndmask_b32_e32 v16, v16, v37, vcc_lo
	v_cmp_class_f32_e64 vcc_lo, v15, 0x260
	v_cndmask_b32_e32 v15, v16, v15, vcc_lo
	v_mul_f32_e32 v16, v5, v15
	s_or_b32 exec_lo, exec_lo, s75
	v_cmp_class_f32_e64 s16, v16, 0x1f8
	s_and_saveexec_b32 s75, s16
	s_cbranch_execz .LBB36_35
.LBB36_40:                              ;   in Loop: Header=BB36_14 Depth=3
	s_and_saveexec_b32 s76, s15
	s_xor_b32 s76, exec_lo, s76
	s_cbranch_execz .LBB36_65
; %bb.41:                               ;   in Loop: Header=BB36_14 Depth=3
	s_mov_b32 s15, exec_lo
	v_cmpx_ge_i32_e64 v3, v7
	s_xor_b32 s77, exec_lo, s15
	s_cbranch_execz .LBB36_49
; %bb.42:                               ;   in Loop: Header=BB36_14 Depth=3
	v_lshlrev_b64 v[15:16], 3, v[7:8]
	v_add_co_u32 v37, vcc_lo, s54, v15
	v_add_co_ci_u32_e64 v38, null, s55, v16, vcc_lo
	s_andn2_b32 vcc_lo, exec_lo, s60
	global_store_dwordx2 v[37:38], v[13:14], off
	s_cbranch_vccnz .LBB36_48
; %bb.43:                               ;   in Loop: Header=BB36_14 Depth=3
	v_add_co_u32 v15, vcc_lo, s52, v15
	v_add_co_ci_u32_e64 v16, null, s53, v16, vcc_lo
	s_mov_b32 s15, exec_lo
	global_load_dwordx2 v[15:16], v[15:16], off
	s_waitcnt vmcnt(0)
	v_sub_f32_e32 v5, v15, v13
	v_sub_f32_e32 v15, v16, v14
                                        ; implicit-def: $vgpr14
	v_cmp_gt_f32_e32 vcc_lo, 0, v5
	v_cndmask_b32_e64 v5, v5, -v5, vcc_lo
	v_cmp_gt_f32_e32 vcc_lo, 0, v15
	v_cndmask_b32_e64 v13, v15, -v15, vcc_lo
	v_cmpx_ngt_f32_e32 v5, v13
	s_xor_b32 s78, exec_lo, s15
	s_cbranch_execnz .LBB36_109
; %bb.44:                               ;   in Loop: Header=BB36_14 Depth=3
	s_andn2_saveexec_b32 s78, s78
	s_cbranch_execnz .LBB36_112
.LBB36_45:                              ;   in Loop: Header=BB36_14 Depth=3
	s_or_b32 exec_lo, exec_lo, s78
	v_cmp_class_f32_e64 s78, v14, 0x1f8
	s_and_saveexec_b32 s15, s78
.LBB36_46:                              ;   in Loop: Header=BB36_14 Depth=3
	v_cmp_lt_f32_e32 vcc_lo, v20, v14
	v_cndmask_b32_e32 v20, v20, v14, vcc_lo
.LBB36_47:                              ;   in Loop: Header=BB36_14 Depth=3
	s_or_b32 exec_lo, exec_lo, s15
.LBB36_48:                              ;   in Loop: Header=BB36_14 Depth=3
                                        ; implicit-def: $vgpr13
.LBB36_49:                              ;   in Loop: Header=BB36_14 Depth=3
	s_andn2_saveexec_b32 s77, s77
	s_cbranch_execz .LBB36_64
; %bb.50:                               ;   in Loop: Header=BB36_14 Depth=3
	s_mov_b32 s78, exec_lo
	v_cmpx_lt_i32_e64 v12, v36
	s_cbranch_execz .LBB36_63
; %bb.51:                               ;   in Loop: Header=BB36_14 Depth=3
	v_mov_b32_e32 v5, v12
	s_mov_b32 s15, 0
                                        ; implicit-def: $sgpr79
                                        ; implicit-def: $sgpr81
                                        ; implicit-def: $sgpr80
	s_inst_prefetch 0x1
	s_branch .LBB36_53
	.p2align	6
.LBB36_52:                              ;   in Loop: Header=BB36_53 Depth=4
	s_or_b32 exec_lo, exec_lo, s82
	s_and_b32 s82, exec_lo, s81
	s_or_b32 s15, s82, s15
	s_andn2_b32 s79, s79, exec_lo
	s_and_b32 s82, s80, exec_lo
	s_or_b32 s79, s79, s82
	s_andn2_b32 exec_lo, exec_lo, s15
	s_cbranch_execz .LBB36_55
.LBB36_53:                              ;   Parent Loop BB36_5 Depth=1
                                        ;     Parent Loop BB36_9 Depth=2
                                        ;       Parent Loop BB36_14 Depth=3
                                        ; =>      This Inner Loop Header: Depth=4
	v_add_nc_u32_e32 v15, v11, v5
	s_or_b32 s80, s80, exec_lo
	s_or_b32 s81, s81, exec_lo
	s_mov_b32 s82, exec_lo
	v_ashrrev_i32_e32 v16, 31, v15
	v_lshlrev_b64 v[37:38], 2, v[15:16]
	v_add_co_u32 v37, vcc_lo, s24, v37
	v_add_co_ci_u32_e64 v38, null, s25, v38, vcc_lo
	global_load_dword v37, v[37:38], off
	s_waitcnt vmcnt(0)
	v_subrev_nc_u32_e32 v37, s66, v37
	v_cmpx_ne_u32_e64 v37, v3
	s_cbranch_execz .LBB36_52
; %bb.54:                               ;   in Loop: Header=BB36_53 Depth=4
	v_add_nc_u32_e32 v5, 1, v5
	s_andn2_b32 s81, s81, exec_lo
	s_andn2_b32 s80, s80, exec_lo
	v_cmp_ge_i32_e32 vcc_lo, v5, v36
	s_and_b32 s83, vcc_lo, exec_lo
	s_or_b32 s81, s81, s83
	s_branch .LBB36_52
.LBB36_55:                              ;   in Loop: Header=BB36_14 Depth=3
	s_inst_prefetch 0x2
	s_or_b32 exec_lo, exec_lo, s15
	s_and_saveexec_b32 s15, s79
	s_xor_b32 s79, exec_lo, s15
	s_cbranch_execz .LBB36_62
; %bb.56:                               ;   in Loop: Header=BB36_14 Depth=3
	v_lshlrev_b64 v[15:16], 3, v[15:16]
	v_add_co_u32 v37, vcc_lo, s58, v15
	v_add_co_ci_u32_e64 v38, null, s59, v16, vcc_lo
	s_andn2_b32 vcc_lo, exec_lo, s60
	global_store_dwordx2 v[37:38], v[13:14], off
	s_cbranch_vccnz .LBB36_62
; %bb.57:                               ;   in Loop: Header=BB36_14 Depth=3
	v_add_co_u32 v15, vcc_lo, s26, v15
	v_add_co_ci_u32_e64 v16, null, s27, v16, vcc_lo
	s_mov_b32 s15, exec_lo
	global_load_dwordx2 v[15:16], v[15:16], off
	s_waitcnt vmcnt(0)
	v_sub_f32_e32 v5, v15, v13
	v_sub_f32_e32 v15, v16, v14
                                        ; implicit-def: $vgpr14
	v_cmp_gt_f32_e32 vcc_lo, 0, v5
	v_cndmask_b32_e64 v5, v5, -v5, vcc_lo
	v_cmp_gt_f32_e32 vcc_lo, 0, v15
	v_cndmask_b32_e64 v13, v15, -v15, vcc_lo
	v_cmpx_ngt_f32_e32 v5, v13
	s_xor_b32 s80, exec_lo, s15
	s_cbranch_execnz .LBB36_117
; %bb.58:                               ;   in Loop: Header=BB36_14 Depth=3
	s_andn2_saveexec_b32 s80, s80
	s_cbranch_execnz .LBB36_120
.LBB36_59:                              ;   in Loop: Header=BB36_14 Depth=3
	s_or_b32 exec_lo, exec_lo, s80
	v_cmp_class_f32_e64 s80, v14, 0x1f8
	s_and_saveexec_b32 s15, s80
.LBB36_60:                              ;   in Loop: Header=BB36_14 Depth=3
	v_cmp_lt_f32_e32 vcc_lo, v20, v14
	v_cndmask_b32_e32 v20, v20, v14, vcc_lo
.LBB36_61:                              ;   in Loop: Header=BB36_14 Depth=3
	s_or_b32 exec_lo, exec_lo, s15
.LBB36_62:                              ;   in Loop: Header=BB36_14 Depth=3
	s_or_b32 exec_lo, exec_lo, s79
.LBB36_63:                              ;   in Loop: Header=BB36_14 Depth=3
	s_or_b32 exec_lo, exec_lo, s78
.LBB36_64:                              ;   in Loop: Header=BB36_14 Depth=3
	s_or_b32 exec_lo, exec_lo, s77
                                        ; implicit-def: $vgpr13
.LBB36_65:                              ;   in Loop: Header=BB36_14 Depth=3
	s_andn2_saveexec_b32 s76, s76
	s_cbranch_execz .LBB36_80
; %bb.66:                               ;   in Loop: Header=BB36_14 Depth=3
	s_mov_b32 s77, exec_lo
	v_cmpx_lt_i32_e64 v1, v29
	s_cbranch_execz .LBB36_79
; %bb.67:                               ;   in Loop: Header=BB36_14 Depth=3
	v_mov_b32_e32 v5, v1
	s_mov_b32 s15, 0
                                        ; implicit-def: $sgpr78
                                        ; implicit-def: $sgpr80
                                        ; implicit-def: $sgpr79
	s_inst_prefetch 0x1
	s_branch .LBB36_69
	.p2align	6
.LBB36_68:                              ;   in Loop: Header=BB36_69 Depth=4
	s_or_b32 exec_lo, exec_lo, s81
	s_and_b32 s81, exec_lo, s80
	s_or_b32 s15, s81, s15
	s_andn2_b32 s78, s78, exec_lo
	s_and_b32 s81, s79, exec_lo
	s_or_b32 s78, s78, s81
	s_andn2_b32 exec_lo, exec_lo, s15
	s_cbranch_execz .LBB36_71
.LBB36_69:                              ;   Parent Loop BB36_5 Depth=1
                                        ;     Parent Loop BB36_9 Depth=2
                                        ;       Parent Loop BB36_14 Depth=3
                                        ; =>      This Inner Loop Header: Depth=4
	v_add_nc_u32_e32 v15, v6, v5
	s_or_b32 s79, s79, exec_lo
	s_or_b32 s80, s80, exec_lo
	s_mov_b32 s81, exec_lo
	v_ashrrev_i32_e32 v16, 31, v15
	v_lshlrev_b64 v[37:38], 2, v[15:16]
	v_add_co_u32 v37, vcc_lo, s40, v37
	v_add_co_ci_u32_e64 v38, null, s41, v38, vcc_lo
	global_load_dword v37, v[37:38], off
	s_waitcnt vmcnt(0)
	v_subrev_nc_u32_e32 v37, s65, v37
	v_cmpx_ne_u32_e64 v37, v7
	s_cbranch_execz .LBB36_68
; %bb.70:                               ;   in Loop: Header=BB36_69 Depth=4
	v_add_nc_u32_e32 v5, 1, v5
	s_andn2_b32 s80, s80, exec_lo
	s_andn2_b32 s79, s79, exec_lo
	v_cmp_ge_i32_e32 vcc_lo, v5, v29
	s_and_b32 s82, vcc_lo, exec_lo
	s_or_b32 s80, s80, s82
	s_branch .LBB36_68
.LBB36_71:                              ;   in Loop: Header=BB36_14 Depth=3
	s_inst_prefetch 0x2
	s_or_b32 exec_lo, exec_lo, s15
	s_and_saveexec_b32 s15, s78
	s_xor_b32 s78, exec_lo, s15
	s_cbranch_execz .LBB36_78
; %bb.72:                               ;   in Loop: Header=BB36_14 Depth=3
	v_lshlrev_b64 v[15:16], 3, v[15:16]
	v_add_co_u32 v37, vcc_lo, s56, v15
	v_add_co_ci_u32_e64 v38, null, s57, v16, vcc_lo
	s_andn2_b32 vcc_lo, exec_lo, s60
	global_store_dwordx2 v[37:38], v[13:14], off
	s_cbranch_vccnz .LBB36_78
; %bb.73:                               ;   in Loop: Header=BB36_14 Depth=3
	v_add_co_u32 v15, vcc_lo, s42, v15
	v_add_co_ci_u32_e64 v16, null, s43, v16, vcc_lo
	s_mov_b32 s15, exec_lo
	global_load_dwordx2 v[15:16], v[15:16], off
	s_waitcnt vmcnt(0)
	v_sub_f32_e32 v5, v15, v13
	v_sub_f32_e32 v15, v16, v14
                                        ; implicit-def: $vgpr14
	v_cmp_gt_f32_e32 vcc_lo, 0, v5
	v_cndmask_b32_e64 v5, v5, -v5, vcc_lo
	v_cmp_gt_f32_e32 vcc_lo, 0, v15
	v_cndmask_b32_e64 v13, v15, -v15, vcc_lo
	v_cmpx_ngt_f32_e32 v5, v13
	s_xor_b32 s79, exec_lo, s15
	s_cbranch_execnz .LBB36_113
; %bb.74:                               ;   in Loop: Header=BB36_14 Depth=3
	s_andn2_saveexec_b32 s79, s79
	s_cbranch_execnz .LBB36_116
.LBB36_75:                              ;   in Loop: Header=BB36_14 Depth=3
	s_or_b32 exec_lo, exec_lo, s79
	v_cmp_class_f32_e64 s79, v14, 0x1f8
	s_and_saveexec_b32 s15, s79
.LBB36_76:                              ;   in Loop: Header=BB36_14 Depth=3
	v_cmp_lt_f32_e32 vcc_lo, v20, v14
	v_cndmask_b32_e32 v20, v20, v14, vcc_lo
.LBB36_77:                              ;   in Loop: Header=BB36_14 Depth=3
	s_or_b32 exec_lo, exec_lo, s15
.LBB36_78:                              ;   in Loop: Header=BB36_14 Depth=3
	s_or_b32 exec_lo, exec_lo, s78
.LBB36_79:                              ;   in Loop: Header=BB36_14 Depth=3
	s_or_b32 exec_lo, exec_lo, s77
.LBB36_80:                              ;   in Loop: Header=BB36_14 Depth=3
	s_or_b32 exec_lo, exec_lo, s76
	s_or_b32 exec_lo, exec_lo, s75
	s_and_b32 s15, s33, s16
	s_and_saveexec_b32 s16, s15
	s_cbranch_execz .LBB36_13
.LBB36_81:                              ;   in Loop: Header=BB36_14 Depth=3
	s_mov_b32 s15, exec_lo
	v_cmpx_ge_i32_e64 v12, v36
	s_xor_b32 s15, exec_lo, s15
	s_cbranch_execnz .LBB36_88
; %bb.82:                               ;   in Loop: Header=BB36_14 Depth=3
	s_andn2_saveexec_b32 s15, s15
	s_cbranch_execnz .LBB36_102
.LBB36_83:                              ;   in Loop: Header=BB36_14 Depth=3
	s_or_b32 exec_lo, exec_lo, s15
	s_mov_b32 s15, exec_lo
	v_cmpx_eq_u32_e64 v3, v7
	s_cbranch_execz .LBB36_85
.LBB36_84:                              ;   in Loop: Header=BB36_14 Depth=3
	v_lshlrev_b64 v[7:8], 3, v[7:8]
	v_add_co_u32 v7, vcc_lo, s52, v7
	v_add_co_ci_u32_e64 v8, null, s53, v8, vcc_lo
	global_load_dwordx2 v[7:8], v[7:8], off
	s_waitcnt vmcnt(0)
	v_add_f32_e32 v34, v34, v7
	v_add_f32_e32 v35, v35, v8
.LBB36_85:                              ;   in Loop: Header=BB36_14 Depth=3
	s_or_b32 exec_lo, exec_lo, s15
	v_sub_f32_e32 v1, v9, v34
	v_sub_f32_e32 v8, v10, v35
                                        ; implicit-def: $vgpr7
	s_mov_b32 s15, exec_lo
	v_cmp_gt_f32_e32 vcc_lo, 0, v1
	v_cndmask_b32_e64 v1, v1, -v1, vcc_lo
	v_cmp_gt_f32_e32 vcc_lo, 0, v8
	v_cndmask_b32_e64 v5, v8, -v8, vcc_lo
	v_cmpx_ngt_f32_e32 v1, v5
	s_xor_b32 s75, exec_lo, s15
	s_cbranch_execnz .LBB36_93
; %bb.86:                               ;   in Loop: Header=BB36_14 Depth=3
	s_andn2_saveexec_b32 s75, s75
	s_cbranch_execnz .LBB36_96
.LBB36_87:                              ;   in Loop: Header=BB36_14 Depth=3
	s_or_b32 exec_lo, exec_lo, s75
	v_cmp_class_f32_e64 s75, v7, 0x1f8
	s_and_saveexec_b32 s15, s75
	s_cbranch_execz .LBB36_12
	s_branch .LBB36_97
.LBB36_88:                              ;   in Loop: Header=BB36_14 Depth=3
	s_mov_b32 s75, exec_lo
	v_cmpx_lt_i32_e64 v1, v29
	s_cbranch_execz .LBB36_101
; %bb.89:                               ;   in Loop: Header=BB36_14 Depth=3
	s_mov_b32 s77, 0
                                        ; implicit-def: $sgpr76
                                        ; implicit-def: $sgpr79
                                        ; implicit-def: $sgpr78
	s_inst_prefetch 0x1
	s_branch .LBB36_91
	.p2align	6
.LBB36_90:                              ;   in Loop: Header=BB36_91 Depth=4
	s_or_b32 exec_lo, exec_lo, s80
	s_and_b32 s80, exec_lo, s79
	s_or_b32 s77, s80, s77
	s_andn2_b32 s76, s76, exec_lo
	s_and_b32 s80, s78, exec_lo
	s_or_b32 s76, s76, s80
	s_andn2_b32 exec_lo, exec_lo, s77
	s_cbranch_execz .LBB36_98
.LBB36_91:                              ;   Parent Loop BB36_5 Depth=1
                                        ;     Parent Loop BB36_9 Depth=2
                                        ;       Parent Loop BB36_14 Depth=3
                                        ; =>      This Inner Loop Header: Depth=4
	v_add_nc_u32_e32 v11, v6, v1
	s_or_b32 s78, s78, exec_lo
	s_or_b32 s79, s79, exec_lo
	s_mov_b32 s80, exec_lo
	v_ashrrev_i32_e32 v12, 31, v11
	v_lshlrev_b64 v[13:14], 2, v[11:12]
	v_add_co_u32 v13, vcc_lo, s40, v13
	v_add_co_ci_u32_e64 v14, null, s41, v14, vcc_lo
	global_load_dword v5, v[13:14], off
	s_waitcnt vmcnt(0)
	v_subrev_nc_u32_e32 v5, s65, v5
	v_cmpx_ne_u32_e64 v5, v7
	s_cbranch_execz .LBB36_90
; %bb.92:                               ;   in Loop: Header=BB36_91 Depth=4
	v_add_nc_u32_e32 v1, 1, v1
	s_andn2_b32 s79, s79, exec_lo
	s_andn2_b32 s78, s78, exec_lo
	v_cmp_ge_i32_e32 vcc_lo, v1, v29
	s_and_b32 s81, vcc_lo, exec_lo
	s_or_b32 s79, s79, s81
	s_branch .LBB36_90
.LBB36_93:                              ;   in Loop: Header=BB36_14 Depth=3
	v_mov_b32_e32 v7, 0
	s_mov_b32 s76, exec_lo
	v_cmpx_neq_f32_e32 0, v8
	s_cbranch_execz .LBB36_95
; %bb.94:                               ;   in Loop: Header=BB36_14 Depth=3
	v_div_scale_f32 v7, null, v5, v5, v1
	v_div_scale_f32 v10, vcc_lo, v1, v5, v1
	v_rcp_f32_e32 v8, v7
	v_fma_f32 v9, -v7, v8, 1.0
	v_fmac_f32_e32 v8, v9, v8
	v_mul_f32_e32 v9, v10, v8
	v_fma_f32 v11, -v7, v9, v10
	v_fmac_f32_e32 v9, v11, v8
	v_fma_f32 v7, -v7, v9, v10
	v_div_fmas_f32 v7, v7, v8, v9
	v_div_fixup_f32 v1, v7, v5, v1
	v_fma_f32 v1, v1, v1, 1.0
	v_mul_f32_e32 v7, 0x4f800000, v1
	v_cmp_gt_f32_e32 vcc_lo, 0xf800000, v1
	v_cndmask_b32_e32 v1, v1, v7, vcc_lo
	v_sqrt_f32_e32 v7, v1
	v_add_nc_u32_e32 v8, -1, v7
	v_add_nc_u32_e32 v9, 1, v7
	v_fma_f32 v10, -v8, v7, v1
	v_fma_f32 v11, -v9, v7, v1
	v_cmp_ge_f32_e64 s15, 0, v10
	v_cndmask_b32_e64 v7, v7, v8, s15
	v_cmp_lt_f32_e64 s15, 0, v11
	v_cndmask_b32_e64 v7, v7, v9, s15
	v_mul_f32_e32 v8, 0x37800000, v7
	v_cndmask_b32_e32 v7, v7, v8, vcc_lo
	v_cmp_class_f32_e64 vcc_lo, v1, 0x260
	v_cndmask_b32_e32 v1, v7, v1, vcc_lo
	v_mul_f32_e32 v7, v5, v1
.LBB36_95:                              ;   in Loop: Header=BB36_14 Depth=3
	s_or_b32 exec_lo, exec_lo, s76
                                        ; implicit-def: $vgpr1
                                        ; implicit-def: $vgpr5
	s_andn2_saveexec_b32 s75, s75
	s_cbranch_execz .LBB36_87
.LBB36_96:                              ;   in Loop: Header=BB36_14 Depth=3
	v_div_scale_f32 v7, null, v1, v1, v5
	v_div_scale_f32 v10, vcc_lo, v5, v1, v5
	v_rcp_f32_e32 v8, v7
	v_fma_f32 v9, -v7, v8, 1.0
	v_fmac_f32_e32 v8, v9, v8
	v_mul_f32_e32 v9, v10, v8
	v_fma_f32 v11, -v7, v9, v10
	v_fmac_f32_e32 v9, v11, v8
	v_fma_f32 v7, -v7, v9, v10
	v_div_fmas_f32 v7, v7, v8, v9
	v_div_fixup_f32 v5, v7, v1, v5
	v_fma_f32 v5, v5, v5, 1.0
	v_mul_f32_e32 v7, 0x4f800000, v5
	v_cmp_gt_f32_e32 vcc_lo, 0xf800000, v5
	v_cndmask_b32_e32 v5, v5, v7, vcc_lo
	v_sqrt_f32_e32 v7, v5
	v_add_nc_u32_e32 v8, -1, v7
	v_add_nc_u32_e32 v9, 1, v7
	v_fma_f32 v10, -v8, v7, v5
	v_fma_f32 v11, -v9, v7, v5
	v_cmp_ge_f32_e64 s15, 0, v10
	v_cndmask_b32_e64 v7, v7, v8, s15
	v_cmp_lt_f32_e64 s15, 0, v11
	v_cndmask_b32_e64 v7, v7, v9, s15
	v_mul_f32_e32 v8, 0x37800000, v7
	v_cndmask_b32_e32 v7, v7, v8, vcc_lo
	v_cmp_class_f32_e64 vcc_lo, v5, 0x260
	v_cndmask_b32_e32 v5, v7, v5, vcc_lo
	v_mul_f32_e32 v7, v1, v5
	s_or_b32 exec_lo, exec_lo, s75
	v_cmp_class_f32_e64 s75, v7, 0x1f8
	s_and_saveexec_b32 s15, s75
	s_cbranch_execz .LBB36_12
.LBB36_97:                              ;   in Loop: Header=BB36_14 Depth=3
	v_cmp_lt_f32_e32 vcc_lo, v18, v7
	v_cndmask_b32_e32 v18, v18, v7, vcc_lo
	s_branch .LBB36_12
.LBB36_98:                              ;   in Loop: Header=BB36_14 Depth=3
	s_inst_prefetch 0x2
	s_or_b32 exec_lo, exec_lo, s77
	s_and_saveexec_b32 s77, s76
	s_xor_b32 s76, exec_lo, s77
	s_cbranch_execz .LBB36_100
; %bb.99:                               ;   in Loop: Header=BB36_14 Depth=3
	v_lshlrev_b64 v[11:12], 3, v[11:12]
	v_lshlrev_b64 v[13:14], 3, v[7:8]
	v_add_co_u32 v11, vcc_lo, s42, v11
	v_add_co_ci_u32_e64 v12, null, s43, v12, vcc_lo
	v_add_co_u32 v13, vcc_lo, s52, v13
	v_add_co_ci_u32_e64 v14, null, s53, v14, vcc_lo
	global_load_dwordx2 v[11:12], v[11:12], off
	global_load_dwordx2 v[13:14], v[13:14], off
	s_waitcnt vmcnt(0)
	v_mul_f32_e64 v1, v14, -v12
	v_mul_f32_e32 v5, v14, v11
	v_fmac_f32_e32 v1, v11, v13
	v_fmac_f32_e32 v5, v12, v13
	v_add_f32_e32 v34, v34, v1
	v_add_f32_e32 v35, v35, v5
.LBB36_100:                             ;   in Loop: Header=BB36_14 Depth=3
	s_or_b32 exec_lo, exec_lo, s76
.LBB36_101:                             ;   in Loop: Header=BB36_14 Depth=3
	s_or_b32 exec_lo, exec_lo, s75
                                        ; implicit-def: $vgpr12
                                        ; implicit-def: $vgpr11
                                        ; implicit-def: $vgpr36
	s_andn2_saveexec_b32 s15, s15
	s_cbranch_execz .LBB36_83
.LBB36_102:                             ;   in Loop: Header=BB36_14 Depth=3
	s_mov_b32 s76, 0
                                        ; implicit-def: $sgpr75
                                        ; implicit-def: $sgpr78
                                        ; implicit-def: $sgpr77
	s_inst_prefetch 0x1
	s_branch .LBB36_104
	.p2align	6
.LBB36_103:                             ;   in Loop: Header=BB36_104 Depth=4
	s_or_b32 exec_lo, exec_lo, s79
	s_and_b32 s79, exec_lo, s78
	s_or_b32 s76, s79, s76
	s_andn2_b32 s75, s75, exec_lo
	s_and_b32 s79, s77, exec_lo
	s_or_b32 s75, s75, s79
	s_andn2_b32 exec_lo, exec_lo, s76
	s_cbranch_execz .LBB36_106
.LBB36_104:                             ;   Parent Loop BB36_5 Depth=1
                                        ;     Parent Loop BB36_9 Depth=2
                                        ;       Parent Loop BB36_14 Depth=3
                                        ; =>      This Inner Loop Header: Depth=4
	v_add_nc_u32_e32 v13, v11, v12
	s_or_b32 s77, s77, exec_lo
	s_or_b32 s78, s78, exec_lo
	s_mov_b32 s79, exec_lo
	v_ashrrev_i32_e32 v14, 31, v13
	v_lshlrev_b64 v[15:16], 2, v[13:14]
	v_add_co_u32 v15, vcc_lo, s24, v15
	v_add_co_ci_u32_e64 v16, null, s25, v16, vcc_lo
	global_load_dword v1, v[15:16], off
	s_waitcnt vmcnt(0)
	v_subrev_nc_u32_e32 v1, s66, v1
	v_cmpx_ne_u32_e64 v1, v3
	s_cbranch_execz .LBB36_103
; %bb.105:                              ;   in Loop: Header=BB36_104 Depth=4
	v_add_nc_u32_e32 v12, 1, v12
	s_andn2_b32 s78, s78, exec_lo
	s_andn2_b32 s77, s77, exec_lo
	v_cmp_ge_i32_e32 vcc_lo, v12, v36
	s_and_b32 s80, vcc_lo, exec_lo
	s_or_b32 s78, s78, s80
	s_branch .LBB36_103
.LBB36_106:                             ;   in Loop: Header=BB36_14 Depth=3
	s_inst_prefetch 0x2
	s_or_b32 exec_lo, exec_lo, s76
	s_and_saveexec_b32 s76, s75
	s_xor_b32 s75, exec_lo, s76
	s_cbranch_execz .LBB36_108
; %bb.107:                              ;   in Loop: Header=BB36_14 Depth=3
	v_lshlrev_b64 v[11:12], 3, v[13:14]
	v_add_co_u32 v11, vcc_lo, s26, v11
	v_add_co_ci_u32_e64 v12, null, s27, v12, vcc_lo
	global_load_dwordx2 v[11:12], v[11:12], off
	s_waitcnt vmcnt(0)
	v_add_f32_e32 v34, v34, v11
	v_add_f32_e32 v35, v35, v12
.LBB36_108:                             ;   in Loop: Header=BB36_14 Depth=3
	s_or_b32 exec_lo, exec_lo, s75
	s_or_b32 exec_lo, exec_lo, s15
	s_mov_b32 s15, exec_lo
	v_cmpx_eq_u32_e64 v3, v7
	s_cbranch_execnz .LBB36_84
	s_branch .LBB36_85
.LBB36_109:                             ;   in Loop: Header=BB36_14 Depth=3
	v_mov_b32_e32 v14, 0
	s_mov_b32 s79, exec_lo
	v_cmpx_neq_f32_e32 0, v15
	s_cbranch_execz .LBB36_111
; %bb.110:                              ;   in Loop: Header=BB36_14 Depth=3
	v_div_scale_f32 v14, null, v13, v13, v5
	v_div_scale_f32 v37, vcc_lo, v5, v13, v5
	v_rcp_f32_e32 v15, v14
	v_fma_f32 v16, -v14, v15, 1.0
	v_fmac_f32_e32 v15, v16, v15
	v_mul_f32_e32 v16, v37, v15
	v_fma_f32 v38, -v14, v16, v37
	v_fmac_f32_e32 v16, v38, v15
	v_fma_f32 v14, -v14, v16, v37
	v_div_fmas_f32 v14, v14, v15, v16
	v_div_fixup_f32 v5, v14, v13, v5
	v_fma_f32 v5, v5, v5, 1.0
	v_mul_f32_e32 v14, 0x4f800000, v5
	v_cmp_gt_f32_e32 vcc_lo, 0xf800000, v5
	v_cndmask_b32_e32 v5, v5, v14, vcc_lo
	v_sqrt_f32_e32 v14, v5
	v_add_nc_u32_e32 v15, -1, v14
	v_add_nc_u32_e32 v16, 1, v14
	v_fma_f32 v37, -v15, v14, v5
	v_fma_f32 v38, -v16, v14, v5
	v_cmp_ge_f32_e64 s15, 0, v37
	v_cndmask_b32_e64 v14, v14, v15, s15
	v_cmp_lt_f32_e64 s15, 0, v38
	v_cndmask_b32_e64 v14, v14, v16, s15
	v_mul_f32_e32 v15, 0x37800000, v14
	v_cndmask_b32_e32 v14, v14, v15, vcc_lo
	v_cmp_class_f32_e64 vcc_lo, v5, 0x260
	v_cndmask_b32_e32 v5, v14, v5, vcc_lo
	v_mul_f32_e32 v14, v13, v5
.LBB36_111:                             ;   in Loop: Header=BB36_14 Depth=3
	s_or_b32 exec_lo, exec_lo, s79
                                        ; implicit-def: $vgpr5
                                        ; implicit-def: $vgpr13
	s_andn2_saveexec_b32 s78, s78
	s_cbranch_execz .LBB36_45
.LBB36_112:                             ;   in Loop: Header=BB36_14 Depth=3
	v_div_scale_f32 v14, null, v5, v5, v13
	v_div_scale_f32 v37, vcc_lo, v13, v5, v13
	v_rcp_f32_e32 v15, v14
	v_fma_f32 v16, -v14, v15, 1.0
	v_fmac_f32_e32 v15, v16, v15
	v_mul_f32_e32 v16, v37, v15
	v_fma_f32 v38, -v14, v16, v37
	v_fmac_f32_e32 v16, v38, v15
	v_fma_f32 v14, -v14, v16, v37
	v_div_fmas_f32 v14, v14, v15, v16
	v_div_fixup_f32 v13, v14, v5, v13
	v_fma_f32 v13, v13, v13, 1.0
	v_mul_f32_e32 v14, 0x4f800000, v13
	v_cmp_gt_f32_e32 vcc_lo, 0xf800000, v13
	v_cndmask_b32_e32 v13, v13, v14, vcc_lo
	v_sqrt_f32_e32 v14, v13
	v_add_nc_u32_e32 v15, -1, v14
	v_add_nc_u32_e32 v16, 1, v14
	v_fma_f32 v37, -v15, v14, v13
	v_fma_f32 v38, -v16, v14, v13
	v_cmp_ge_f32_e64 s15, 0, v37
	v_cndmask_b32_e64 v14, v14, v15, s15
	v_cmp_lt_f32_e64 s15, 0, v38
	v_cndmask_b32_e64 v14, v14, v16, s15
	v_mul_f32_e32 v15, 0x37800000, v14
	v_cndmask_b32_e32 v14, v14, v15, vcc_lo
	v_cmp_class_f32_e64 vcc_lo, v13, 0x260
	v_cndmask_b32_e32 v13, v14, v13, vcc_lo
	v_mul_f32_e32 v14, v5, v13
	s_or_b32 exec_lo, exec_lo, s78
	v_cmp_class_f32_e64 s78, v14, 0x1f8
	s_and_saveexec_b32 s15, s78
	s_cbranch_execnz .LBB36_46
	s_branch .LBB36_47
.LBB36_113:                             ;   in Loop: Header=BB36_14 Depth=3
	v_mov_b32_e32 v14, 0
	s_mov_b32 s80, exec_lo
	v_cmpx_neq_f32_e32 0, v15
	s_cbranch_execz .LBB36_115
; %bb.114:                              ;   in Loop: Header=BB36_14 Depth=3
	v_div_scale_f32 v14, null, v13, v13, v5
	v_div_scale_f32 v37, vcc_lo, v5, v13, v5
	v_rcp_f32_e32 v15, v14
	v_fma_f32 v16, -v14, v15, 1.0
	v_fmac_f32_e32 v15, v16, v15
	v_mul_f32_e32 v16, v37, v15
	v_fma_f32 v38, -v14, v16, v37
	v_fmac_f32_e32 v16, v38, v15
	v_fma_f32 v14, -v14, v16, v37
	v_div_fmas_f32 v14, v14, v15, v16
	v_div_fixup_f32 v5, v14, v13, v5
	v_fma_f32 v5, v5, v5, 1.0
	v_mul_f32_e32 v14, 0x4f800000, v5
	v_cmp_gt_f32_e32 vcc_lo, 0xf800000, v5
	v_cndmask_b32_e32 v5, v5, v14, vcc_lo
	v_sqrt_f32_e32 v14, v5
	v_add_nc_u32_e32 v15, -1, v14
	v_add_nc_u32_e32 v16, 1, v14
	v_fma_f32 v37, -v15, v14, v5
	v_fma_f32 v38, -v16, v14, v5
	v_cmp_ge_f32_e64 s15, 0, v37
	v_cndmask_b32_e64 v14, v14, v15, s15
	v_cmp_lt_f32_e64 s15, 0, v38
	v_cndmask_b32_e64 v14, v14, v16, s15
	v_mul_f32_e32 v15, 0x37800000, v14
	v_cndmask_b32_e32 v14, v14, v15, vcc_lo
	v_cmp_class_f32_e64 vcc_lo, v5, 0x260
	v_cndmask_b32_e32 v5, v14, v5, vcc_lo
	v_mul_f32_e32 v14, v13, v5
.LBB36_115:                             ;   in Loop: Header=BB36_14 Depth=3
	s_or_b32 exec_lo, exec_lo, s80
                                        ; implicit-def: $vgpr5
                                        ; implicit-def: $vgpr13
	s_andn2_saveexec_b32 s79, s79
	s_cbranch_execz .LBB36_75
.LBB36_116:                             ;   in Loop: Header=BB36_14 Depth=3
	v_div_scale_f32 v14, null, v5, v5, v13
	v_div_scale_f32 v37, vcc_lo, v13, v5, v13
	v_rcp_f32_e32 v15, v14
	v_fma_f32 v16, -v14, v15, 1.0
	v_fmac_f32_e32 v15, v16, v15
	v_mul_f32_e32 v16, v37, v15
	v_fma_f32 v38, -v14, v16, v37
	v_fmac_f32_e32 v16, v38, v15
	v_fma_f32 v14, -v14, v16, v37
	v_div_fmas_f32 v14, v14, v15, v16
	v_div_fixup_f32 v13, v14, v5, v13
	v_fma_f32 v13, v13, v13, 1.0
	v_mul_f32_e32 v14, 0x4f800000, v13
	v_cmp_gt_f32_e32 vcc_lo, 0xf800000, v13
	v_cndmask_b32_e32 v13, v13, v14, vcc_lo
	v_sqrt_f32_e32 v14, v13
	v_add_nc_u32_e32 v15, -1, v14
	v_add_nc_u32_e32 v16, 1, v14
	v_fma_f32 v37, -v15, v14, v13
	v_fma_f32 v38, -v16, v14, v13
	v_cmp_ge_f32_e64 s15, 0, v37
	v_cndmask_b32_e64 v14, v14, v15, s15
	v_cmp_lt_f32_e64 s15, 0, v38
	v_cndmask_b32_e64 v14, v14, v16, s15
	v_mul_f32_e32 v15, 0x37800000, v14
	v_cndmask_b32_e32 v14, v14, v15, vcc_lo
	v_cmp_class_f32_e64 vcc_lo, v13, 0x260
	v_cndmask_b32_e32 v13, v14, v13, vcc_lo
	v_mul_f32_e32 v14, v5, v13
	s_or_b32 exec_lo, exec_lo, s79
	v_cmp_class_f32_e64 s79, v14, 0x1f8
	s_and_saveexec_b32 s15, s79
	s_cbranch_execnz .LBB36_76
	s_branch .LBB36_77
.LBB36_117:                             ;   in Loop: Header=BB36_14 Depth=3
	v_mov_b32_e32 v14, 0
	s_mov_b32 s81, exec_lo
	v_cmpx_neq_f32_e32 0, v15
	s_cbranch_execz .LBB36_119
; %bb.118:                              ;   in Loop: Header=BB36_14 Depth=3
	v_div_scale_f32 v14, null, v13, v13, v5
	v_div_scale_f32 v37, vcc_lo, v5, v13, v5
	v_rcp_f32_e32 v15, v14
	v_fma_f32 v16, -v14, v15, 1.0
	v_fmac_f32_e32 v15, v16, v15
	v_mul_f32_e32 v16, v37, v15
	v_fma_f32 v38, -v14, v16, v37
	v_fmac_f32_e32 v16, v38, v15
	v_fma_f32 v14, -v14, v16, v37
	v_div_fmas_f32 v14, v14, v15, v16
	v_div_fixup_f32 v5, v14, v13, v5
	v_fma_f32 v5, v5, v5, 1.0
	v_mul_f32_e32 v14, 0x4f800000, v5
	v_cmp_gt_f32_e32 vcc_lo, 0xf800000, v5
	v_cndmask_b32_e32 v5, v5, v14, vcc_lo
	v_sqrt_f32_e32 v14, v5
	v_add_nc_u32_e32 v15, -1, v14
	v_add_nc_u32_e32 v16, 1, v14
	v_fma_f32 v37, -v15, v14, v5
	v_fma_f32 v38, -v16, v14, v5
	v_cmp_ge_f32_e64 s15, 0, v37
	v_cndmask_b32_e64 v14, v14, v15, s15
	v_cmp_lt_f32_e64 s15, 0, v38
	v_cndmask_b32_e64 v14, v14, v16, s15
	v_mul_f32_e32 v15, 0x37800000, v14
	v_cndmask_b32_e32 v14, v14, v15, vcc_lo
	v_cmp_class_f32_e64 vcc_lo, v5, 0x260
	v_cndmask_b32_e32 v5, v14, v5, vcc_lo
	v_mul_f32_e32 v14, v13, v5
.LBB36_119:                             ;   in Loop: Header=BB36_14 Depth=3
	s_or_b32 exec_lo, exec_lo, s81
                                        ; implicit-def: $vgpr5
                                        ; implicit-def: $vgpr13
	s_andn2_saveexec_b32 s80, s80
	s_cbranch_execz .LBB36_59
.LBB36_120:                             ;   in Loop: Header=BB36_14 Depth=3
	v_div_scale_f32 v14, null, v5, v5, v13
	v_div_scale_f32 v37, vcc_lo, v13, v5, v13
	v_rcp_f32_e32 v15, v14
	v_fma_f32 v16, -v14, v15, 1.0
	v_fmac_f32_e32 v15, v16, v15
	v_mul_f32_e32 v16, v37, v15
	v_fma_f32 v38, -v14, v16, v37
	v_fmac_f32_e32 v16, v38, v15
	v_fma_f32 v14, -v14, v16, v37
	v_div_fmas_f32 v14, v14, v15, v16
	v_div_fixup_f32 v13, v14, v5, v13
	v_fma_f32 v13, v13, v13, 1.0
	v_mul_f32_e32 v14, 0x4f800000, v13
	v_cmp_gt_f32_e32 vcc_lo, 0xf800000, v13
	v_cndmask_b32_e32 v13, v13, v14, vcc_lo
	v_sqrt_f32_e32 v14, v13
	v_add_nc_u32_e32 v15, -1, v14
	v_add_nc_u32_e32 v16, 1, v14
	v_fma_f32 v37, -v15, v14, v13
	v_fma_f32 v38, -v16, v14, v13
	v_cmp_ge_f32_e64 s15, 0, v37
	v_cndmask_b32_e64 v14, v14, v15, s15
	v_cmp_lt_f32_e64 s15, 0, v38
	v_cndmask_b32_e64 v14, v14, v16, s15
	v_mul_f32_e32 v15, 0x37800000, v14
	v_cndmask_b32_e32 v14, v14, v15, vcc_lo
	v_cmp_class_f32_e64 vcc_lo, v13, 0x260
	v_cndmask_b32_e32 v13, v14, v13, vcc_lo
	v_mul_f32_e32 v14, v5, v13
	s_or_b32 exec_lo, exec_lo, s80
	v_cmp_class_f32_e64 s80, v14, 0x1f8
	s_and_saveexec_b32 s15, s80
	s_cbranch_execnz .LBB36_60
	s_branch .LBB36_61
.LBB36_121:                             ;   in Loop: Header=BB36_5 Depth=1
	v_xor_b32_e32 v1, 1, v22
	s_and_b32 vcc_lo, exec_lo, s60
	s_cbranch_vccnz .LBB36_124
; %bb.122:                              ;   in Loop: Header=BB36_5 Depth=1
	s_andn2_b32 vcc_lo, exec_lo, s33
	s_cbranch_vccz .LBB36_145
.LBB36_123:                             ;   in Loop: Header=BB36_5 Depth=1
	s_and_saveexec_b32 s15, s9
	s_cbranch_execnz .LBB36_166
	s_branch .LBB36_177
.LBB36_124:                             ;   in Loop: Header=BB36_5 Depth=1
	v_cmp_gt_i32_e32 vcc_lo, 32, v1
	v_cndmask_b32_e32 v3, v22, v1, vcc_lo
	v_lshlrev_b32_e32 v3, 2, v3
	ds_bpermute_b32 v3, v3, v20
	s_and_saveexec_b32 s14, s1
	s_cbranch_execz .LBB36_126
; %bb.125:                              ;   in Loop: Header=BB36_5 Depth=1
	s_waitcnt lgkmcnt(0)
	v_cmp_lt_f32_e32 vcc_lo, v20, v3
	v_cndmask_b32_e32 v3, v20, v3, vcc_lo
	ds_write_b32 v24, v3
.LBB36_126:                             ;   in Loop: Header=BB36_5 Depth=1
	s_or_b32 exec_lo, exec_lo, s14
	s_waitcnt lgkmcnt(0)
	s_waitcnt_vscnt null, 0x0
	s_barrier
	buffer_gl0_inv
	s_and_saveexec_b32 s14, s2
	s_cbranch_execz .LBB36_128
; %bb.127:                              ;   in Loop: Header=BB36_5 Depth=1
	ds_read2st64_b32 v[3:4], v17 offset1:4
	s_waitcnt lgkmcnt(0)
	v_cmp_lt_f32_e32 vcc_lo, v3, v4
	v_cndmask_b32_e32 v3, v3, v4, vcc_lo
	ds_write_b32 v17, v3
.LBB36_128:                             ;   in Loop: Header=BB36_5 Depth=1
	s_or_b32 exec_lo, exec_lo, s14
	s_waitcnt lgkmcnt(0)
	s_barrier
	buffer_gl0_inv
	s_and_saveexec_b32 s14, s3
	s_cbranch_execz .LBB36_130
; %bb.129:                              ;   in Loop: Header=BB36_5 Depth=1
	ds_read2st64_b32 v[3:4], v17 offset1:2
	s_waitcnt lgkmcnt(0)
	v_cmp_lt_f32_e32 vcc_lo, v3, v4
	v_cndmask_b32_e32 v3, v3, v4, vcc_lo
	ds_write_b32 v17, v3
.LBB36_130:                             ;   in Loop: Header=BB36_5 Depth=1
	s_or_b32 exec_lo, exec_lo, s14
	s_waitcnt lgkmcnt(0)
	;; [unrolled: 13-line block ×3, first 2 shown]
	s_barrier
	buffer_gl0_inv
	s_and_saveexec_b32 s14, s7
	s_cbranch_execz .LBB36_134
; %bb.133:                              ;   in Loop: Header=BB36_5 Depth=1
	ds_read2_b32 v[3:4], v17 offset1:32
	s_waitcnt lgkmcnt(0)
	v_cmp_lt_f32_e32 vcc_lo, v3, v4
	v_cndmask_b32_e32 v3, v3, v4, vcc_lo
	ds_write_b32 v17, v3
.LBB36_134:                             ;   in Loop: Header=BB36_5 Depth=1
	s_or_b32 exec_lo, exec_lo, s14
	s_waitcnt lgkmcnt(0)
	s_barrier
	buffer_gl0_inv
	s_and_saveexec_b32 s14, s8
	s_cbranch_execz .LBB36_136
; %bb.135:                              ;   in Loop: Header=BB36_5 Depth=1
	ds_read2_b32 v[3:4], v17 offset1:16
	s_waitcnt lgkmcnt(0)
	v_cmp_lt_f32_e32 vcc_lo, v3, v4
	v_cndmask_b32_e32 v3, v3, v4, vcc_lo
	ds_write_b32 v17, v3
.LBB36_136:                             ;   in Loop: Header=BB36_5 Depth=1
	s_or_b32 exec_lo, exec_lo, s14
	s_waitcnt lgkmcnt(0)
	s_barrier
	buffer_gl0_inv
	s_and_saveexec_b32 s14, s10
	s_cbranch_execz .LBB36_138
; %bb.137:                              ;   in Loop: Header=BB36_5 Depth=1
	ds_read2_b32 v[3:4], v17 offset1:8
	s_waitcnt lgkmcnt(0)
	v_cmp_lt_f32_e32 vcc_lo, v3, v4
	v_cndmask_b32_e32 v3, v3, v4, vcc_lo
	ds_write_b32 v17, v3
.LBB36_138:                             ;   in Loop: Header=BB36_5 Depth=1
	s_or_b32 exec_lo, exec_lo, s14
	s_waitcnt lgkmcnt(0)
	s_barrier
	buffer_gl0_inv
	s_and_saveexec_b32 s14, s11
	s_cbranch_execz .LBB36_140
; %bb.139:                              ;   in Loop: Header=BB36_5 Depth=1
	ds_read2_b32 v[3:4], v17 offset1:4
	s_waitcnt lgkmcnt(0)
	v_cmp_lt_f32_e32 vcc_lo, v3, v4
	v_cndmask_b32_e32 v3, v3, v4, vcc_lo
	ds_write_b32 v17, v3
.LBB36_140:                             ;   in Loop: Header=BB36_5 Depth=1
	s_or_b32 exec_lo, exec_lo, s14
	s_waitcnt lgkmcnt(0)
	s_barrier
	buffer_gl0_inv
	s_and_saveexec_b32 s14, s12
	s_cbranch_execz .LBB36_142
; %bb.141:                              ;   in Loop: Header=BB36_5 Depth=1
	ds_read2_b32 v[3:4], v17 offset1:2
	s_waitcnt lgkmcnt(0)
	v_cmp_lt_f32_e32 vcc_lo, v3, v4
	v_cndmask_b32_e32 v3, v3, v4, vcc_lo
	ds_write_b32 v17, v3
.LBB36_142:                             ;   in Loop: Header=BB36_5 Depth=1
	s_or_b32 exec_lo, exec_lo, s14
	s_waitcnt lgkmcnt(0)
	s_barrier
	buffer_gl0_inv
	s_and_saveexec_b32 s14, s13
	s_cbranch_execz .LBB36_144
; %bb.143:                              ;   in Loop: Header=BB36_5 Depth=1
	ds_read_b64 v[3:4], v2
	s_waitcnt lgkmcnt(0)
	v_cmp_lt_f32_e32 vcc_lo, v3, v4
	v_cndmask_b32_e32 v3, v3, v4, vcc_lo
	ds_write_b32 v2, v3
.LBB36_144:                             ;   in Loop: Header=BB36_5 Depth=1
	s_or_b32 exec_lo, exec_lo, s14
	s_waitcnt lgkmcnt(0)
	s_barrier
	buffer_gl0_inv
	ds_read_b32 v3, v2
	s_load_dword s14, s[34:35], 0x0
	s_waitcnt lgkmcnt(0)
	v_div_scale_f32 v4, null, s14, s14, v3
	v_rcp_f32_e32 v5, v4
	v_fma_f32 v6, -v4, v5, 1.0
	v_fmac_f32_e32 v5, v6, v5
	v_div_scale_f32 v6, vcc_lo, v3, s14, v3
	v_mul_f32_e32 v7, v6, v5
	v_fma_f32 v8, -v4, v7, v6
	v_fmac_f32_e32 v7, v8, v5
	v_fma_f32 v4, -v4, v7, v6
	v_div_fmas_f32 v4, v4, v5, v7
	v_div_fixup_f32 v20, v4, s14, v3
	s_andn2_b32 vcc_lo, exec_lo, s33
	s_cbranch_vccnz .LBB36_123
.LBB36_145:                             ;   in Loop: Header=BB36_5 Depth=1
	v_cmp_gt_i32_e32 vcc_lo, 32, v1
	v_cndmask_b32_e32 v1, v22, v1, vcc_lo
	v_lshlrev_b32_e32 v1, 2, v1
	ds_bpermute_b32 v1, v1, v18
	s_and_saveexec_b32 s14, s1
	s_cbranch_execz .LBB36_147
; %bb.146:                              ;   in Loop: Header=BB36_5 Depth=1
	s_waitcnt lgkmcnt(0)
	v_cmp_lt_f32_e32 vcc_lo, v18, v1
	v_cndmask_b32_e32 v1, v18, v1, vcc_lo
	ds_write_b32 v24, v1
.LBB36_147:                             ;   in Loop: Header=BB36_5 Depth=1
	s_or_b32 exec_lo, exec_lo, s14
	s_waitcnt lgkmcnt(0)
	s_waitcnt_vscnt null, 0x0
	s_barrier
	buffer_gl0_inv
	s_and_saveexec_b32 s14, s2
	s_cbranch_execz .LBB36_149
; %bb.148:                              ;   in Loop: Header=BB36_5 Depth=1
	ds_read2st64_b32 v[3:4], v17 offset1:4
	s_waitcnt lgkmcnt(0)
	v_cmp_lt_f32_e32 vcc_lo, v3, v4
	v_cndmask_b32_e32 v1, v3, v4, vcc_lo
	ds_write_b32 v17, v1
.LBB36_149:                             ;   in Loop: Header=BB36_5 Depth=1
	s_or_b32 exec_lo, exec_lo, s14
	s_waitcnt lgkmcnt(0)
	s_barrier
	buffer_gl0_inv
	s_and_saveexec_b32 s14, s3
	s_cbranch_execz .LBB36_151
; %bb.150:                              ;   in Loop: Header=BB36_5 Depth=1
	ds_read2st64_b32 v[3:4], v17 offset1:2
	s_waitcnt lgkmcnt(0)
	v_cmp_lt_f32_e32 vcc_lo, v3, v4
	v_cndmask_b32_e32 v1, v3, v4, vcc_lo
	ds_write_b32 v17, v1
.LBB36_151:                             ;   in Loop: Header=BB36_5 Depth=1
	s_or_b32 exec_lo, exec_lo, s14
	s_waitcnt lgkmcnt(0)
	s_barrier
	buffer_gl0_inv
	s_and_saveexec_b32 s14, s6
	s_cbranch_execz .LBB36_153
; %bb.152:                              ;   in Loop: Header=BB36_5 Depth=1
	ds_read2st64_b32 v[3:4], v17 offset1:1
	s_waitcnt lgkmcnt(0)
	v_cmp_lt_f32_e32 vcc_lo, v3, v4
	v_cndmask_b32_e32 v1, v3, v4, vcc_lo
	ds_write_b32 v17, v1
.LBB36_153:                             ;   in Loop: Header=BB36_5 Depth=1
	s_or_b32 exec_lo, exec_lo, s14
	s_waitcnt lgkmcnt(0)
	s_barrier
	buffer_gl0_inv
	s_and_saveexec_b32 s14, s7
	s_cbranch_execz .LBB36_155
; %bb.154:                              ;   in Loop: Header=BB36_5 Depth=1
	ds_read2_b32 v[3:4], v17 offset1:32
	s_waitcnt lgkmcnt(0)
	v_cmp_lt_f32_e32 vcc_lo, v3, v4
	v_cndmask_b32_e32 v1, v3, v4, vcc_lo
	ds_write_b32 v17, v1
.LBB36_155:                             ;   in Loop: Header=BB36_5 Depth=1
	s_or_b32 exec_lo, exec_lo, s14
	s_waitcnt lgkmcnt(0)
	s_barrier
	buffer_gl0_inv
	s_and_saveexec_b32 s14, s8
	s_cbranch_execz .LBB36_157
; %bb.156:                              ;   in Loop: Header=BB36_5 Depth=1
	ds_read2_b32 v[3:4], v17 offset1:16
	s_waitcnt lgkmcnt(0)
	v_cmp_lt_f32_e32 vcc_lo, v3, v4
	v_cndmask_b32_e32 v1, v3, v4, vcc_lo
	ds_write_b32 v17, v1
.LBB36_157:                             ;   in Loop: Header=BB36_5 Depth=1
	s_or_b32 exec_lo, exec_lo, s14
	s_waitcnt lgkmcnt(0)
	;; [unrolled: 13-line block ×5, first 2 shown]
	s_barrier
	buffer_gl0_inv
	s_and_saveexec_b32 s14, s13
	s_cbranch_execz .LBB36_165
; %bb.164:                              ;   in Loop: Header=BB36_5 Depth=1
	ds_read_b64 v[3:4], v2
	s_waitcnt lgkmcnt(0)
	v_cmp_lt_f32_e32 vcc_lo, v3, v4
	v_cndmask_b32_e32 v1, v3, v4, vcc_lo
	ds_write_b32 v2, v1
.LBB36_165:                             ;   in Loop: Header=BB36_5 Depth=1
	s_or_b32 exec_lo, exec_lo, s14
	s_waitcnt lgkmcnt(0)
	s_barrier
	buffer_gl0_inv
	ds_read_b32 v1, v2
	s_load_dword s14, s[34:35], 0x0
	s_waitcnt lgkmcnt(0)
	v_div_scale_f32 v3, null, s14, s14, v1
	v_rcp_f32_e32 v4, v3
	v_fma_f32 v5, -v3, v4, 1.0
	v_fmac_f32_e32 v4, v5, v4
	v_div_scale_f32 v5, vcc_lo, v1, s14, v1
	v_mul_f32_e32 v6, v5, v4
	v_fma_f32 v7, -v3, v6, v5
	v_fmac_f32_e32 v6, v7, v4
	v_fma_f32 v3, -v3, v6, v5
	v_div_fmas_f32 v3, v3, v4, v6
	v_div_fixup_f32 v18, v3, s14, v1
	s_and_saveexec_b32 s15, s9
	s_cbranch_execz .LBB36_177
.LBB36_166:                             ;   in Loop: Header=BB36_5 Depth=1
	v_mov_b32_e32 v3, v23
	s_mov_b32 s16, 0
	s_branch .LBB36_168
.LBB36_167:                             ;   in Loop: Header=BB36_168 Depth=2
	s_or_b32 exec_lo, exec_lo, s71
	v_add_nc_u32_e32 v3, 0x200, v3
	v_cmp_le_u32_e32 vcc_lo, s67, v3
	s_or_b32 s16, vcc_lo, s16
	s_andn2_b32 exec_lo, exec_lo, s16
	s_cbranch_execz .LBB36_177
.LBB36_168:                             ;   Parent Loop BB36_5 Depth=1
                                        ; =>  This Loop Header: Depth=2
                                        ;       Child Loop BB36_171 Depth 3
                                        ;       Child Loop BB36_174 Depth 3
	s_mov_b32 s71, exec_lo
	v_cmpx_gt_i32_e64 s19, v3
	s_cbranch_execz .LBB36_167
; %bb.169:                              ;   in Loop: Header=BB36_168 Depth=2
	v_ashrrev_i32_e32 v4, 31, v3
	s_mov_b32 s72, exec_lo
	v_lshlrev_b64 v[5:6], 2, v[3:4]
	v_add_co_u32 v7, vcc_lo, s36, v5
	v_add_co_ci_u32_e64 v8, null, s37, v6, vcc_lo
	v_add_co_u32 v9, vcc_lo, s38, v5
	v_add_co_ci_u32_e64 v10, null, s39, v6, vcc_lo
	global_load_dword v1, v[7:8], off
	global_load_dword v8, v[9:10], off
	s_waitcnt vmcnt(1)
	v_add_nc_u32_e32 v7, v26, v1
	s_waitcnt vmcnt(0)
	v_subrev_nc_u32_e32 v1, s65, v8
	v_cmpx_lt_i32_e64 v7, v1
	s_cbranch_execz .LBB36_172
; %bb.170:                              ;   in Loop: Header=BB36_168 Depth=2
	v_ashrrev_i32_e32 v8, 31, v7
	s_mov_b32 s73, 0
	v_lshlrev_b64 v[10:11], 3, v[7:8]
	v_add_co_u32 v8, vcc_lo, s56, v10
	v_add_co_ci_u32_e64 v9, null, s57, v11, vcc_lo
	v_add_co_u32 v10, vcc_lo, s42, v10
	v_add_co_ci_u32_e64 v11, null, s43, v11, vcc_lo
	.p2align	6
.LBB36_171:                             ;   Parent Loop BB36_5 Depth=1
                                        ;     Parent Loop BB36_168 Depth=2
                                        ; =>    This Inner Loop Header: Depth=3
	global_load_dwordx2 v[12:13], v[8:9], off
	v_add_nc_u32_e32 v7, 2, v7
	v_add_co_u32 v8, vcc_lo, v8, 16
	v_add_co_ci_u32_e64 v9, null, 0, v9, vcc_lo
	v_cmp_ge_i32_e32 vcc_lo, v7, v1
	s_or_b32 s73, vcc_lo, s73
	s_waitcnt vmcnt(0)
	global_store_dwordx2 v[10:11], v[12:13], off
	v_add_co_u32 v10, s14, v10, 16
	v_add_co_ci_u32_e64 v11, null, 0, v11, s14
	s_andn2_b32 exec_lo, exec_lo, s73
	s_cbranch_execnz .LBB36_171
.LBB36_172:                             ;   in Loop: Header=BB36_168 Depth=2
	s_or_b32 exec_lo, exec_lo, s72
	v_add_co_u32 v7, vcc_lo, s20, v5
	v_add_co_ci_u32_e64 v8, null, s21, v6, vcc_lo
	v_add_co_u32 v5, vcc_lo, s22, v5
	v_add_co_ci_u32_e64 v6, null, s23, v6, vcc_lo
	global_load_dword v1, v[7:8], off
	global_load_dword v6, v[5:6], off
	s_mov_b32 s72, exec_lo
	s_waitcnt vmcnt(1)
	v_add_nc_u32_e32 v5, v27, v1
	s_waitcnt vmcnt(0)
	v_subrev_nc_u32_e32 v1, s66, v6
	v_cmpx_lt_i32_e64 v5, v1
	s_cbranch_execz .LBB36_175
; %bb.173:                              ;   in Loop: Header=BB36_168 Depth=2
	v_ashrrev_i32_e32 v6, 31, v5
	s_mov_b32 s73, 0
	v_lshlrev_b64 v[8:9], 3, v[5:6]
	v_add_co_u32 v6, vcc_lo, s58, v8
	v_add_co_ci_u32_e64 v7, null, s59, v9, vcc_lo
	v_add_co_u32 v8, vcc_lo, s26, v8
	v_add_co_ci_u32_e64 v9, null, s27, v9, vcc_lo
	.p2align	6
.LBB36_174:                             ;   Parent Loop BB36_5 Depth=1
                                        ;     Parent Loop BB36_168 Depth=2
                                        ; =>    This Inner Loop Header: Depth=3
	global_load_dwordx2 v[10:11], v[6:7], off
	v_add_nc_u32_e32 v5, 2, v5
	v_add_co_u32 v6, vcc_lo, v6, 16
	v_add_co_ci_u32_e64 v7, null, 0, v7, vcc_lo
	v_cmp_ge_i32_e32 vcc_lo, v5, v1
	s_or_b32 s73, vcc_lo, s73
	s_waitcnt vmcnt(0)
	global_store_dwordx2 v[8:9], v[10:11], off
	v_add_co_u32 v8, s14, v8, 16
	v_add_co_ci_u32_e64 v9, null, 0, v9, s14
	s_andn2_b32 exec_lo, exec_lo, s73
	s_cbranch_execnz .LBB36_174
.LBB36_175:                             ;   in Loop: Header=BB36_168 Depth=2
	s_or_b32 exec_lo, exec_lo, s72
	s_and_b32 exec_lo, exec_lo, s0
	s_cbranch_execz .LBB36_167
; %bb.176:                              ;   in Loop: Header=BB36_168 Depth=2
	v_lshlrev_b64 v[4:5], 3, v[3:4]
	v_add_co_u32 v6, vcc_lo, s54, v4
	v_add_co_ci_u32_e64 v7, null, s55, v5, vcc_lo
	v_add_co_u32 v4, vcc_lo, s52, v4
	v_add_co_ci_u32_e64 v5, null, s53, v5, vcc_lo
	global_load_dwordx2 v[6:7], v[6:7], off
	s_waitcnt vmcnt(0)
	global_store_dwordx2 v[4:5], v[6:7], off
	s_branch .LBB36_167
.LBB36_177:                             ;   in Loop: Header=BB36_5 Depth=1
	s_or_b32 exec_lo, exec_lo, s15
	s_mov_b32 s15, -1
	s_and_b32 vcc_lo, exec_lo, s61
	s_mov_b32 s16, -1
	s_cbranch_vccz .LBB36_187
; %bb.178:                              ;   in Loop: Header=BB36_5 Depth=1
	s_and_b32 vcc_lo, exec_lo, s69
	s_mov_b32 s14, -1
                                        ; implicit-def: $sgpr16
	s_cbranch_vccz .LBB36_184
; %bb.179:                              ;   in Loop: Header=BB36_5 Depth=1
	s_and_b32 vcc_lo, exec_lo, s68
                                        ; implicit-def: $sgpr16
	s_cbranch_vccz .LBB36_181
; %bb.180:                              ;   in Loop: Header=BB36_5 Depth=1
	v_cmp_ge_f32_e64 s16, s18, v18
	s_mov_b32 s14, 0
.LBB36_181:                             ;   in Loop: Header=BB36_5 Depth=1
	s_andn2_b32 vcc_lo, exec_lo, s14
	s_cbranch_vccnz .LBB36_183
; %bb.182:                              ;   in Loop: Header=BB36_5 Depth=1
	v_cmp_ge_f32_e32 vcc_lo, s18, v20
	s_andn2_b32 s14, s16, exec_lo
	s_and_b32 s16, vcc_lo, exec_lo
	s_or_b32 s16, s14, s16
.LBB36_183:                             ;   in Loop: Header=BB36_5 Depth=1
	s_mov_b32 s14, 0
.LBB36_184:                             ;   in Loop: Header=BB36_5 Depth=1
	s_andn2_b32 vcc_lo, exec_lo, s14
	s_cbranch_vccnz .LBB36_186
; %bb.185:                              ;   in Loop: Header=BB36_5 Depth=1
	v_cmp_ge_f32_e32 vcc_lo, s18, v20
	v_cmp_ge_f32_e64 s14, s18, v18
	s_andn2_b32 s16, s16, exec_lo
	s_and_b32 s14, vcc_lo, s14
	s_and_b32 s14, s14, exec_lo
	s_or_b32 s16, s16, s14
.LBB36_186:                             ;   in Loop: Header=BB36_5 Depth=1
	s_xor_b32 s16, s16, -1
.LBB36_187:                             ;   in Loop: Header=BB36_5 Depth=1
	v_mov_b32_e32 v1, s70
	s_and_saveexec_b32 s14, s16
	s_cbranch_execz .LBB36_4
; %bb.188:                              ;   in Loop: Header=BB36_5 Depth=1
	s_add_i32 s70, s70, 1
	v_mov_b32_e32 v1, s17
	s_cmp_eq_u32 s70, s17
	s_cselect_b32 s15, -1, 0
	s_orn2_b32 s15, s15, exec_lo
	s_branch .LBB36_4
.LBB36_189:
	s_or_b32 exec_lo, exec_lo, s62
	s_or_b32 exec_lo, exec_lo, s63
	s_andn2_b32 vcc_lo, exec_lo, s61
	s_cbranch_vccnz .LBB36_2
.LBB36_190:
	v_xor_b32_e32 v2, 1, v22
	s_mov_b32 s0, exec_lo
	v_cmp_gt_i32_e32 vcc_lo, 32, v2
	v_cndmask_b32_e32 v2, v22, v2, vcc_lo
	v_lshlrev_b32_e32 v2, 2, v2
	ds_bpermute_b32 v2, v2, v1
	v_cmpx_ne_u32_e32 0, v21
	s_cbranch_execz .LBB36_192
; %bb.191:
	v_lshlrev_b32_e32 v3, 2, v19
	s_waitcnt lgkmcnt(0)
	v_max_i32_e32 v1, v1, v2
	ds_write_b32 v3, v1 offset:2048
.LBB36_192:
	s_or_b32 exec_lo, exec_lo, s0
	s_mov_b32 s0, exec_lo
	s_waitcnt lgkmcnt(0)
	s_waitcnt_vscnt null, 0x0
	s_barrier
	buffer_gl0_inv
	v_cmpx_gt_u32_e32 0x100, v0
	s_cbranch_execz .LBB36_194
; %bb.193:
	ds_read2st64_b32 v[1:2], v17 offset0:8 offset1:12
	s_waitcnt lgkmcnt(0)
	v_max_i32_e32 v1, v1, v2
	ds_write_b32 v17, v1 offset:2048
.LBB36_194:
	s_or_b32 exec_lo, exec_lo, s0
	s_mov_b32 s0, exec_lo
	s_waitcnt lgkmcnt(0)
	s_barrier
	buffer_gl0_inv
	v_cmpx_gt_u32_e32 0x80, v0
	s_cbranch_execz .LBB36_196
; %bb.195:
	ds_read2st64_b32 v[1:2], v17 offset0:8 offset1:10
	s_waitcnt lgkmcnt(0)
	v_max_i32_e32 v1, v1, v2
	ds_write_b32 v17, v1 offset:2048
.LBB36_196:
	s_or_b32 exec_lo, exec_lo, s0
	s_mov_b32 s0, exec_lo
	s_waitcnt lgkmcnt(0)
	;; [unrolled: 13-line block ×3, first 2 shown]
	s_barrier
	buffer_gl0_inv
	v_cmpx_gt_u32_e32 32, v0
	s_cbranch_execz .LBB36_200
; %bb.199:
	v_add_nc_u32_e32 v1, 0x800, v17
	ds_read2_b32 v[1:2], v1 offset1:32
	s_waitcnt lgkmcnt(0)
	v_max_i32_e32 v1, v1, v2
	ds_write_b32 v17, v1 offset:2048
.LBB36_200:
	s_or_b32 exec_lo, exec_lo, s0
	s_mov_b32 s0, exec_lo
	s_waitcnt lgkmcnt(0)
	s_barrier
	buffer_gl0_inv
	v_cmpx_gt_u32_e32 16, v0
	s_cbranch_execz .LBB36_202
; %bb.201:
	v_add_nc_u32_e32 v1, 0x800, v17
	ds_read2_b32 v[1:2], v1 offset1:16
	s_waitcnt lgkmcnt(0)
	v_max_i32_e32 v1, v1, v2
	ds_write_b32 v17, v1 offset:2048
.LBB36_202:
	s_or_b32 exec_lo, exec_lo, s0
	s_mov_b32 s0, exec_lo
	s_waitcnt lgkmcnt(0)
	;; [unrolled: 14-line block ×4, first 2 shown]
	s_barrier
	buffer_gl0_inv
	v_cmpx_gt_u32_e32 2, v0
	s_cbranch_execz .LBB36_208
; %bb.207:
	v_add_nc_u32_e32 v1, 0x800, v17
	ds_read2_b32 v[1:2], v1 offset1:2
	s_waitcnt lgkmcnt(0)
	v_max_i32_e32 v1, v1, v2
	ds_write_b32 v17, v1 offset:2048
.LBB36_208:
	s_or_b32 exec_lo, exec_lo, s0
	v_cmp_eq_u32_e32 vcc_lo, 0, v0
	s_waitcnt lgkmcnt(0)
	s_barrier
	buffer_gl0_inv
	s_and_saveexec_b32 s0, vcc_lo
	s_cbranch_execz .LBB36_210
; %bb.209:
	v_mov_b32_e32 v3, 0
	ds_read_b64 v[1:2], v3 offset:2048
	s_waitcnt lgkmcnt(0)
	v_max_i32_e32 v1, v1, v2
	ds_write_b32 v3, v1 offset:2048
.LBB36_210:
	s_or_b32 exec_lo, exec_lo, s0
	s_waitcnt lgkmcnt(0)
	s_barrier
	buffer_gl0_inv
	s_and_saveexec_b32 s0, vcc_lo
	s_cbranch_execz .LBB36_213
; %bb.211:
	v_mbcnt_lo_u32_b32 v1, exec_lo, 0
	v_cmp_eq_u32_e32 vcc_lo, 0, v1
	s_and_b32 exec_lo, exec_lo, vcc_lo
	s_cbranch_execz .LBB36_213
; %bb.212:
	v_mov_b32_e32 v1, 0
	s_load_dwordx2 s[2:3], s[4:5], 0x8
	ds_read_b32 v2, v1 offset:2048
	s_waitcnt lgkmcnt(0)
	v_add_nc_u32_e32 v2, 1, v2
	global_atomic_smax v1, v2, s[2:3]
.LBB36_213:
	s_or_b32 exec_lo, exec_lo, s0
	v_cmp_eq_u32_e32 vcc_lo, 0, v0
	s_and_b32 s0, vcc_lo, s60
	s_and_saveexec_b32 s1, s0
	s_cbranch_execz .LBB36_220
.LBB36_214:
	v_mov_b32_e32 v0, 0x7fc00000
	s_mov_b32 s0, exec_lo
.LBB36_215:                             ; =>This Inner Loop Header: Depth=1
	s_ff1_i32_b32 s2, s0
	v_max_f32_e32 v0, v0, v0
	v_readlane_b32 s3, v20, s2
	s_lshl_b32 s2, 1, s2
	s_andn2_b32 s0, s0, s2
	s_cmp_lg_u32 s0, 0
	v_max_f32_e64 v1, s3, s3
	v_max_f32_e32 v0, v0, v1
	s_cbranch_scc1 .LBB36_215
; %bb.216:
	v_mbcnt_lo_u32_b32 v1, exec_lo, 0
	s_mov_b32 s2, 0
	s_mov_b32 s3, exec_lo
	v_cmpx_eq_u32_e32 0, v1
	s_xor_b32 s3, exec_lo, s3
	s_cbranch_execz .LBB36_220
; %bb.217:
	v_mov_b32_e32 v2, 0
	v_max_f32_e32 v3, v0, v0
	global_load_dword v1, v2, s[28:29]
.LBB36_218:                             ; =>This Inner Loop Header: Depth=1
	s_waitcnt vmcnt(0)
	v_max_f32_e32 v0, v1, v1
	v_max_f32_e32 v0, v0, v3
	global_atomic_cmpswap v0, v2, v[0:1], s[28:29] glc
	s_waitcnt vmcnt(0)
	v_cmp_eq_u32_e64 s0, v0, v1
	v_mov_b32_e32 v1, v0
	s_or_b32 s2, s0, s2
	s_andn2_b32 exec_lo, exec_lo, s2
	s_cbranch_execnz .LBB36_218
; %bb.219:
	s_or_b32 exec_lo, exec_lo, s2
.LBB36_220:
	s_or_b32 exec_lo, exec_lo, s1
	s_and_b32 s0, vcc_lo, s33
	s_and_saveexec_b32 s1, s0
	s_cbranch_execz .LBB36_226
; %bb.221:
	v_mov_b32_e32 v0, 0x7fc00000
	s_mov_b32 s0, exec_lo
.LBB36_222:                             ; =>This Inner Loop Header: Depth=1
	s_ff1_i32_b32 s1, s0
	v_max_f32_e32 v0, v0, v0
	v_readlane_b32 s2, v18, s1
	s_lshl_b32 s1, 1, s1
	s_andn2_b32 s0, s0, s1
	s_cmp_lg_u32 s0, 0
	v_max_f32_e64 v1, s2, s2
	v_max_f32_e32 v0, v0, v1
	s_cbranch_scc1 .LBB36_222
; %bb.223:
	v_mbcnt_lo_u32_b32 v1, exec_lo, 0
	s_mov_b32 s0, 0
	s_mov_b32 s1, exec_lo
	v_cmpx_eq_u32_e32 0, v1
	s_xor_b32 s1, exec_lo, s1
	s_cbranch_execz .LBB36_226
; %bb.224:
	v_mov_b32_e32 v2, 0
	v_max_f32_e32 v3, v0, v0
	global_load_dword v1, v2, s[30:31]
.LBB36_225:                             ; =>This Inner Loop Header: Depth=1
	s_waitcnt vmcnt(0)
	v_max_f32_e32 v0, v1, v1
	v_max_f32_e32 v0, v0, v3
	global_atomic_cmpswap v0, v2, v[0:1], s[30:31] glc
	s_waitcnt vmcnt(0)
	v_cmp_eq_u32_e32 vcc_lo, v0, v1
	v_mov_b32_e32 v1, v0
	s_or_b32 s0, vcc_lo, s0
	s_andn2_b32 exec_lo, exec_lo, s0
	s_cbranch_execnz .LBB36_225
.LBB36_226:
	s_endpgm
	.section	.rodata,"a",@progbits
	.p2align	6, 0x0
	.amdhsa_kernel _ZN9rocsparseL6kernelILi1024ELi2E21rocsparse_complex_numIfEiiEEvbbbT3_PS3_NS_15floating_traitsIT1_E6data_tES3_T2_PKS9_SB_PKS3_PKS6_21rocsparse_index_base_SB_SB_SD_PS6_SH_SG_SB_SB_SD_SH_SH_SG_SH_SH_PS8_SI_PKS8_
		.amdhsa_group_segment_fixed_size 4096
		.amdhsa_private_segment_fixed_size 0
		.amdhsa_kernarg_size 208
		.amdhsa_user_sgpr_count 6
		.amdhsa_user_sgpr_private_segment_buffer 1
		.amdhsa_user_sgpr_dispatch_ptr 0
		.amdhsa_user_sgpr_queue_ptr 0
		.amdhsa_user_sgpr_kernarg_segment_ptr 1
		.amdhsa_user_sgpr_dispatch_id 0
		.amdhsa_user_sgpr_flat_scratch_init 0
		.amdhsa_user_sgpr_private_segment_size 0
		.amdhsa_wavefront_size32 1
		.amdhsa_uses_dynamic_stack 0
		.amdhsa_system_sgpr_private_segment_wavefront_offset 0
		.amdhsa_system_sgpr_workgroup_id_x 1
		.amdhsa_system_sgpr_workgroup_id_y 0
		.amdhsa_system_sgpr_workgroup_id_z 0
		.amdhsa_system_sgpr_workgroup_info 0
		.amdhsa_system_vgpr_workitem_id 0
		.amdhsa_next_free_vgpr 43
		.amdhsa_next_free_sgpr 84
		.amdhsa_reserve_vcc 1
		.amdhsa_reserve_flat_scratch 0
		.amdhsa_float_round_mode_32 0
		.amdhsa_float_round_mode_16_64 0
		.amdhsa_float_denorm_mode_32 3
		.amdhsa_float_denorm_mode_16_64 3
		.amdhsa_dx10_clamp 1
		.amdhsa_ieee_mode 1
		.amdhsa_fp16_overflow 0
		.amdhsa_workgroup_processor_mode 1
		.amdhsa_memory_ordered 1
		.amdhsa_forward_progress 1
		.amdhsa_shared_vgpr_count 0
		.amdhsa_exception_fp_ieee_invalid_op 0
		.amdhsa_exception_fp_denorm_src 0
		.amdhsa_exception_fp_ieee_div_zero 0
		.amdhsa_exception_fp_ieee_overflow 0
		.amdhsa_exception_fp_ieee_underflow 0
		.amdhsa_exception_fp_ieee_inexact 0
		.amdhsa_exception_int_div_zero 0
	.end_amdhsa_kernel
	.section	.text._ZN9rocsparseL6kernelILi1024ELi2E21rocsparse_complex_numIfEiiEEvbbbT3_PS3_NS_15floating_traitsIT1_E6data_tES3_T2_PKS9_SB_PKS3_PKS6_21rocsparse_index_base_SB_SB_SD_PS6_SH_SG_SB_SB_SD_SH_SH_SG_SH_SH_PS8_SI_PKS8_,"axG",@progbits,_ZN9rocsparseL6kernelILi1024ELi2E21rocsparse_complex_numIfEiiEEvbbbT3_PS3_NS_15floating_traitsIT1_E6data_tES3_T2_PKS9_SB_PKS3_PKS6_21rocsparse_index_base_SB_SB_SD_PS6_SH_SG_SB_SB_SD_SH_SH_SG_SH_SH_PS8_SI_PKS8_,comdat
.Lfunc_end36:
	.size	_ZN9rocsparseL6kernelILi1024ELi2E21rocsparse_complex_numIfEiiEEvbbbT3_PS3_NS_15floating_traitsIT1_E6data_tES3_T2_PKS9_SB_PKS3_PKS6_21rocsparse_index_base_SB_SB_SD_PS6_SH_SG_SB_SB_SD_SH_SH_SG_SH_SH_PS8_SI_PKS8_, .Lfunc_end36-_ZN9rocsparseL6kernelILi1024ELi2E21rocsparse_complex_numIfEiiEEvbbbT3_PS3_NS_15floating_traitsIT1_E6data_tES3_T2_PKS9_SB_PKS3_PKS6_21rocsparse_index_base_SB_SB_SD_PS6_SH_SG_SB_SB_SD_SH_SH_SG_SH_SH_PS8_SI_PKS8_
                                        ; -- End function
	.set _ZN9rocsparseL6kernelILi1024ELi2E21rocsparse_complex_numIfEiiEEvbbbT3_PS3_NS_15floating_traitsIT1_E6data_tES3_T2_PKS9_SB_PKS3_PKS6_21rocsparse_index_base_SB_SB_SD_PS6_SH_SG_SB_SB_SD_SH_SH_SG_SH_SH_PS8_SI_PKS8_.num_vgpr, 43
	.set _ZN9rocsparseL6kernelILi1024ELi2E21rocsparse_complex_numIfEiiEEvbbbT3_PS3_NS_15floating_traitsIT1_E6data_tES3_T2_PKS9_SB_PKS3_PKS6_21rocsparse_index_base_SB_SB_SD_PS6_SH_SG_SB_SB_SD_SH_SH_SG_SH_SH_PS8_SI_PKS8_.num_agpr, 0
	.set _ZN9rocsparseL6kernelILi1024ELi2E21rocsparse_complex_numIfEiiEEvbbbT3_PS3_NS_15floating_traitsIT1_E6data_tES3_T2_PKS9_SB_PKS3_PKS6_21rocsparse_index_base_SB_SB_SD_PS6_SH_SG_SB_SB_SD_SH_SH_SG_SH_SH_PS8_SI_PKS8_.numbered_sgpr, 84
	.set _ZN9rocsparseL6kernelILi1024ELi2E21rocsparse_complex_numIfEiiEEvbbbT3_PS3_NS_15floating_traitsIT1_E6data_tES3_T2_PKS9_SB_PKS3_PKS6_21rocsparse_index_base_SB_SB_SD_PS6_SH_SG_SB_SB_SD_SH_SH_SG_SH_SH_PS8_SI_PKS8_.num_named_barrier, 0
	.set _ZN9rocsparseL6kernelILi1024ELi2E21rocsparse_complex_numIfEiiEEvbbbT3_PS3_NS_15floating_traitsIT1_E6data_tES3_T2_PKS9_SB_PKS3_PKS6_21rocsparse_index_base_SB_SB_SD_PS6_SH_SG_SB_SB_SD_SH_SH_SG_SH_SH_PS8_SI_PKS8_.private_seg_size, 0
	.set _ZN9rocsparseL6kernelILi1024ELi2E21rocsparse_complex_numIfEiiEEvbbbT3_PS3_NS_15floating_traitsIT1_E6data_tES3_T2_PKS9_SB_PKS3_PKS6_21rocsparse_index_base_SB_SB_SD_PS6_SH_SG_SB_SB_SD_SH_SH_SG_SH_SH_PS8_SI_PKS8_.uses_vcc, 1
	.set _ZN9rocsparseL6kernelILi1024ELi2E21rocsparse_complex_numIfEiiEEvbbbT3_PS3_NS_15floating_traitsIT1_E6data_tES3_T2_PKS9_SB_PKS3_PKS6_21rocsparse_index_base_SB_SB_SD_PS6_SH_SG_SB_SB_SD_SH_SH_SG_SH_SH_PS8_SI_PKS8_.uses_flat_scratch, 0
	.set _ZN9rocsparseL6kernelILi1024ELi2E21rocsparse_complex_numIfEiiEEvbbbT3_PS3_NS_15floating_traitsIT1_E6data_tES3_T2_PKS9_SB_PKS3_PKS6_21rocsparse_index_base_SB_SB_SD_PS6_SH_SG_SB_SB_SD_SH_SH_SG_SH_SH_PS8_SI_PKS8_.has_dyn_sized_stack, 0
	.set _ZN9rocsparseL6kernelILi1024ELi2E21rocsparse_complex_numIfEiiEEvbbbT3_PS3_NS_15floating_traitsIT1_E6data_tES3_T2_PKS9_SB_PKS3_PKS6_21rocsparse_index_base_SB_SB_SD_PS6_SH_SG_SB_SB_SD_SH_SH_SG_SH_SH_PS8_SI_PKS8_.has_recursion, 0
	.set _ZN9rocsparseL6kernelILi1024ELi2E21rocsparse_complex_numIfEiiEEvbbbT3_PS3_NS_15floating_traitsIT1_E6data_tES3_T2_PKS9_SB_PKS3_PKS6_21rocsparse_index_base_SB_SB_SD_PS6_SH_SG_SB_SB_SD_SH_SH_SG_SH_SH_PS8_SI_PKS8_.has_indirect_call, 0
	.section	.AMDGPU.csdata,"",@progbits
; Kernel info:
; codeLenInByte = 9228
; TotalNumSgprs: 86
; NumVgprs: 43
; ScratchSize: 0
; MemoryBound: 0
; FloatMode: 240
; IeeeMode: 1
; LDSByteSize: 4096 bytes/workgroup (compile time only)
; SGPRBlocks: 0
; VGPRBlocks: 5
; NumSGPRsForWavesPerEU: 86
; NumVGPRsForWavesPerEU: 43
; Occupancy: 16
; WaveLimiterHint : 1
; COMPUTE_PGM_RSRC2:SCRATCH_EN: 0
; COMPUTE_PGM_RSRC2:USER_SGPR: 6
; COMPUTE_PGM_RSRC2:TRAP_HANDLER: 0
; COMPUTE_PGM_RSRC2:TGID_X_EN: 1
; COMPUTE_PGM_RSRC2:TGID_Y_EN: 0
; COMPUTE_PGM_RSRC2:TGID_Z_EN: 0
; COMPUTE_PGM_RSRC2:TIDIG_COMP_CNT: 0
	.section	.text._ZN9rocsparseL6kernelILi1024ELi4E21rocsparse_complex_numIfEiiEEvbbbT3_PS3_NS_15floating_traitsIT1_E6data_tES3_T2_PKS9_SB_PKS3_PKS6_21rocsparse_index_base_SB_SB_SD_PS6_SH_SG_SB_SB_SD_SH_SH_SG_SH_SH_PS8_SI_PKS8_,"axG",@progbits,_ZN9rocsparseL6kernelILi1024ELi4E21rocsparse_complex_numIfEiiEEvbbbT3_PS3_NS_15floating_traitsIT1_E6data_tES3_T2_PKS9_SB_PKS3_PKS6_21rocsparse_index_base_SB_SB_SD_PS6_SH_SG_SB_SB_SD_SH_SH_SG_SH_SH_PS8_SI_PKS8_,comdat
	.globl	_ZN9rocsparseL6kernelILi1024ELi4E21rocsparse_complex_numIfEiiEEvbbbT3_PS3_NS_15floating_traitsIT1_E6data_tES3_T2_PKS9_SB_PKS3_PKS6_21rocsparse_index_base_SB_SB_SD_PS6_SH_SG_SB_SB_SD_SH_SH_SG_SH_SH_PS8_SI_PKS8_ ; -- Begin function _ZN9rocsparseL6kernelILi1024ELi4E21rocsparse_complex_numIfEiiEEvbbbT3_PS3_NS_15floating_traitsIT1_E6data_tES3_T2_PKS9_SB_PKS3_PKS6_21rocsparse_index_base_SB_SB_SD_PS6_SH_SG_SB_SB_SD_SH_SH_SG_SH_SH_PS8_SI_PKS8_
	.p2align	8
	.type	_ZN9rocsparseL6kernelILi1024ELi4E21rocsparse_complex_numIfEiiEEvbbbT3_PS3_NS_15floating_traitsIT1_E6data_tES3_T2_PKS9_SB_PKS3_PKS6_21rocsparse_index_base_SB_SB_SD_PS6_SH_SG_SB_SB_SD_SH_SH_SG_SH_SH_PS8_SI_PKS8_,@function
_ZN9rocsparseL6kernelILi1024ELi4E21rocsparse_complex_numIfEiiEEvbbbT3_PS3_NS_15floating_traitsIT1_E6data_tES3_T2_PKS9_SB_PKS3_PKS6_21rocsparse_index_base_SB_SB_SD_PS6_SH_SG_SB_SB_SD_SH_SH_SG_SH_SH_PS8_SI_PKS8_: ; @_ZN9rocsparseL6kernelILi1024ELi4E21rocsparse_complex_numIfEiiEEvbbbT3_PS3_NS_15floating_traitsIT1_E6data_tES3_T2_PKS9_SB_PKS3_PKS6_21rocsparse_index_base_SB_SB_SD_PS6_SH_SG_SB_SB_SD_SH_SH_SG_SH_SH_PS8_SI_PKS8_
; %bb.0:
	s_clause 0x3
	s_load_dword s0, s[4:5], 0x0
	s_load_dwordx2 s[34:35], s[4:5], 0x0
	s_load_dwordx2 s[52:53], s[4:5], 0x10
	s_load_dwordx4 s[44:47], s[4:5], 0xb8
	v_lshrrev_b32_e32 v19, 2, v0
	v_mov_b32_e32 v1, 0
	v_lshlrev_b32_e32 v17, 2, v0
	v_and_b32_e32 v20, 3, v0
	v_mbcnt_lo_u32_b32 v22, -1, 0
	v_mov_b32_e32 v21, 0
	v_mov_b32_e32 v18, 0
	ds_write_b32 v17, v1
	s_waitcnt lgkmcnt(0)
	s_barrier
	buffer_gl0_inv
	s_bitcmp1_b32 s0, 0
	s_cselect_b32 s61, -1, 0
	s_bitcmp1_b32 s0, 8
	s_cselect_b32 s60, -1, 0
	s_bitcmp1_b32 s34, 16
	s_mov_b32 s34, 0
	s_cselect_b32 s33, -1, 0
	s_lshl_b32 s66, s6, 10
	s_cmp_gt_i32 s35, 0
	v_or_b32_e32 v23, s66, v19
	s_cselect_b32 s0, -1, 0
	v_cmp_gt_i32_e32 vcc_lo, s53, v23
	s_and_b32 s0, s0, vcc_lo
	s_and_saveexec_b32 s62, s0
	s_cbranch_execnz .LBB37_3
; %bb.1:
	s_or_b32 exec_lo, exec_lo, s62
	s_andn2_b32 vcc_lo, exec_lo, s61
	s_cbranch_vccz .LBB37_186
.LBB37_2:
	v_cmp_eq_u32_e32 vcc_lo, 0, v0
	s_and_b32 s0, vcc_lo, s60
	s_and_saveexec_b32 s1, s0
	s_cbranch_execnz .LBB37_208
	s_branch .LBB37_214
.LBB37_3:
	s_clause 0x9
	s_load_dword s63, s[4:5], 0x40
	s_load_dwordx2 s[54:55], s[4:5], 0x68
	s_load_dword s64, s[4:5], 0x70
	s_load_dwordx2 s[56:57], s[4:5], 0x98
	;; [unrolled: 2-line block ×3, first 2 shown]
	s_load_dwordx4 s[48:51], s[4:5], 0xa8
	s_load_dwordx8 s[16:23], s[4:5], 0x78
	s_load_dwordx8 s[24:31], s[4:5], 0x48
	;; [unrolled: 1-line block ×3, first 2 shown]
	s_addk_i32 s66, 0x400
	v_cmp_eq_u32_e64 s0, 3, v20
	v_lshlrev_b32_e32 v24, 2, v19
	v_cmp_gt_u32_e64 s1, 0x80, v0
	v_cmp_gt_u32_e64 s2, 64, v0
	;; [unrolled: 1-line block ×7, first 2 shown]
	s_waitcnt lgkmcnt(0)
	v_subrev_nc_u32_e32 v25, s63, v20
	v_cmp_gt_u32_e64 s10, 2, v0
	v_cmp_eq_u32_e64 s11, 0, v0
	v_subrev_nc_u32_e32 v26, s64, v20
	v_subrev_nc_u32_e32 v27, s65, v20
	v_cmp_eq_u32_e64 s12, 0, v20
	v_mov_b32_e32 v2, 0
	v_mov_b32_e32 v18, 0
	;; [unrolled: 1-line block ×3, first 2 shown]
	s_and_b32 s13, s60, s33
	s_xor_b32 s67, s60, -1
	s_xor_b32 s68, s13, -1
	s_mov_b32 s69, 0
	s_branch .LBB37_5
.LBB37_4:                               ;   in Loop: Header=BB37_5 Depth=1
	s_or_b32 exec_lo, exec_lo, s13
	s_and_b32 s13, exec_lo, s14
	s_or_b32 s34, s13, s34
	s_andn2_b32 exec_lo, exec_lo, s34
	s_cbranch_execz .LBB37_185
.LBB37_5:                               ; =>This Loop Header: Depth=1
                                        ;     Child Loop BB37_9 Depth 2
                                        ;       Child Loop BB37_14 Depth 3
                                        ;         Child Loop BB37_18 Depth 4
                                        ;         Child Loop BB37_53 Depth 4
	;; [unrolled: 1-line block ×5, first 2 shown]
                                        ;     Child Loop BB37_164 Depth 2
                                        ;       Child Loop BB37_167 Depth 3
                                        ;       Child Loop BB37_170 Depth 3
	v_cndmask_b32_e64 v21, v21, 0, s60
	v_cndmask_b32_e64 v18, v18, 0, s33
	s_mov_b32 s70, 0
	s_branch .LBB37_9
.LBB37_6:                               ;   in Loop: Header=BB37_9 Depth=2
	s_or_b32 exec_lo, exec_lo, s73
.LBB37_7:                               ;   in Loop: Header=BB37_9 Depth=2
	s_or_b32 exec_lo, exec_lo, s72
.LBB37_8:                               ;   in Loop: Header=BB37_9 Depth=2
	s_or_b32 exec_lo, exec_lo, s71
	s_add_i32 s70, s70, 1
	s_cmp_eq_u32 s70, 4
	s_cbranch_scc1 .LBB37_121
.LBB37_9:                               ;   Parent Loop BB37_5 Depth=1
                                        ; =>  This Loop Header: Depth=2
                                        ;       Child Loop BB37_14 Depth 3
                                        ;         Child Loop BB37_18 Depth 4
                                        ;         Child Loop BB37_53 Depth 4
	;; [unrolled: 1-line block ×5, first 2 shown]
	v_lshl_add_u32 v3, s70, 8, v23
	s_mov_b32 s71, exec_lo
	v_cmpx_gt_i32_e64 s53, v3
	s_cbranch_execz .LBB37_8
; %bb.10:                               ;   in Loop: Header=BB37_9 Depth=2
	v_ashrrev_i32_e32 v4, 31, v3
	s_mov_b32 s72, exec_lo
	v_lshlrev_b64 v[5:6], 2, v[3:4]
	v_add_co_u32 v7, vcc_lo, s36, v5
	v_add_co_ci_u32_e64 v8, null, s37, v6, vcc_lo
	v_add_co_u32 v9, vcc_lo, s38, v5
	v_add_co_ci_u32_e64 v10, null, s39, v6, vcc_lo
	global_load_dword v1, v[7:8], off
	global_load_dword v7, v[9:10], off
	s_waitcnt vmcnt(1)
	v_add_nc_u32_e32 v4, v25, v1
	s_waitcnt vmcnt(0)
	v_subrev_nc_u32_e32 v28, s63, v7
	v_cmpx_lt_i32_e64 v4, v28
	s_cbranch_execz .LBB37_7
; %bb.11:                               ;   in Loop: Header=BB37_9 Depth=2
	v_add_co_u32 v7, vcc_lo, s24, v5
	v_add_co_ci_u32_e64 v8, null, s25, v6, vcc_lo
	v_add_co_u32 v5, vcc_lo, s26, v5
	v_add_co_ci_u32_e64 v6, null, s27, v6, vcc_lo
	global_load_dword v1, v[7:8], off
	s_mov_b32 s73, 0
	global_load_dword v5, v[5:6], off
	s_waitcnt vmcnt(1)
	v_subrev_nc_u32_e32 v6, s64, v1
	s_waitcnt vmcnt(0)
	v_sub_nc_u32_e32 v29, v5, v1
	v_ashrrev_i32_e32 v7, 31, v6
	v_cmp_lt_i32_e64 s13, 0, v29
	v_lshlrev_b64 v[8:9], 2, v[6:7]
	v_lshlrev_b64 v[10:11], 3, v[6:7]
	v_add_co_u32 v30, vcc_lo, s28, v8
	v_add_co_ci_u32_e64 v31, null, s29, v9, vcc_lo
	v_add_co_u32 v32, vcc_lo, s30, v10
	v_add_co_ci_u32_e64 v33, null, s31, v11, vcc_lo
	s_branch .LBB37_14
.LBB37_12:                              ;   in Loop: Header=BB37_14 Depth=3
	s_or_b32 exec_lo, exec_lo, s14
.LBB37_13:                              ;   in Loop: Header=BB37_14 Depth=3
	s_or_b32 exec_lo, exec_lo, s15
	v_add_nc_u32_e32 v4, 4, v4
	v_cmp_ge_i32_e32 vcc_lo, v4, v28
	s_or_b32 s73, vcc_lo, s73
	s_andn2_b32 exec_lo, exec_lo, s73
	s_cbranch_execz .LBB37_6
.LBB37_14:                              ;   Parent Loop BB37_5 Depth=1
                                        ;     Parent Loop BB37_9 Depth=2
                                        ; =>    This Loop Header: Depth=3
                                        ;         Child Loop BB37_18 Depth 4
                                        ;         Child Loop BB37_53 Depth 4
	;; [unrolled: 1-line block ×5, first 2 shown]
	v_ashrrev_i32_e32 v5, 31, v4
	v_mov_b32_e32 v34, 0
	v_mov_b32_e32 v35, 0
	v_lshlrev_b64 v[7:8], 2, v[4:5]
	v_add_co_u32 v7, vcc_lo, s40, v7
	v_add_co_ci_u32_e64 v8, null, s41, v8, vcc_lo
	global_load_dword v1, v[7:8], off
	s_waitcnt vmcnt(0)
	v_subrev_nc_u32_e32 v7, s63, v1
	v_mov_b32_e32 v1, 0
	v_ashrrev_i32_e32 v8, 31, v7
	v_lshlrev_b64 v[9:10], 2, v[7:8]
	v_add_co_u32 v11, vcc_lo, s16, v9
	v_add_co_ci_u32_e64 v12, null, s17, v10, vcc_lo
	v_add_co_u32 v9, vcc_lo, s18, v9
	v_add_co_ci_u32_e64 v10, null, s19, v10, vcc_lo
	global_load_dword v12, v[11:12], off
	global_load_dword v9, v[9:10], off
	s_waitcnt vmcnt(1)
	v_subrev_nc_u32_e32 v11, s65, v12
	s_waitcnt vmcnt(0)
	v_sub_nc_u32_e32 v36, v9, v12
	v_mov_b32_e32 v12, v1
	s_and_saveexec_b32 s15, s13
	s_cbranch_execz .LBB37_22
; %bb.15:                               ;   in Loop: Header=BB37_14 Depth=3
	v_ashrrev_i32_e32 v12, 31, v11
	v_mov_b32_e32 v34, 0
	v_mov_b32_e32 v1, 0
	;; [unrolled: 1-line block ×3, first 2 shown]
	s_mov_b32 s74, 0
	v_lshlrev_b64 v[9:10], 2, v[11:12]
	v_lshlrev_b64 v[12:13], 3, v[11:12]
                                        ; implicit-def: $sgpr75
	v_add_co_u32 v9, vcc_lo, s20, v9
	v_add_co_ci_u32_e64 v10, null, s21, v10, vcc_lo
	v_add_co_u32 v14, vcc_lo, s22, v12
	v_add_co_ci_u32_e64 v15, null, s23, v13, vcc_lo
	v_mov_b32_e32 v12, 0
	s_branch .LBB37_18
.LBB37_16:                              ;   in Loop: Header=BB37_18 Depth=4
	s_or_b32 exec_lo, exec_lo, s14
	v_cmp_le_i32_e32 vcc_lo, v16, v37
	v_cmp_ge_i32_e64 s14, v16, v37
	v_add_co_ci_u32_e64 v1, null, 0, v1, vcc_lo
	v_add_co_ci_u32_e64 v12, null, 0, v12, s14
	s_andn2_b32 s14, s75, exec_lo
	v_cmp_ge_i32_e32 vcc_lo, v1, v29
	s_and_b32 s75, vcc_lo, exec_lo
	s_or_b32 s75, s14, s75
.LBB37_17:                              ;   in Loop: Header=BB37_18 Depth=4
	s_or_b32 exec_lo, exec_lo, s76
	s_and_b32 s14, exec_lo, s75
	s_or_b32 s74, s14, s74
	s_andn2_b32 exec_lo, exec_lo, s74
	s_cbranch_execz .LBB37_21
.LBB37_18:                              ;   Parent Loop BB37_5 Depth=1
                                        ;     Parent Loop BB37_9 Depth=2
                                        ;       Parent Loop BB37_14 Depth=3
                                        ; =>      This Inner Loop Header: Depth=4
	s_or_b32 s75, s75, exec_lo
	s_mov_b32 s76, exec_lo
	v_cmpx_lt_i32_e64 v12, v36
	s_cbranch_execz .LBB37_17
; %bb.19:                               ;   in Loop: Header=BB37_18 Depth=4
	v_mov_b32_e32 v13, v2
	v_lshlrev_b64 v[37:38], 2, v[1:2]
	s_mov_b32 s14, exec_lo
	v_lshlrev_b64 v[39:40], 2, v[12:13]
	v_add_co_u32 v37, vcc_lo, v30, v37
	v_add_co_ci_u32_e64 v38, null, v31, v38, vcc_lo
	v_add_co_u32 v39, vcc_lo, v9, v39
	v_add_co_ci_u32_e64 v40, null, v10, v40, vcc_lo
	global_load_dword v16, v[37:38], off
	global_load_dword v37, v[39:40], off
	s_waitcnt vmcnt(1)
	v_subrev_nc_u32_e32 v16, s64, v16
	s_waitcnt vmcnt(0)
	v_subrev_nc_u32_e32 v37, s65, v37
	v_cmpx_eq_u32_e64 v16, v37
	s_cbranch_execz .LBB37_16
; %bb.20:                               ;   in Loop: Header=BB37_18 Depth=4
	v_lshlrev_b64 v[38:39], 3, v[1:2]
	v_lshlrev_b64 v[40:41], 3, v[12:13]
	v_add_co_u32 v38, vcc_lo, v32, v38
	v_add_co_ci_u32_e64 v39, null, v33, v39, vcc_lo
	v_add_co_u32 v40, vcc_lo, v14, v40
	v_add_co_ci_u32_e64 v41, null, v15, v41, vcc_lo
	global_load_dwordx2 v[38:39], v[38:39], off
	global_load_dwordx2 v[40:41], v[40:41], off
	s_waitcnt vmcnt(0)
	v_fmac_f32_e32 v34, v38, v40
	v_fmac_f32_e32 v35, v39, v40
	v_fma_f32 v34, -v39, v41, v34
	v_fmac_f32_e32 v35, v38, v41
	s_branch .LBB37_16
.LBB37_21:                              ;   in Loop: Header=BB37_14 Depth=3
	s_or_b32 exec_lo, exec_lo, s74
.LBB37_22:                              ;   in Loop: Header=BB37_14 Depth=3
	s_or_b32 exec_lo, exec_lo, s15
	v_lshlrev_b64 v[9:10], 3, v[4:5]
	v_cmp_le_i32_e64 s14, v3, v7
	s_mov_b32 s74, exec_lo
	v_add_co_u32 v9, vcc_lo, s42, v9
	v_add_co_ci_u32_e64 v10, null, s43, v10, vcc_lo
	global_load_dwordx2 v[9:10], v[9:10], off
	s_waitcnt vmcnt(0)
	v_sub_f32_e32 v13, v9, v34
	v_sub_f32_e32 v14, v10, v35
	v_cmpx_gt_i32_e64 v3, v7
	s_cbranch_execz .LBB37_32
; %bb.23:                               ;   in Loop: Header=BB37_14 Depth=3
	v_lshlrev_b64 v[15:16], 3, v[7:8]
                                        ; implicit-def: $vgpr38
	s_mov_b32 s15, exec_lo
	v_add_co_u32 v15, vcc_lo, s48, v15
	v_add_co_ci_u32_e64 v16, null, s49, v16, vcc_lo
	global_load_dwordx2 v[15:16], v[15:16], off
	s_waitcnt vmcnt(0)
	v_cmp_gt_f32_e32 vcc_lo, 0, v15
	v_cndmask_b32_e64 v5, v15, -v15, vcc_lo
	v_cmp_gt_f32_e32 vcc_lo, 0, v16
	v_cndmask_b32_e64 v37, v16, -v16, vcc_lo
	v_cmpx_ngt_f32_e32 v5, v37
	s_xor_b32 s75, exec_lo, s15
	s_cbranch_execz .LBB37_27
; %bb.24:                               ;   in Loop: Header=BB37_14 Depth=3
	v_mov_b32_e32 v38, 0
	s_mov_b32 s76, exec_lo
	v_cmpx_neq_f32_e32 0, v16
	s_cbranch_execz .LBB37_26
; %bb.25:                               ;   in Loop: Header=BB37_14 Depth=3
	v_div_scale_f32 v38, null, v37, v37, v5
	v_div_scale_f32 v41, vcc_lo, v5, v37, v5
	v_rcp_f32_e32 v39, v38
	v_fma_f32 v40, -v38, v39, 1.0
	v_fmac_f32_e32 v39, v40, v39
	v_mul_f32_e32 v40, v41, v39
	v_fma_f32 v42, -v38, v40, v41
	v_fmac_f32_e32 v40, v42, v39
	v_fma_f32 v38, -v38, v40, v41
	v_div_fmas_f32 v38, v38, v39, v40
	v_div_fixup_f32 v5, v38, v37, v5
	v_fma_f32 v5, v5, v5, 1.0
	v_mul_f32_e32 v38, 0x4f800000, v5
	v_cmp_gt_f32_e32 vcc_lo, 0xf800000, v5
	v_cndmask_b32_e32 v5, v5, v38, vcc_lo
	v_sqrt_f32_e32 v38, v5
	v_add_nc_u32_e32 v39, -1, v38
	v_add_nc_u32_e32 v40, 1, v38
	v_fma_f32 v41, -v39, v38, v5
	v_fma_f32 v42, -v40, v38, v5
	v_cmp_ge_f32_e64 s15, 0, v41
	v_cndmask_b32_e64 v38, v38, v39, s15
	v_cmp_lt_f32_e64 s15, 0, v42
	v_cndmask_b32_e64 v38, v38, v40, s15
	v_mul_f32_e32 v39, 0x37800000, v38
	v_cndmask_b32_e32 v38, v38, v39, vcc_lo
	v_cmp_class_f32_e64 vcc_lo, v5, 0x260
	v_cndmask_b32_e32 v5, v38, v5, vcc_lo
	v_mul_f32_e32 v38, v37, v5
.LBB37_26:                              ;   in Loop: Header=BB37_14 Depth=3
	s_or_b32 exec_lo, exec_lo, s76
                                        ; implicit-def: $vgpr5
                                        ; implicit-def: $vgpr37
.LBB37_27:                              ;   in Loop: Header=BB37_14 Depth=3
	s_andn2_saveexec_b32 s75, s75
	s_cbranch_execz .LBB37_29
; %bb.28:                               ;   in Loop: Header=BB37_14 Depth=3
	v_div_scale_f32 v38, null, v5, v5, v37
	v_div_scale_f32 v41, vcc_lo, v37, v5, v37
	v_rcp_f32_e32 v39, v38
	v_fma_f32 v40, -v38, v39, 1.0
	v_fmac_f32_e32 v39, v40, v39
	v_mul_f32_e32 v40, v41, v39
	v_fma_f32 v42, -v38, v40, v41
	v_fmac_f32_e32 v40, v42, v39
	v_fma_f32 v38, -v38, v40, v41
	v_div_fmas_f32 v38, v38, v39, v40
	v_div_fixup_f32 v37, v38, v5, v37
	v_fma_f32 v37, v37, v37, 1.0
	v_mul_f32_e32 v38, 0x4f800000, v37
	v_cmp_gt_f32_e32 vcc_lo, 0xf800000, v37
	v_cndmask_b32_e32 v37, v37, v38, vcc_lo
	v_sqrt_f32_e32 v38, v37
	v_add_nc_u32_e32 v39, -1, v38
	v_add_nc_u32_e32 v40, 1, v38
	v_fma_f32 v41, -v39, v38, v37
	v_fma_f32 v42, -v40, v38, v37
	v_cmp_ge_f32_e64 s15, 0, v41
	v_cndmask_b32_e64 v38, v38, v39, s15
	v_cmp_lt_f32_e64 s15, 0, v42
	v_cndmask_b32_e64 v38, v38, v40, s15
	v_mul_f32_e32 v39, 0x37800000, v38
	v_cndmask_b32_e32 v38, v38, v39, vcc_lo
	v_cmp_class_f32_e64 vcc_lo, v37, 0x260
	v_cndmask_b32_e32 v37, v38, v37, vcc_lo
	v_mul_f32_e32 v38, v5, v37
.LBB37_29:                              ;   in Loop: Header=BB37_14 Depth=3
	s_or_b32 exec_lo, exec_lo, s75
	v_mov_b32_e32 v5, 0
	v_mov_b32_e32 v37, 0
	s_mov_b32 s15, exec_lo
	v_cmpx_lt_f32_e32 0, v38
	s_cbranch_execz .LBB37_31
; %bb.30:                               ;   in Loop: Header=BB37_14 Depth=3
	v_mul_f32_e32 v5, v16, v16
	v_fmac_f32_e32 v5, v15, v15
	v_div_scale_f32 v37, null, v5, v5, 1.0
	v_div_scale_f32 v40, vcc_lo, 1.0, v5, 1.0
	v_rcp_f32_e32 v38, v37
	v_fma_f32 v39, -v37, v38, 1.0
	v_fmac_f32_e32 v38, v39, v38
	v_mul_f32_e32 v39, v40, v38
	v_fma_f32 v41, -v37, v39, v40
	v_fmac_f32_e32 v39, v41, v38
	v_fma_f32 v37, -v37, v39, v40
	v_mul_f32_e32 v40, v14, v16
	v_mul_f32_e64 v16, v16, -v13
	v_div_fmas_f32 v37, v37, v38, v39
	v_fmac_f32_e32 v40, v13, v15
	v_fmac_f32_e32 v16, v14, v15
	v_div_fixup_f32 v5, v37, v5, 1.0
	v_mul_f32_e32 v37, v40, v5
	v_mul_f32_e32 v5, v16, v5
.LBB37_31:                              ;   in Loop: Header=BB37_14 Depth=3
	s_or_b32 exec_lo, exec_lo, s15
	v_mov_b32_e32 v14, v5
	v_mov_b32_e32 v13, v37
.LBB37_32:                              ;   in Loop: Header=BB37_14 Depth=3
	s_or_b32 exec_lo, exec_lo, s74
	v_cmp_gt_f32_e32 vcc_lo, 0, v13
                                        ; implicit-def: $vgpr16
	s_mov_b32 s15, exec_lo
	v_cndmask_b32_e64 v5, v13, -v13, vcc_lo
	v_cmp_gt_f32_e32 vcc_lo, 0, v14
	v_cndmask_b32_e64 v15, v14, -v14, vcc_lo
	v_cmpx_ngt_f32_e32 v5, v15
	s_xor_b32 s74, exec_lo, s15
	s_cbranch_execnz .LBB37_36
; %bb.33:                               ;   in Loop: Header=BB37_14 Depth=3
	s_andn2_saveexec_b32 s74, s74
	s_cbranch_execnz .LBB37_39
.LBB37_34:                              ;   in Loop: Header=BB37_14 Depth=3
	s_or_b32 exec_lo, exec_lo, s74
	v_cmp_class_f32_e64 s15, v16, 0x1f8
	s_and_saveexec_b32 s74, s15
	s_cbranch_execnz .LBB37_40
.LBB37_35:                              ;   in Loop: Header=BB37_14 Depth=3
	s_or_b32 exec_lo, exec_lo, s74
	s_and_b32 s14, s33, s15
	s_and_saveexec_b32 s15, s14
	s_cbranch_execz .LBB37_13
	s_branch .LBB37_81
.LBB37_36:                              ;   in Loop: Header=BB37_14 Depth=3
	v_mov_b32_e32 v16, 0
	s_mov_b32 s75, exec_lo
	v_cmpx_neq_f32_e32 0, v14
	s_cbranch_execz .LBB37_38
; %bb.37:                               ;   in Loop: Header=BB37_14 Depth=3
	v_div_scale_f32 v16, null, v15, v15, v5
	v_div_scale_f32 v39, vcc_lo, v5, v15, v5
	v_rcp_f32_e32 v37, v16
	v_fma_f32 v38, -v16, v37, 1.0
	v_fmac_f32_e32 v37, v38, v37
	v_mul_f32_e32 v38, v39, v37
	v_fma_f32 v40, -v16, v38, v39
	v_fmac_f32_e32 v38, v40, v37
	v_fma_f32 v16, -v16, v38, v39
	v_div_fmas_f32 v16, v16, v37, v38
	v_div_fixup_f32 v5, v16, v15, v5
	v_fma_f32 v5, v5, v5, 1.0
	v_mul_f32_e32 v16, 0x4f800000, v5
	v_cmp_gt_f32_e32 vcc_lo, 0xf800000, v5
	v_cndmask_b32_e32 v5, v5, v16, vcc_lo
	v_sqrt_f32_e32 v16, v5
	v_add_nc_u32_e32 v37, -1, v16
	v_add_nc_u32_e32 v38, 1, v16
	v_fma_f32 v39, -v37, v16, v5
	v_fma_f32 v40, -v38, v16, v5
	v_cmp_ge_f32_e64 s15, 0, v39
	v_cndmask_b32_e64 v16, v16, v37, s15
	v_cmp_lt_f32_e64 s15, 0, v40
	v_cndmask_b32_e64 v16, v16, v38, s15
	v_mul_f32_e32 v37, 0x37800000, v16
	v_cndmask_b32_e32 v16, v16, v37, vcc_lo
	v_cmp_class_f32_e64 vcc_lo, v5, 0x260
	v_cndmask_b32_e32 v5, v16, v5, vcc_lo
	v_mul_f32_e32 v16, v15, v5
.LBB37_38:                              ;   in Loop: Header=BB37_14 Depth=3
	s_or_b32 exec_lo, exec_lo, s75
                                        ; implicit-def: $vgpr5
                                        ; implicit-def: $vgpr15
	s_andn2_saveexec_b32 s74, s74
	s_cbranch_execz .LBB37_34
.LBB37_39:                              ;   in Loop: Header=BB37_14 Depth=3
	v_div_scale_f32 v16, null, v5, v5, v15
	v_div_scale_f32 v39, vcc_lo, v15, v5, v15
	v_rcp_f32_e32 v37, v16
	v_fma_f32 v38, -v16, v37, 1.0
	v_fmac_f32_e32 v37, v38, v37
	v_mul_f32_e32 v38, v39, v37
	v_fma_f32 v40, -v16, v38, v39
	v_fmac_f32_e32 v38, v40, v37
	v_fma_f32 v16, -v16, v38, v39
	v_div_fmas_f32 v16, v16, v37, v38
	v_div_fixup_f32 v15, v16, v5, v15
	v_fma_f32 v15, v15, v15, 1.0
	v_mul_f32_e32 v16, 0x4f800000, v15
	v_cmp_gt_f32_e32 vcc_lo, 0xf800000, v15
	v_cndmask_b32_e32 v15, v15, v16, vcc_lo
	v_sqrt_f32_e32 v16, v15
	v_add_nc_u32_e32 v37, -1, v16
	v_add_nc_u32_e32 v38, 1, v16
	v_fma_f32 v39, -v37, v16, v15
	v_fma_f32 v40, -v38, v16, v15
	v_cmp_ge_f32_e64 s15, 0, v39
	v_cndmask_b32_e64 v16, v16, v37, s15
	v_cmp_lt_f32_e64 s15, 0, v40
	v_cndmask_b32_e64 v16, v16, v38, s15
	v_mul_f32_e32 v37, 0x37800000, v16
	v_cndmask_b32_e32 v16, v16, v37, vcc_lo
	v_cmp_class_f32_e64 vcc_lo, v15, 0x260
	v_cndmask_b32_e32 v15, v16, v15, vcc_lo
	v_mul_f32_e32 v16, v5, v15
	s_or_b32 exec_lo, exec_lo, s74
	v_cmp_class_f32_e64 s15, v16, 0x1f8
	s_and_saveexec_b32 s74, s15
	s_cbranch_execz .LBB37_35
.LBB37_40:                              ;   in Loop: Header=BB37_14 Depth=3
	s_and_saveexec_b32 s75, s14
	s_xor_b32 s75, exec_lo, s75
	s_cbranch_execz .LBB37_65
; %bb.41:                               ;   in Loop: Header=BB37_14 Depth=3
	s_mov_b32 s14, exec_lo
	v_cmpx_ge_i32_e64 v3, v7
	s_xor_b32 s76, exec_lo, s14
	s_cbranch_execz .LBB37_49
; %bb.42:                               ;   in Loop: Header=BB37_14 Depth=3
	v_lshlrev_b64 v[15:16], 3, v[7:8]
	v_add_co_u32 v37, vcc_lo, s50, v15
	v_add_co_ci_u32_e64 v38, null, s51, v16, vcc_lo
	s_andn2_b32 vcc_lo, exec_lo, s60
	global_store_dwordx2 v[37:38], v[13:14], off
	s_cbranch_vccnz .LBB37_48
; %bb.43:                               ;   in Loop: Header=BB37_14 Depth=3
	v_add_co_u32 v15, vcc_lo, s48, v15
	v_add_co_ci_u32_e64 v16, null, s49, v16, vcc_lo
	s_mov_b32 s14, exec_lo
	global_load_dwordx2 v[15:16], v[15:16], off
	s_waitcnt vmcnt(0)
	v_sub_f32_e32 v5, v15, v13
	v_sub_f32_e32 v15, v16, v14
                                        ; implicit-def: $vgpr14
	v_cmp_gt_f32_e32 vcc_lo, 0, v5
	v_cndmask_b32_e64 v5, v5, -v5, vcc_lo
	v_cmp_gt_f32_e32 vcc_lo, 0, v15
	v_cndmask_b32_e64 v13, v15, -v15, vcc_lo
	v_cmpx_ngt_f32_e32 v5, v13
	s_xor_b32 s77, exec_lo, s14
	s_cbranch_execnz .LBB37_109
; %bb.44:                               ;   in Loop: Header=BB37_14 Depth=3
	s_andn2_saveexec_b32 s77, s77
	s_cbranch_execnz .LBB37_112
.LBB37_45:                              ;   in Loop: Header=BB37_14 Depth=3
	s_or_b32 exec_lo, exec_lo, s77
	v_cmp_class_f32_e64 s77, v14, 0x1f8
	s_and_saveexec_b32 s14, s77
.LBB37_46:                              ;   in Loop: Header=BB37_14 Depth=3
	v_cmp_lt_f32_e32 vcc_lo, v21, v14
	v_cndmask_b32_e32 v21, v21, v14, vcc_lo
.LBB37_47:                              ;   in Loop: Header=BB37_14 Depth=3
	s_or_b32 exec_lo, exec_lo, s14
.LBB37_48:                              ;   in Loop: Header=BB37_14 Depth=3
                                        ; implicit-def: $vgpr13
.LBB37_49:                              ;   in Loop: Header=BB37_14 Depth=3
	s_andn2_saveexec_b32 s76, s76
	s_cbranch_execz .LBB37_64
; %bb.50:                               ;   in Loop: Header=BB37_14 Depth=3
	s_mov_b32 s77, exec_lo
	v_cmpx_lt_i32_e64 v12, v36
	s_cbranch_execz .LBB37_63
; %bb.51:                               ;   in Loop: Header=BB37_14 Depth=3
	v_mov_b32_e32 v5, v12
	s_mov_b32 s14, 0
                                        ; implicit-def: $sgpr78
                                        ; implicit-def: $sgpr80
                                        ; implicit-def: $sgpr79
	s_inst_prefetch 0x1
	s_branch .LBB37_53
	.p2align	6
.LBB37_52:                              ;   in Loop: Header=BB37_53 Depth=4
	s_or_b32 exec_lo, exec_lo, s81
	s_and_b32 s81, exec_lo, s80
	s_or_b32 s14, s81, s14
	s_andn2_b32 s78, s78, exec_lo
	s_and_b32 s81, s79, exec_lo
	s_or_b32 s78, s78, s81
	s_andn2_b32 exec_lo, exec_lo, s14
	s_cbranch_execz .LBB37_55
.LBB37_53:                              ;   Parent Loop BB37_5 Depth=1
                                        ;     Parent Loop BB37_9 Depth=2
                                        ;       Parent Loop BB37_14 Depth=3
                                        ; =>      This Inner Loop Header: Depth=4
	v_add_nc_u32_e32 v15, v11, v5
	s_or_b32 s79, s79, exec_lo
	s_or_b32 s80, s80, exec_lo
	s_mov_b32 s81, exec_lo
	v_ashrrev_i32_e32 v16, 31, v15
	v_lshlrev_b64 v[37:38], 2, v[15:16]
	v_add_co_u32 v37, vcc_lo, s20, v37
	v_add_co_ci_u32_e64 v38, null, s21, v38, vcc_lo
	global_load_dword v37, v[37:38], off
	s_waitcnt vmcnt(0)
	v_subrev_nc_u32_e32 v37, s65, v37
	v_cmpx_ne_u32_e64 v37, v3
	s_cbranch_execz .LBB37_52
; %bb.54:                               ;   in Loop: Header=BB37_53 Depth=4
	v_add_nc_u32_e32 v5, 1, v5
	s_andn2_b32 s80, s80, exec_lo
	s_andn2_b32 s79, s79, exec_lo
	v_cmp_ge_i32_e32 vcc_lo, v5, v36
	s_and_b32 s82, vcc_lo, exec_lo
	s_or_b32 s80, s80, s82
	s_branch .LBB37_52
.LBB37_55:                              ;   in Loop: Header=BB37_14 Depth=3
	s_inst_prefetch 0x2
	s_or_b32 exec_lo, exec_lo, s14
	s_and_saveexec_b32 s14, s78
	s_xor_b32 s78, exec_lo, s14
	s_cbranch_execz .LBB37_62
; %bb.56:                               ;   in Loop: Header=BB37_14 Depth=3
	v_lshlrev_b64 v[15:16], 3, v[15:16]
	v_add_co_u32 v37, vcc_lo, s56, v15
	v_add_co_ci_u32_e64 v38, null, s57, v16, vcc_lo
	s_andn2_b32 vcc_lo, exec_lo, s60
	global_store_dwordx2 v[37:38], v[13:14], off
	s_cbranch_vccnz .LBB37_62
; %bb.57:                               ;   in Loop: Header=BB37_14 Depth=3
	v_add_co_u32 v15, vcc_lo, s22, v15
	v_add_co_ci_u32_e64 v16, null, s23, v16, vcc_lo
	s_mov_b32 s14, exec_lo
	global_load_dwordx2 v[15:16], v[15:16], off
	s_waitcnt vmcnt(0)
	v_sub_f32_e32 v5, v15, v13
	v_sub_f32_e32 v15, v16, v14
                                        ; implicit-def: $vgpr14
	v_cmp_gt_f32_e32 vcc_lo, 0, v5
	v_cndmask_b32_e64 v5, v5, -v5, vcc_lo
	v_cmp_gt_f32_e32 vcc_lo, 0, v15
	v_cndmask_b32_e64 v13, v15, -v15, vcc_lo
	v_cmpx_ngt_f32_e32 v5, v13
	s_xor_b32 s79, exec_lo, s14
	s_cbranch_execnz .LBB37_117
; %bb.58:                               ;   in Loop: Header=BB37_14 Depth=3
	s_andn2_saveexec_b32 s79, s79
	s_cbranch_execnz .LBB37_120
.LBB37_59:                              ;   in Loop: Header=BB37_14 Depth=3
	s_or_b32 exec_lo, exec_lo, s79
	v_cmp_class_f32_e64 s79, v14, 0x1f8
	s_and_saveexec_b32 s14, s79
.LBB37_60:                              ;   in Loop: Header=BB37_14 Depth=3
	v_cmp_lt_f32_e32 vcc_lo, v21, v14
	v_cndmask_b32_e32 v21, v21, v14, vcc_lo
.LBB37_61:                              ;   in Loop: Header=BB37_14 Depth=3
	s_or_b32 exec_lo, exec_lo, s14
.LBB37_62:                              ;   in Loop: Header=BB37_14 Depth=3
	s_or_b32 exec_lo, exec_lo, s78
.LBB37_63:                              ;   in Loop: Header=BB37_14 Depth=3
	s_or_b32 exec_lo, exec_lo, s77
.LBB37_64:                              ;   in Loop: Header=BB37_14 Depth=3
	s_or_b32 exec_lo, exec_lo, s76
                                        ; implicit-def: $vgpr13
.LBB37_65:                              ;   in Loop: Header=BB37_14 Depth=3
	s_andn2_saveexec_b32 s75, s75
	s_cbranch_execz .LBB37_80
; %bb.66:                               ;   in Loop: Header=BB37_14 Depth=3
	s_mov_b32 s76, exec_lo
	v_cmpx_lt_i32_e64 v1, v29
	s_cbranch_execz .LBB37_79
; %bb.67:                               ;   in Loop: Header=BB37_14 Depth=3
	v_mov_b32_e32 v5, v1
	s_mov_b32 s14, 0
                                        ; implicit-def: $sgpr77
                                        ; implicit-def: $sgpr79
                                        ; implicit-def: $sgpr78
	s_inst_prefetch 0x1
	s_branch .LBB37_69
	.p2align	6
.LBB37_68:                              ;   in Loop: Header=BB37_69 Depth=4
	s_or_b32 exec_lo, exec_lo, s80
	s_and_b32 s80, exec_lo, s79
	s_or_b32 s14, s80, s14
	s_andn2_b32 s77, s77, exec_lo
	s_and_b32 s80, s78, exec_lo
	s_or_b32 s77, s77, s80
	s_andn2_b32 exec_lo, exec_lo, s14
	s_cbranch_execz .LBB37_71
.LBB37_69:                              ;   Parent Loop BB37_5 Depth=1
                                        ;     Parent Loop BB37_9 Depth=2
                                        ;       Parent Loop BB37_14 Depth=3
                                        ; =>      This Inner Loop Header: Depth=4
	v_add_nc_u32_e32 v15, v6, v5
	s_or_b32 s78, s78, exec_lo
	s_or_b32 s79, s79, exec_lo
	s_mov_b32 s80, exec_lo
	v_ashrrev_i32_e32 v16, 31, v15
	v_lshlrev_b64 v[37:38], 2, v[15:16]
	v_add_co_u32 v37, vcc_lo, s28, v37
	v_add_co_ci_u32_e64 v38, null, s29, v38, vcc_lo
	global_load_dword v37, v[37:38], off
	s_waitcnt vmcnt(0)
	v_subrev_nc_u32_e32 v37, s64, v37
	v_cmpx_ne_u32_e64 v37, v7
	s_cbranch_execz .LBB37_68
; %bb.70:                               ;   in Loop: Header=BB37_69 Depth=4
	v_add_nc_u32_e32 v5, 1, v5
	s_andn2_b32 s79, s79, exec_lo
	s_andn2_b32 s78, s78, exec_lo
	v_cmp_ge_i32_e32 vcc_lo, v5, v29
	s_and_b32 s81, vcc_lo, exec_lo
	s_or_b32 s79, s79, s81
	s_branch .LBB37_68
.LBB37_71:                              ;   in Loop: Header=BB37_14 Depth=3
	s_inst_prefetch 0x2
	s_or_b32 exec_lo, exec_lo, s14
	s_and_saveexec_b32 s14, s77
	s_xor_b32 s77, exec_lo, s14
	s_cbranch_execz .LBB37_78
; %bb.72:                               ;   in Loop: Header=BB37_14 Depth=3
	v_lshlrev_b64 v[15:16], 3, v[15:16]
	v_add_co_u32 v37, vcc_lo, s54, v15
	v_add_co_ci_u32_e64 v38, null, s55, v16, vcc_lo
	s_andn2_b32 vcc_lo, exec_lo, s60
	global_store_dwordx2 v[37:38], v[13:14], off
	s_cbranch_vccnz .LBB37_78
; %bb.73:                               ;   in Loop: Header=BB37_14 Depth=3
	v_add_co_u32 v15, vcc_lo, s30, v15
	v_add_co_ci_u32_e64 v16, null, s31, v16, vcc_lo
	s_mov_b32 s14, exec_lo
	global_load_dwordx2 v[15:16], v[15:16], off
	s_waitcnt vmcnt(0)
	v_sub_f32_e32 v5, v15, v13
	v_sub_f32_e32 v15, v16, v14
                                        ; implicit-def: $vgpr14
	v_cmp_gt_f32_e32 vcc_lo, 0, v5
	v_cndmask_b32_e64 v5, v5, -v5, vcc_lo
	v_cmp_gt_f32_e32 vcc_lo, 0, v15
	v_cndmask_b32_e64 v13, v15, -v15, vcc_lo
	v_cmpx_ngt_f32_e32 v5, v13
	s_xor_b32 s78, exec_lo, s14
	s_cbranch_execnz .LBB37_113
; %bb.74:                               ;   in Loop: Header=BB37_14 Depth=3
	s_andn2_saveexec_b32 s78, s78
	s_cbranch_execnz .LBB37_116
.LBB37_75:                              ;   in Loop: Header=BB37_14 Depth=3
	s_or_b32 exec_lo, exec_lo, s78
	v_cmp_class_f32_e64 s78, v14, 0x1f8
	s_and_saveexec_b32 s14, s78
.LBB37_76:                              ;   in Loop: Header=BB37_14 Depth=3
	v_cmp_lt_f32_e32 vcc_lo, v21, v14
	v_cndmask_b32_e32 v21, v21, v14, vcc_lo
.LBB37_77:                              ;   in Loop: Header=BB37_14 Depth=3
	s_or_b32 exec_lo, exec_lo, s14
.LBB37_78:                              ;   in Loop: Header=BB37_14 Depth=3
	s_or_b32 exec_lo, exec_lo, s77
.LBB37_79:                              ;   in Loop: Header=BB37_14 Depth=3
	s_or_b32 exec_lo, exec_lo, s76
.LBB37_80:                              ;   in Loop: Header=BB37_14 Depth=3
	s_or_b32 exec_lo, exec_lo, s75
	s_or_b32 exec_lo, exec_lo, s74
	s_and_b32 s14, s33, s15
	s_and_saveexec_b32 s15, s14
	s_cbranch_execz .LBB37_13
.LBB37_81:                              ;   in Loop: Header=BB37_14 Depth=3
	s_mov_b32 s14, exec_lo
	v_cmpx_ge_i32_e64 v12, v36
	s_xor_b32 s14, exec_lo, s14
	s_cbranch_execnz .LBB37_88
; %bb.82:                               ;   in Loop: Header=BB37_14 Depth=3
	s_andn2_saveexec_b32 s14, s14
	s_cbranch_execnz .LBB37_102
.LBB37_83:                              ;   in Loop: Header=BB37_14 Depth=3
	s_or_b32 exec_lo, exec_lo, s14
	s_mov_b32 s14, exec_lo
	v_cmpx_eq_u32_e64 v3, v7
	s_cbranch_execz .LBB37_85
.LBB37_84:                              ;   in Loop: Header=BB37_14 Depth=3
	v_lshlrev_b64 v[7:8], 3, v[7:8]
	v_add_co_u32 v7, vcc_lo, s48, v7
	v_add_co_ci_u32_e64 v8, null, s49, v8, vcc_lo
	global_load_dwordx2 v[7:8], v[7:8], off
	s_waitcnt vmcnt(0)
	v_add_f32_e32 v34, v34, v7
	v_add_f32_e32 v35, v35, v8
.LBB37_85:                              ;   in Loop: Header=BB37_14 Depth=3
	s_or_b32 exec_lo, exec_lo, s14
	v_sub_f32_e32 v1, v9, v34
	v_sub_f32_e32 v8, v10, v35
                                        ; implicit-def: $vgpr7
	s_mov_b32 s14, exec_lo
	v_cmp_gt_f32_e32 vcc_lo, 0, v1
	v_cndmask_b32_e64 v1, v1, -v1, vcc_lo
	v_cmp_gt_f32_e32 vcc_lo, 0, v8
	v_cndmask_b32_e64 v5, v8, -v8, vcc_lo
	v_cmpx_ngt_f32_e32 v1, v5
	s_xor_b32 s74, exec_lo, s14
	s_cbranch_execnz .LBB37_93
; %bb.86:                               ;   in Loop: Header=BB37_14 Depth=3
	s_andn2_saveexec_b32 s74, s74
	s_cbranch_execnz .LBB37_96
.LBB37_87:                              ;   in Loop: Header=BB37_14 Depth=3
	s_or_b32 exec_lo, exec_lo, s74
	v_cmp_class_f32_e64 s74, v7, 0x1f8
	s_and_saveexec_b32 s14, s74
	s_cbranch_execz .LBB37_12
	s_branch .LBB37_97
.LBB37_88:                              ;   in Loop: Header=BB37_14 Depth=3
	s_mov_b32 s74, exec_lo
	v_cmpx_lt_i32_e64 v1, v29
	s_cbranch_execz .LBB37_101
; %bb.89:                               ;   in Loop: Header=BB37_14 Depth=3
	s_mov_b32 s76, 0
                                        ; implicit-def: $sgpr75
                                        ; implicit-def: $sgpr78
                                        ; implicit-def: $sgpr77
	s_inst_prefetch 0x1
	s_branch .LBB37_91
	.p2align	6
.LBB37_90:                              ;   in Loop: Header=BB37_91 Depth=4
	s_or_b32 exec_lo, exec_lo, s79
	s_and_b32 s79, exec_lo, s78
	s_or_b32 s76, s79, s76
	s_andn2_b32 s75, s75, exec_lo
	s_and_b32 s79, s77, exec_lo
	s_or_b32 s75, s75, s79
	s_andn2_b32 exec_lo, exec_lo, s76
	s_cbranch_execz .LBB37_98
.LBB37_91:                              ;   Parent Loop BB37_5 Depth=1
                                        ;     Parent Loop BB37_9 Depth=2
                                        ;       Parent Loop BB37_14 Depth=3
                                        ; =>      This Inner Loop Header: Depth=4
	v_add_nc_u32_e32 v11, v6, v1
	s_or_b32 s77, s77, exec_lo
	s_or_b32 s78, s78, exec_lo
	s_mov_b32 s79, exec_lo
	v_ashrrev_i32_e32 v12, 31, v11
	v_lshlrev_b64 v[13:14], 2, v[11:12]
	v_add_co_u32 v13, vcc_lo, s28, v13
	v_add_co_ci_u32_e64 v14, null, s29, v14, vcc_lo
	global_load_dword v5, v[13:14], off
	s_waitcnt vmcnt(0)
	v_subrev_nc_u32_e32 v5, s64, v5
	v_cmpx_ne_u32_e64 v5, v7
	s_cbranch_execz .LBB37_90
; %bb.92:                               ;   in Loop: Header=BB37_91 Depth=4
	v_add_nc_u32_e32 v1, 1, v1
	s_andn2_b32 s78, s78, exec_lo
	s_andn2_b32 s77, s77, exec_lo
	v_cmp_ge_i32_e32 vcc_lo, v1, v29
	s_and_b32 s80, vcc_lo, exec_lo
	s_or_b32 s78, s78, s80
	s_branch .LBB37_90
.LBB37_93:                              ;   in Loop: Header=BB37_14 Depth=3
	v_mov_b32_e32 v7, 0
	s_mov_b32 s75, exec_lo
	v_cmpx_neq_f32_e32 0, v8
	s_cbranch_execz .LBB37_95
; %bb.94:                               ;   in Loop: Header=BB37_14 Depth=3
	v_div_scale_f32 v7, null, v5, v5, v1
	v_div_scale_f32 v10, vcc_lo, v1, v5, v1
	v_rcp_f32_e32 v8, v7
	v_fma_f32 v9, -v7, v8, 1.0
	v_fmac_f32_e32 v8, v9, v8
	v_mul_f32_e32 v9, v10, v8
	v_fma_f32 v11, -v7, v9, v10
	v_fmac_f32_e32 v9, v11, v8
	v_fma_f32 v7, -v7, v9, v10
	v_div_fmas_f32 v7, v7, v8, v9
	v_div_fixup_f32 v1, v7, v5, v1
	v_fma_f32 v1, v1, v1, 1.0
	v_mul_f32_e32 v7, 0x4f800000, v1
	v_cmp_gt_f32_e32 vcc_lo, 0xf800000, v1
	v_cndmask_b32_e32 v1, v1, v7, vcc_lo
	v_sqrt_f32_e32 v7, v1
	v_add_nc_u32_e32 v8, -1, v7
	v_add_nc_u32_e32 v9, 1, v7
	v_fma_f32 v10, -v8, v7, v1
	v_fma_f32 v11, -v9, v7, v1
	v_cmp_ge_f32_e64 s14, 0, v10
	v_cndmask_b32_e64 v7, v7, v8, s14
	v_cmp_lt_f32_e64 s14, 0, v11
	v_cndmask_b32_e64 v7, v7, v9, s14
	v_mul_f32_e32 v8, 0x37800000, v7
	v_cndmask_b32_e32 v7, v7, v8, vcc_lo
	v_cmp_class_f32_e64 vcc_lo, v1, 0x260
	v_cndmask_b32_e32 v1, v7, v1, vcc_lo
	v_mul_f32_e32 v7, v5, v1
.LBB37_95:                              ;   in Loop: Header=BB37_14 Depth=3
	s_or_b32 exec_lo, exec_lo, s75
                                        ; implicit-def: $vgpr1
                                        ; implicit-def: $vgpr5
	s_andn2_saveexec_b32 s74, s74
	s_cbranch_execz .LBB37_87
.LBB37_96:                              ;   in Loop: Header=BB37_14 Depth=3
	v_div_scale_f32 v7, null, v1, v1, v5
	v_div_scale_f32 v10, vcc_lo, v5, v1, v5
	v_rcp_f32_e32 v8, v7
	v_fma_f32 v9, -v7, v8, 1.0
	v_fmac_f32_e32 v8, v9, v8
	v_mul_f32_e32 v9, v10, v8
	v_fma_f32 v11, -v7, v9, v10
	v_fmac_f32_e32 v9, v11, v8
	v_fma_f32 v7, -v7, v9, v10
	v_div_fmas_f32 v7, v7, v8, v9
	v_div_fixup_f32 v5, v7, v1, v5
	v_fma_f32 v5, v5, v5, 1.0
	v_mul_f32_e32 v7, 0x4f800000, v5
	v_cmp_gt_f32_e32 vcc_lo, 0xf800000, v5
	v_cndmask_b32_e32 v5, v5, v7, vcc_lo
	v_sqrt_f32_e32 v7, v5
	v_add_nc_u32_e32 v8, -1, v7
	v_add_nc_u32_e32 v9, 1, v7
	v_fma_f32 v10, -v8, v7, v5
	v_fma_f32 v11, -v9, v7, v5
	v_cmp_ge_f32_e64 s14, 0, v10
	v_cndmask_b32_e64 v7, v7, v8, s14
	v_cmp_lt_f32_e64 s14, 0, v11
	v_cndmask_b32_e64 v7, v7, v9, s14
	v_mul_f32_e32 v8, 0x37800000, v7
	v_cndmask_b32_e32 v7, v7, v8, vcc_lo
	v_cmp_class_f32_e64 vcc_lo, v5, 0x260
	v_cndmask_b32_e32 v5, v7, v5, vcc_lo
	v_mul_f32_e32 v7, v1, v5
	s_or_b32 exec_lo, exec_lo, s74
	v_cmp_class_f32_e64 s74, v7, 0x1f8
	s_and_saveexec_b32 s14, s74
	s_cbranch_execz .LBB37_12
.LBB37_97:                              ;   in Loop: Header=BB37_14 Depth=3
	v_cmp_lt_f32_e32 vcc_lo, v18, v7
	v_cndmask_b32_e32 v18, v18, v7, vcc_lo
	s_branch .LBB37_12
.LBB37_98:                              ;   in Loop: Header=BB37_14 Depth=3
	s_inst_prefetch 0x2
	s_or_b32 exec_lo, exec_lo, s76
	s_and_saveexec_b32 s76, s75
	s_xor_b32 s75, exec_lo, s76
	s_cbranch_execz .LBB37_100
; %bb.99:                               ;   in Loop: Header=BB37_14 Depth=3
	v_lshlrev_b64 v[11:12], 3, v[11:12]
	v_lshlrev_b64 v[13:14], 3, v[7:8]
	v_add_co_u32 v11, vcc_lo, s30, v11
	v_add_co_ci_u32_e64 v12, null, s31, v12, vcc_lo
	v_add_co_u32 v13, vcc_lo, s48, v13
	v_add_co_ci_u32_e64 v14, null, s49, v14, vcc_lo
	global_load_dwordx2 v[11:12], v[11:12], off
	global_load_dwordx2 v[13:14], v[13:14], off
	s_waitcnt vmcnt(0)
	v_mul_f32_e64 v1, v14, -v12
	v_mul_f32_e32 v5, v14, v11
	v_fmac_f32_e32 v1, v11, v13
	v_fmac_f32_e32 v5, v12, v13
	v_add_f32_e32 v34, v34, v1
	v_add_f32_e32 v35, v35, v5
.LBB37_100:                             ;   in Loop: Header=BB37_14 Depth=3
	s_or_b32 exec_lo, exec_lo, s75
.LBB37_101:                             ;   in Loop: Header=BB37_14 Depth=3
	s_or_b32 exec_lo, exec_lo, s74
                                        ; implicit-def: $vgpr12
                                        ; implicit-def: $vgpr11
                                        ; implicit-def: $vgpr36
	s_andn2_saveexec_b32 s14, s14
	s_cbranch_execz .LBB37_83
.LBB37_102:                             ;   in Loop: Header=BB37_14 Depth=3
	s_mov_b32 s75, 0
                                        ; implicit-def: $sgpr74
                                        ; implicit-def: $sgpr77
                                        ; implicit-def: $sgpr76
	s_inst_prefetch 0x1
	s_branch .LBB37_104
	.p2align	6
.LBB37_103:                             ;   in Loop: Header=BB37_104 Depth=4
	s_or_b32 exec_lo, exec_lo, s78
	s_and_b32 s78, exec_lo, s77
	s_or_b32 s75, s78, s75
	s_andn2_b32 s74, s74, exec_lo
	s_and_b32 s78, s76, exec_lo
	s_or_b32 s74, s74, s78
	s_andn2_b32 exec_lo, exec_lo, s75
	s_cbranch_execz .LBB37_106
.LBB37_104:                             ;   Parent Loop BB37_5 Depth=1
                                        ;     Parent Loop BB37_9 Depth=2
                                        ;       Parent Loop BB37_14 Depth=3
                                        ; =>      This Inner Loop Header: Depth=4
	v_add_nc_u32_e32 v13, v11, v12
	s_or_b32 s76, s76, exec_lo
	s_or_b32 s77, s77, exec_lo
	s_mov_b32 s78, exec_lo
	v_ashrrev_i32_e32 v14, 31, v13
	v_lshlrev_b64 v[15:16], 2, v[13:14]
	v_add_co_u32 v15, vcc_lo, s20, v15
	v_add_co_ci_u32_e64 v16, null, s21, v16, vcc_lo
	global_load_dword v1, v[15:16], off
	s_waitcnt vmcnt(0)
	v_subrev_nc_u32_e32 v1, s65, v1
	v_cmpx_ne_u32_e64 v1, v3
	s_cbranch_execz .LBB37_103
; %bb.105:                              ;   in Loop: Header=BB37_104 Depth=4
	v_add_nc_u32_e32 v12, 1, v12
	s_andn2_b32 s77, s77, exec_lo
	s_andn2_b32 s76, s76, exec_lo
	v_cmp_ge_i32_e32 vcc_lo, v12, v36
	s_and_b32 s79, vcc_lo, exec_lo
	s_or_b32 s77, s77, s79
	s_branch .LBB37_103
.LBB37_106:                             ;   in Loop: Header=BB37_14 Depth=3
	s_inst_prefetch 0x2
	s_or_b32 exec_lo, exec_lo, s75
	s_and_saveexec_b32 s75, s74
	s_xor_b32 s74, exec_lo, s75
	s_cbranch_execz .LBB37_108
; %bb.107:                              ;   in Loop: Header=BB37_14 Depth=3
	v_lshlrev_b64 v[11:12], 3, v[13:14]
	v_add_co_u32 v11, vcc_lo, s22, v11
	v_add_co_ci_u32_e64 v12, null, s23, v12, vcc_lo
	global_load_dwordx2 v[11:12], v[11:12], off
	s_waitcnt vmcnt(0)
	v_add_f32_e32 v34, v34, v11
	v_add_f32_e32 v35, v35, v12
.LBB37_108:                             ;   in Loop: Header=BB37_14 Depth=3
	s_or_b32 exec_lo, exec_lo, s74
	s_or_b32 exec_lo, exec_lo, s14
	s_mov_b32 s14, exec_lo
	v_cmpx_eq_u32_e64 v3, v7
	s_cbranch_execnz .LBB37_84
	s_branch .LBB37_85
.LBB37_109:                             ;   in Loop: Header=BB37_14 Depth=3
	v_mov_b32_e32 v14, 0
	s_mov_b32 s78, exec_lo
	v_cmpx_neq_f32_e32 0, v15
	s_cbranch_execz .LBB37_111
; %bb.110:                              ;   in Loop: Header=BB37_14 Depth=3
	v_div_scale_f32 v14, null, v13, v13, v5
	v_div_scale_f32 v37, vcc_lo, v5, v13, v5
	v_rcp_f32_e32 v15, v14
	v_fma_f32 v16, -v14, v15, 1.0
	v_fmac_f32_e32 v15, v16, v15
	v_mul_f32_e32 v16, v37, v15
	v_fma_f32 v38, -v14, v16, v37
	v_fmac_f32_e32 v16, v38, v15
	v_fma_f32 v14, -v14, v16, v37
	v_div_fmas_f32 v14, v14, v15, v16
	v_div_fixup_f32 v5, v14, v13, v5
	v_fma_f32 v5, v5, v5, 1.0
	v_mul_f32_e32 v14, 0x4f800000, v5
	v_cmp_gt_f32_e32 vcc_lo, 0xf800000, v5
	v_cndmask_b32_e32 v5, v5, v14, vcc_lo
	v_sqrt_f32_e32 v14, v5
	v_add_nc_u32_e32 v15, -1, v14
	v_add_nc_u32_e32 v16, 1, v14
	v_fma_f32 v37, -v15, v14, v5
	v_fma_f32 v38, -v16, v14, v5
	v_cmp_ge_f32_e64 s14, 0, v37
	v_cndmask_b32_e64 v14, v14, v15, s14
	v_cmp_lt_f32_e64 s14, 0, v38
	v_cndmask_b32_e64 v14, v14, v16, s14
	v_mul_f32_e32 v15, 0x37800000, v14
	v_cndmask_b32_e32 v14, v14, v15, vcc_lo
	v_cmp_class_f32_e64 vcc_lo, v5, 0x260
	v_cndmask_b32_e32 v5, v14, v5, vcc_lo
	v_mul_f32_e32 v14, v13, v5
.LBB37_111:                             ;   in Loop: Header=BB37_14 Depth=3
	s_or_b32 exec_lo, exec_lo, s78
                                        ; implicit-def: $vgpr5
                                        ; implicit-def: $vgpr13
	s_andn2_saveexec_b32 s77, s77
	s_cbranch_execz .LBB37_45
.LBB37_112:                             ;   in Loop: Header=BB37_14 Depth=3
	v_div_scale_f32 v14, null, v5, v5, v13
	v_div_scale_f32 v37, vcc_lo, v13, v5, v13
	v_rcp_f32_e32 v15, v14
	v_fma_f32 v16, -v14, v15, 1.0
	v_fmac_f32_e32 v15, v16, v15
	v_mul_f32_e32 v16, v37, v15
	v_fma_f32 v38, -v14, v16, v37
	v_fmac_f32_e32 v16, v38, v15
	v_fma_f32 v14, -v14, v16, v37
	v_div_fmas_f32 v14, v14, v15, v16
	v_div_fixup_f32 v13, v14, v5, v13
	v_fma_f32 v13, v13, v13, 1.0
	v_mul_f32_e32 v14, 0x4f800000, v13
	v_cmp_gt_f32_e32 vcc_lo, 0xf800000, v13
	v_cndmask_b32_e32 v13, v13, v14, vcc_lo
	v_sqrt_f32_e32 v14, v13
	v_add_nc_u32_e32 v15, -1, v14
	v_add_nc_u32_e32 v16, 1, v14
	v_fma_f32 v37, -v15, v14, v13
	v_fma_f32 v38, -v16, v14, v13
	v_cmp_ge_f32_e64 s14, 0, v37
	v_cndmask_b32_e64 v14, v14, v15, s14
	v_cmp_lt_f32_e64 s14, 0, v38
	v_cndmask_b32_e64 v14, v14, v16, s14
	v_mul_f32_e32 v15, 0x37800000, v14
	v_cndmask_b32_e32 v14, v14, v15, vcc_lo
	v_cmp_class_f32_e64 vcc_lo, v13, 0x260
	v_cndmask_b32_e32 v13, v14, v13, vcc_lo
	v_mul_f32_e32 v14, v5, v13
	s_or_b32 exec_lo, exec_lo, s77
	v_cmp_class_f32_e64 s77, v14, 0x1f8
	s_and_saveexec_b32 s14, s77
	s_cbranch_execnz .LBB37_46
	s_branch .LBB37_47
.LBB37_113:                             ;   in Loop: Header=BB37_14 Depth=3
	v_mov_b32_e32 v14, 0
	s_mov_b32 s79, exec_lo
	v_cmpx_neq_f32_e32 0, v15
	s_cbranch_execz .LBB37_115
; %bb.114:                              ;   in Loop: Header=BB37_14 Depth=3
	v_div_scale_f32 v14, null, v13, v13, v5
	v_div_scale_f32 v37, vcc_lo, v5, v13, v5
	v_rcp_f32_e32 v15, v14
	v_fma_f32 v16, -v14, v15, 1.0
	v_fmac_f32_e32 v15, v16, v15
	v_mul_f32_e32 v16, v37, v15
	v_fma_f32 v38, -v14, v16, v37
	v_fmac_f32_e32 v16, v38, v15
	v_fma_f32 v14, -v14, v16, v37
	v_div_fmas_f32 v14, v14, v15, v16
	v_div_fixup_f32 v5, v14, v13, v5
	v_fma_f32 v5, v5, v5, 1.0
	v_mul_f32_e32 v14, 0x4f800000, v5
	v_cmp_gt_f32_e32 vcc_lo, 0xf800000, v5
	v_cndmask_b32_e32 v5, v5, v14, vcc_lo
	v_sqrt_f32_e32 v14, v5
	v_add_nc_u32_e32 v15, -1, v14
	v_add_nc_u32_e32 v16, 1, v14
	v_fma_f32 v37, -v15, v14, v5
	v_fma_f32 v38, -v16, v14, v5
	v_cmp_ge_f32_e64 s14, 0, v37
	v_cndmask_b32_e64 v14, v14, v15, s14
	v_cmp_lt_f32_e64 s14, 0, v38
	v_cndmask_b32_e64 v14, v14, v16, s14
	v_mul_f32_e32 v15, 0x37800000, v14
	v_cndmask_b32_e32 v14, v14, v15, vcc_lo
	v_cmp_class_f32_e64 vcc_lo, v5, 0x260
	v_cndmask_b32_e32 v5, v14, v5, vcc_lo
	v_mul_f32_e32 v14, v13, v5
.LBB37_115:                             ;   in Loop: Header=BB37_14 Depth=3
	s_or_b32 exec_lo, exec_lo, s79
                                        ; implicit-def: $vgpr5
                                        ; implicit-def: $vgpr13
	s_andn2_saveexec_b32 s78, s78
	s_cbranch_execz .LBB37_75
.LBB37_116:                             ;   in Loop: Header=BB37_14 Depth=3
	v_div_scale_f32 v14, null, v5, v5, v13
	v_div_scale_f32 v37, vcc_lo, v13, v5, v13
	v_rcp_f32_e32 v15, v14
	v_fma_f32 v16, -v14, v15, 1.0
	v_fmac_f32_e32 v15, v16, v15
	v_mul_f32_e32 v16, v37, v15
	v_fma_f32 v38, -v14, v16, v37
	v_fmac_f32_e32 v16, v38, v15
	v_fma_f32 v14, -v14, v16, v37
	v_div_fmas_f32 v14, v14, v15, v16
	v_div_fixup_f32 v13, v14, v5, v13
	v_fma_f32 v13, v13, v13, 1.0
	v_mul_f32_e32 v14, 0x4f800000, v13
	v_cmp_gt_f32_e32 vcc_lo, 0xf800000, v13
	v_cndmask_b32_e32 v13, v13, v14, vcc_lo
	v_sqrt_f32_e32 v14, v13
	v_add_nc_u32_e32 v15, -1, v14
	v_add_nc_u32_e32 v16, 1, v14
	v_fma_f32 v37, -v15, v14, v13
	v_fma_f32 v38, -v16, v14, v13
	v_cmp_ge_f32_e64 s14, 0, v37
	v_cndmask_b32_e64 v14, v14, v15, s14
	v_cmp_lt_f32_e64 s14, 0, v38
	v_cndmask_b32_e64 v14, v14, v16, s14
	v_mul_f32_e32 v15, 0x37800000, v14
	v_cndmask_b32_e32 v14, v14, v15, vcc_lo
	v_cmp_class_f32_e64 vcc_lo, v13, 0x260
	v_cndmask_b32_e32 v13, v14, v13, vcc_lo
	v_mul_f32_e32 v14, v5, v13
	s_or_b32 exec_lo, exec_lo, s78
	v_cmp_class_f32_e64 s78, v14, 0x1f8
	s_and_saveexec_b32 s14, s78
	s_cbranch_execnz .LBB37_76
	s_branch .LBB37_77
.LBB37_117:                             ;   in Loop: Header=BB37_14 Depth=3
	v_mov_b32_e32 v14, 0
	s_mov_b32 s80, exec_lo
	v_cmpx_neq_f32_e32 0, v15
	s_cbranch_execz .LBB37_119
; %bb.118:                              ;   in Loop: Header=BB37_14 Depth=3
	v_div_scale_f32 v14, null, v13, v13, v5
	v_div_scale_f32 v37, vcc_lo, v5, v13, v5
	v_rcp_f32_e32 v15, v14
	v_fma_f32 v16, -v14, v15, 1.0
	v_fmac_f32_e32 v15, v16, v15
	v_mul_f32_e32 v16, v37, v15
	v_fma_f32 v38, -v14, v16, v37
	v_fmac_f32_e32 v16, v38, v15
	v_fma_f32 v14, -v14, v16, v37
	v_div_fmas_f32 v14, v14, v15, v16
	v_div_fixup_f32 v5, v14, v13, v5
	v_fma_f32 v5, v5, v5, 1.0
	v_mul_f32_e32 v14, 0x4f800000, v5
	v_cmp_gt_f32_e32 vcc_lo, 0xf800000, v5
	v_cndmask_b32_e32 v5, v5, v14, vcc_lo
	v_sqrt_f32_e32 v14, v5
	v_add_nc_u32_e32 v15, -1, v14
	v_add_nc_u32_e32 v16, 1, v14
	v_fma_f32 v37, -v15, v14, v5
	v_fma_f32 v38, -v16, v14, v5
	v_cmp_ge_f32_e64 s14, 0, v37
	v_cndmask_b32_e64 v14, v14, v15, s14
	v_cmp_lt_f32_e64 s14, 0, v38
	v_cndmask_b32_e64 v14, v14, v16, s14
	v_mul_f32_e32 v15, 0x37800000, v14
	v_cndmask_b32_e32 v14, v14, v15, vcc_lo
	v_cmp_class_f32_e64 vcc_lo, v5, 0x260
	v_cndmask_b32_e32 v5, v14, v5, vcc_lo
	v_mul_f32_e32 v14, v13, v5
.LBB37_119:                             ;   in Loop: Header=BB37_14 Depth=3
	s_or_b32 exec_lo, exec_lo, s80
                                        ; implicit-def: $vgpr5
                                        ; implicit-def: $vgpr13
	s_andn2_saveexec_b32 s79, s79
	s_cbranch_execz .LBB37_59
.LBB37_120:                             ;   in Loop: Header=BB37_14 Depth=3
	v_div_scale_f32 v14, null, v5, v5, v13
	v_div_scale_f32 v37, vcc_lo, v13, v5, v13
	v_rcp_f32_e32 v15, v14
	v_fma_f32 v16, -v14, v15, 1.0
	v_fmac_f32_e32 v15, v16, v15
	v_mul_f32_e32 v16, v37, v15
	v_fma_f32 v38, -v14, v16, v37
	v_fmac_f32_e32 v16, v38, v15
	v_fma_f32 v14, -v14, v16, v37
	v_div_fmas_f32 v14, v14, v15, v16
	v_div_fixup_f32 v13, v14, v5, v13
	v_fma_f32 v13, v13, v13, 1.0
	v_mul_f32_e32 v14, 0x4f800000, v13
	v_cmp_gt_f32_e32 vcc_lo, 0xf800000, v13
	v_cndmask_b32_e32 v13, v13, v14, vcc_lo
	v_sqrt_f32_e32 v14, v13
	v_add_nc_u32_e32 v15, -1, v14
	v_add_nc_u32_e32 v16, 1, v14
	v_fma_f32 v37, -v15, v14, v13
	v_fma_f32 v38, -v16, v14, v13
	v_cmp_ge_f32_e64 s14, 0, v37
	v_cndmask_b32_e64 v14, v14, v15, s14
	v_cmp_lt_f32_e64 s14, 0, v38
	v_cndmask_b32_e64 v14, v14, v16, s14
	v_mul_f32_e32 v15, 0x37800000, v14
	v_cndmask_b32_e32 v14, v14, v15, vcc_lo
	v_cmp_class_f32_e64 vcc_lo, v13, 0x260
	v_cndmask_b32_e32 v13, v14, v13, vcc_lo
	v_mul_f32_e32 v14, v5, v13
	s_or_b32 exec_lo, exec_lo, s79
	v_cmp_class_f32_e64 s79, v14, 0x1f8
	s_and_saveexec_b32 s14, s79
	s_cbranch_execnz .LBB37_60
	s_branch .LBB37_61
.LBB37_121:                             ;   in Loop: Header=BB37_5 Depth=1
	v_xor_b32_e32 v3, 2, v22
	v_xor_b32_e32 v1, 1, v22
	s_and_b32 vcc_lo, exec_lo, s60
	s_cbranch_vccnz .LBB37_124
; %bb.122:                              ;   in Loop: Header=BB37_5 Depth=1
	s_andn2_b32 vcc_lo, exec_lo, s33
	s_cbranch_vccz .LBB37_143
.LBB37_123:                             ;   in Loop: Header=BB37_5 Depth=1
	s_and_saveexec_b32 s14, s9
	s_cbranch_execnz .LBB37_162
	s_branch .LBB37_173
.LBB37_124:                             ;   in Loop: Header=BB37_5 Depth=1
	v_cmp_gt_i32_e32 vcc_lo, 32, v3
	v_cndmask_b32_e32 v4, v22, v3, vcc_lo
	v_cmp_gt_i32_e32 vcc_lo, 32, v1
	v_lshlrev_b32_e32 v4, 2, v4
	v_cndmask_b32_e32 v5, v22, v1, vcc_lo
	ds_bpermute_b32 v4, v4, v21
	v_lshlrev_b32_e32 v5, 2, v5
	s_waitcnt lgkmcnt(0)
	v_cmp_lt_f32_e32 vcc_lo, v21, v4
	v_cndmask_b32_e32 v4, v21, v4, vcc_lo
	ds_bpermute_b32 v5, v5, v4
	s_and_saveexec_b32 s13, s0
	s_cbranch_execz .LBB37_126
; %bb.125:                              ;   in Loop: Header=BB37_5 Depth=1
	s_waitcnt lgkmcnt(0)
	v_cmp_lt_f32_e32 vcc_lo, v4, v5
	v_cndmask_b32_e32 v4, v4, v5, vcc_lo
	ds_write_b32 v24, v4
.LBB37_126:                             ;   in Loop: Header=BB37_5 Depth=1
	s_or_b32 exec_lo, exec_lo, s13
	s_waitcnt lgkmcnt(0)
	s_waitcnt_vscnt null, 0x0
	s_barrier
	buffer_gl0_inv
	s_and_saveexec_b32 s13, s1
	s_cbranch_execz .LBB37_128
; %bb.127:                              ;   in Loop: Header=BB37_5 Depth=1
	ds_read2st64_b32 v[4:5], v17 offset1:2
	s_waitcnt lgkmcnt(0)
	v_cmp_lt_f32_e32 vcc_lo, v4, v5
	v_cndmask_b32_e32 v4, v4, v5, vcc_lo
	ds_write_b32 v17, v4
.LBB37_128:                             ;   in Loop: Header=BB37_5 Depth=1
	s_or_b32 exec_lo, exec_lo, s13
	s_waitcnt lgkmcnt(0)
	s_barrier
	buffer_gl0_inv
	s_and_saveexec_b32 s13, s2
	s_cbranch_execz .LBB37_130
; %bb.129:                              ;   in Loop: Header=BB37_5 Depth=1
	ds_read2st64_b32 v[4:5], v17 offset1:1
	s_waitcnt lgkmcnt(0)
	v_cmp_lt_f32_e32 vcc_lo, v4, v5
	v_cndmask_b32_e32 v4, v4, v5, vcc_lo
	ds_write_b32 v17, v4
.LBB37_130:                             ;   in Loop: Header=BB37_5 Depth=1
	s_or_b32 exec_lo, exec_lo, s13
	s_waitcnt lgkmcnt(0)
	s_barrier
	buffer_gl0_inv
	s_and_saveexec_b32 s13, s3
	s_cbranch_execz .LBB37_132
; %bb.131:                              ;   in Loop: Header=BB37_5 Depth=1
	ds_read2_b32 v[4:5], v17 offset1:32
	s_waitcnt lgkmcnt(0)
	v_cmp_lt_f32_e32 vcc_lo, v4, v5
	v_cndmask_b32_e32 v4, v4, v5, vcc_lo
	ds_write_b32 v17, v4
.LBB37_132:                             ;   in Loop: Header=BB37_5 Depth=1
	s_or_b32 exec_lo, exec_lo, s13
	s_waitcnt lgkmcnt(0)
	s_barrier
	buffer_gl0_inv
	s_and_saveexec_b32 s13, s6
	s_cbranch_execz .LBB37_134
; %bb.133:                              ;   in Loop: Header=BB37_5 Depth=1
	ds_read2_b32 v[4:5], v17 offset1:16
	s_waitcnt lgkmcnt(0)
	v_cmp_lt_f32_e32 vcc_lo, v4, v5
	v_cndmask_b32_e32 v4, v4, v5, vcc_lo
	ds_write_b32 v17, v4
.LBB37_134:                             ;   in Loop: Header=BB37_5 Depth=1
	;; [unrolled: 13-line block ×5, first 2 shown]
	s_or_b32 exec_lo, exec_lo, s13
	s_waitcnt lgkmcnt(0)
	s_barrier
	buffer_gl0_inv
	s_and_saveexec_b32 s13, s11
	s_cbranch_execz .LBB37_142
; %bb.141:                              ;   in Loop: Header=BB37_5 Depth=1
	ds_read_b64 v[4:5], v2
	s_waitcnt lgkmcnt(0)
	v_cmp_lt_f32_e32 vcc_lo, v4, v5
	v_cndmask_b32_e32 v4, v4, v5, vcc_lo
	ds_write_b32 v2, v4
.LBB37_142:                             ;   in Loop: Header=BB37_5 Depth=1
	s_or_b32 exec_lo, exec_lo, s13
	s_waitcnt lgkmcnt(0)
	s_barrier
	buffer_gl0_inv
	ds_read_b32 v4, v2
	s_load_dword s13, s[58:59], 0x0
	s_waitcnt lgkmcnt(0)
	v_div_scale_f32 v5, null, s13, s13, v4
	v_rcp_f32_e32 v6, v5
	v_fma_f32 v7, -v5, v6, 1.0
	v_fmac_f32_e32 v6, v7, v6
	v_div_scale_f32 v7, vcc_lo, v4, s13, v4
	v_mul_f32_e32 v8, v7, v6
	v_fma_f32 v9, -v5, v8, v7
	v_fmac_f32_e32 v8, v9, v6
	v_fma_f32 v5, -v5, v8, v7
	v_div_fmas_f32 v5, v5, v6, v8
	v_div_fixup_f32 v21, v5, s13, v4
	s_andn2_b32 vcc_lo, exec_lo, s33
	s_cbranch_vccnz .LBB37_123
.LBB37_143:                             ;   in Loop: Header=BB37_5 Depth=1
	v_cmp_gt_i32_e32 vcc_lo, 32, v3
	v_cndmask_b32_e32 v3, v22, v3, vcc_lo
	v_cmp_gt_i32_e32 vcc_lo, 32, v1
	v_lshlrev_b32_e32 v3, 2, v3
	v_cndmask_b32_e32 v4, v22, v1, vcc_lo
	ds_bpermute_b32 v3, v3, v18
	s_waitcnt lgkmcnt(0)
	v_cmp_lt_f32_e32 vcc_lo, v18, v3
	v_cndmask_b32_e32 v1, v18, v3, vcc_lo
	v_lshlrev_b32_e32 v3, 2, v4
	ds_bpermute_b32 v3, v3, v1
	s_and_saveexec_b32 s13, s0
	s_cbranch_execz .LBB37_145
; %bb.144:                              ;   in Loop: Header=BB37_5 Depth=1
	s_waitcnt lgkmcnt(0)
	v_cmp_lt_f32_e32 vcc_lo, v1, v3
	v_cndmask_b32_e32 v1, v1, v3, vcc_lo
	ds_write_b32 v24, v1
.LBB37_145:                             ;   in Loop: Header=BB37_5 Depth=1
	s_or_b32 exec_lo, exec_lo, s13
	s_waitcnt lgkmcnt(0)
	s_waitcnt_vscnt null, 0x0
	s_barrier
	buffer_gl0_inv
	s_and_saveexec_b32 s13, s1
	s_cbranch_execz .LBB37_147
; %bb.146:                              ;   in Loop: Header=BB37_5 Depth=1
	ds_read2st64_b32 v[3:4], v17 offset1:2
	s_waitcnt lgkmcnt(0)
	v_cmp_lt_f32_e32 vcc_lo, v3, v4
	v_cndmask_b32_e32 v1, v3, v4, vcc_lo
	ds_write_b32 v17, v1
.LBB37_147:                             ;   in Loop: Header=BB37_5 Depth=1
	s_or_b32 exec_lo, exec_lo, s13
	s_waitcnt lgkmcnt(0)
	s_barrier
	buffer_gl0_inv
	s_and_saveexec_b32 s13, s2
	s_cbranch_execz .LBB37_149
; %bb.148:                              ;   in Loop: Header=BB37_5 Depth=1
	ds_read2st64_b32 v[3:4], v17 offset1:1
	s_waitcnt lgkmcnt(0)
	v_cmp_lt_f32_e32 vcc_lo, v3, v4
	v_cndmask_b32_e32 v1, v3, v4, vcc_lo
	ds_write_b32 v17, v1
.LBB37_149:                             ;   in Loop: Header=BB37_5 Depth=1
	s_or_b32 exec_lo, exec_lo, s13
	s_waitcnt lgkmcnt(0)
	s_barrier
	buffer_gl0_inv
	s_and_saveexec_b32 s13, s3
	s_cbranch_execz .LBB37_151
; %bb.150:                              ;   in Loop: Header=BB37_5 Depth=1
	ds_read2_b32 v[3:4], v17 offset1:32
	s_waitcnt lgkmcnt(0)
	v_cmp_lt_f32_e32 vcc_lo, v3, v4
	v_cndmask_b32_e32 v1, v3, v4, vcc_lo
	ds_write_b32 v17, v1
.LBB37_151:                             ;   in Loop: Header=BB37_5 Depth=1
	s_or_b32 exec_lo, exec_lo, s13
	s_waitcnt lgkmcnt(0)
	s_barrier
	buffer_gl0_inv
	s_and_saveexec_b32 s13, s6
	s_cbranch_execz .LBB37_153
; %bb.152:                              ;   in Loop: Header=BB37_5 Depth=1
	ds_read2_b32 v[3:4], v17 offset1:16
	s_waitcnt lgkmcnt(0)
	v_cmp_lt_f32_e32 vcc_lo, v3, v4
	v_cndmask_b32_e32 v1, v3, v4, vcc_lo
	ds_write_b32 v17, v1
.LBB37_153:                             ;   in Loop: Header=BB37_5 Depth=1
	;; [unrolled: 13-line block ×5, first 2 shown]
	s_or_b32 exec_lo, exec_lo, s13
	s_waitcnt lgkmcnt(0)
	s_barrier
	buffer_gl0_inv
	s_and_saveexec_b32 s13, s11
	s_cbranch_execz .LBB37_161
; %bb.160:                              ;   in Loop: Header=BB37_5 Depth=1
	ds_read_b64 v[3:4], v2
	s_waitcnt lgkmcnt(0)
	v_cmp_lt_f32_e32 vcc_lo, v3, v4
	v_cndmask_b32_e32 v1, v3, v4, vcc_lo
	ds_write_b32 v2, v1
.LBB37_161:                             ;   in Loop: Header=BB37_5 Depth=1
	s_or_b32 exec_lo, exec_lo, s13
	s_waitcnt lgkmcnt(0)
	s_barrier
	buffer_gl0_inv
	ds_read_b32 v1, v2
	s_load_dword s13, s[58:59], 0x0
	s_waitcnt lgkmcnt(0)
	v_div_scale_f32 v3, null, s13, s13, v1
	v_rcp_f32_e32 v4, v3
	v_fma_f32 v5, -v3, v4, 1.0
	v_fmac_f32_e32 v4, v5, v4
	v_div_scale_f32 v5, vcc_lo, v1, s13, v1
	v_mul_f32_e32 v6, v5, v4
	v_fma_f32 v7, -v3, v6, v5
	v_fmac_f32_e32 v6, v7, v4
	v_fma_f32 v3, -v3, v6, v5
	v_div_fmas_f32 v3, v3, v4, v6
	v_div_fixup_f32 v18, v3, s13, v1
	s_and_saveexec_b32 s14, s9
	s_cbranch_execz .LBB37_173
.LBB37_162:                             ;   in Loop: Header=BB37_5 Depth=1
	v_mov_b32_e32 v3, v23
	s_mov_b32 s15, 0
	s_branch .LBB37_164
.LBB37_163:                             ;   in Loop: Header=BB37_164 Depth=2
	s_or_b32 exec_lo, exec_lo, s70
	v_add_nc_u32_e32 v3, 0x100, v3
	v_cmp_le_u32_e32 vcc_lo, s66, v3
	s_or_b32 s15, vcc_lo, s15
	s_andn2_b32 exec_lo, exec_lo, s15
	s_cbranch_execz .LBB37_173
.LBB37_164:                             ;   Parent Loop BB37_5 Depth=1
                                        ; =>  This Loop Header: Depth=2
                                        ;       Child Loop BB37_167 Depth 3
                                        ;       Child Loop BB37_170 Depth 3
	s_mov_b32 s70, exec_lo
	v_cmpx_gt_i32_e64 s53, v3
	s_cbranch_execz .LBB37_163
; %bb.165:                              ;   in Loop: Header=BB37_164 Depth=2
	v_ashrrev_i32_e32 v4, 31, v3
	s_mov_b32 s71, exec_lo
	v_lshlrev_b64 v[5:6], 2, v[3:4]
	v_add_co_u32 v7, vcc_lo, s24, v5
	v_add_co_ci_u32_e64 v8, null, s25, v6, vcc_lo
	v_add_co_u32 v9, vcc_lo, s26, v5
	v_add_co_ci_u32_e64 v10, null, s27, v6, vcc_lo
	global_load_dword v1, v[7:8], off
	global_load_dword v8, v[9:10], off
	s_waitcnt vmcnt(1)
	v_add_nc_u32_e32 v7, v26, v1
	s_waitcnt vmcnt(0)
	v_subrev_nc_u32_e32 v1, s64, v8
	v_cmpx_lt_i32_e64 v7, v1
	s_cbranch_execz .LBB37_168
; %bb.166:                              ;   in Loop: Header=BB37_164 Depth=2
	v_ashrrev_i32_e32 v8, 31, v7
	s_mov_b32 s72, 0
	v_lshlrev_b64 v[10:11], 3, v[7:8]
	v_add_co_u32 v8, vcc_lo, s54, v10
	v_add_co_ci_u32_e64 v9, null, s55, v11, vcc_lo
	v_add_co_u32 v10, vcc_lo, s30, v10
	v_add_co_ci_u32_e64 v11, null, s31, v11, vcc_lo
	.p2align	6
.LBB37_167:                             ;   Parent Loop BB37_5 Depth=1
                                        ;     Parent Loop BB37_164 Depth=2
                                        ; =>    This Inner Loop Header: Depth=3
	global_load_dwordx2 v[12:13], v[8:9], off
	v_add_nc_u32_e32 v7, 4, v7
	v_add_co_u32 v8, vcc_lo, v8, 32
	v_add_co_ci_u32_e64 v9, null, 0, v9, vcc_lo
	v_cmp_ge_i32_e32 vcc_lo, v7, v1
	s_or_b32 s72, vcc_lo, s72
	s_waitcnt vmcnt(0)
	global_store_dwordx2 v[10:11], v[12:13], off
	v_add_co_u32 v10, s13, v10, 32
	v_add_co_ci_u32_e64 v11, null, 0, v11, s13
	s_andn2_b32 exec_lo, exec_lo, s72
	s_cbranch_execnz .LBB37_167
.LBB37_168:                             ;   in Loop: Header=BB37_164 Depth=2
	s_or_b32 exec_lo, exec_lo, s71
	v_add_co_u32 v7, vcc_lo, s16, v5
	v_add_co_ci_u32_e64 v8, null, s17, v6, vcc_lo
	v_add_co_u32 v5, vcc_lo, s18, v5
	v_add_co_ci_u32_e64 v6, null, s19, v6, vcc_lo
	global_load_dword v1, v[7:8], off
	global_load_dword v6, v[5:6], off
	s_mov_b32 s71, exec_lo
	s_waitcnt vmcnt(1)
	v_add_nc_u32_e32 v5, v27, v1
	s_waitcnt vmcnt(0)
	v_subrev_nc_u32_e32 v1, s65, v6
	v_cmpx_lt_i32_e64 v5, v1
	s_cbranch_execz .LBB37_171
; %bb.169:                              ;   in Loop: Header=BB37_164 Depth=2
	v_ashrrev_i32_e32 v6, 31, v5
	s_mov_b32 s72, 0
	v_lshlrev_b64 v[8:9], 3, v[5:6]
	v_add_co_u32 v6, vcc_lo, s56, v8
	v_add_co_ci_u32_e64 v7, null, s57, v9, vcc_lo
	v_add_co_u32 v8, vcc_lo, s22, v8
	v_add_co_ci_u32_e64 v9, null, s23, v9, vcc_lo
	.p2align	6
.LBB37_170:                             ;   Parent Loop BB37_5 Depth=1
                                        ;     Parent Loop BB37_164 Depth=2
                                        ; =>    This Inner Loop Header: Depth=3
	global_load_dwordx2 v[10:11], v[6:7], off
	v_add_nc_u32_e32 v5, 4, v5
	v_add_co_u32 v6, vcc_lo, v6, 32
	v_add_co_ci_u32_e64 v7, null, 0, v7, vcc_lo
	v_cmp_ge_i32_e32 vcc_lo, v5, v1
	s_or_b32 s72, vcc_lo, s72
	s_waitcnt vmcnt(0)
	global_store_dwordx2 v[8:9], v[10:11], off
	v_add_co_u32 v8, s13, v8, 32
	v_add_co_ci_u32_e64 v9, null, 0, v9, s13
	s_andn2_b32 exec_lo, exec_lo, s72
	s_cbranch_execnz .LBB37_170
.LBB37_171:                             ;   in Loop: Header=BB37_164 Depth=2
	s_or_b32 exec_lo, exec_lo, s71
	s_and_b32 exec_lo, exec_lo, s12
	s_cbranch_execz .LBB37_163
; %bb.172:                              ;   in Loop: Header=BB37_164 Depth=2
	v_lshlrev_b64 v[4:5], 3, v[3:4]
	v_add_co_u32 v6, vcc_lo, s50, v4
	v_add_co_ci_u32_e64 v7, null, s51, v5, vcc_lo
	v_add_co_u32 v4, vcc_lo, s48, v4
	v_add_co_ci_u32_e64 v5, null, s49, v5, vcc_lo
	global_load_dwordx2 v[6:7], v[6:7], off
	s_waitcnt vmcnt(0)
	global_store_dwordx2 v[4:5], v[6:7], off
	s_branch .LBB37_163
.LBB37_173:                             ;   in Loop: Header=BB37_5 Depth=1
	s_or_b32 exec_lo, exec_lo, s14
	s_mov_b32 s14, -1
	s_and_b32 vcc_lo, exec_lo, s61
	s_mov_b32 s15, -1
	s_cbranch_vccz .LBB37_183
; %bb.174:                              ;   in Loop: Header=BB37_5 Depth=1
	s_and_b32 vcc_lo, exec_lo, s68
	s_mov_b32 s13, -1
                                        ; implicit-def: $sgpr15
	s_cbranch_vccz .LBB37_180
; %bb.175:                              ;   in Loop: Header=BB37_5 Depth=1
	s_and_b32 vcc_lo, exec_lo, s67
                                        ; implicit-def: $sgpr15
	s_cbranch_vccz .LBB37_177
; %bb.176:                              ;   in Loop: Header=BB37_5 Depth=1
	v_cmp_ge_f32_e64 s15, s52, v18
	s_mov_b32 s13, 0
.LBB37_177:                             ;   in Loop: Header=BB37_5 Depth=1
	s_andn2_b32 vcc_lo, exec_lo, s13
	s_cbranch_vccnz .LBB37_179
; %bb.178:                              ;   in Loop: Header=BB37_5 Depth=1
	v_cmp_ge_f32_e32 vcc_lo, s52, v21
	s_andn2_b32 s13, s15, exec_lo
	s_and_b32 s15, vcc_lo, exec_lo
	s_or_b32 s15, s13, s15
.LBB37_179:                             ;   in Loop: Header=BB37_5 Depth=1
	s_mov_b32 s13, 0
.LBB37_180:                             ;   in Loop: Header=BB37_5 Depth=1
	s_andn2_b32 vcc_lo, exec_lo, s13
	s_cbranch_vccnz .LBB37_182
; %bb.181:                              ;   in Loop: Header=BB37_5 Depth=1
	v_cmp_ge_f32_e32 vcc_lo, s52, v21
	v_cmp_ge_f32_e64 s13, s52, v18
	s_andn2_b32 s15, s15, exec_lo
	s_and_b32 s13, vcc_lo, s13
	s_and_b32 s13, s13, exec_lo
	s_or_b32 s15, s15, s13
.LBB37_182:                             ;   in Loop: Header=BB37_5 Depth=1
	s_xor_b32 s15, s15, -1
.LBB37_183:                             ;   in Loop: Header=BB37_5 Depth=1
	v_mov_b32_e32 v1, s69
	s_and_saveexec_b32 s13, s15
	s_cbranch_execz .LBB37_4
; %bb.184:                              ;   in Loop: Header=BB37_5 Depth=1
	s_add_i32 s69, s69, 1
	v_mov_b32_e32 v1, s35
	s_cmp_eq_u32 s69, s35
	s_cselect_b32 s14, -1, 0
	s_orn2_b32 s14, s14, exec_lo
	s_branch .LBB37_4
.LBB37_185:
	s_or_b32 exec_lo, exec_lo, s34
	s_or_b32 exec_lo, exec_lo, s62
	s_andn2_b32 vcc_lo, exec_lo, s61
	s_cbranch_vccnz .LBB37_2
.LBB37_186:
	v_xor_b32_e32 v2, 2, v22
	v_xor_b32_e32 v3, 1, v22
	s_mov_b32 s0, exec_lo
	v_cmp_gt_i32_e32 vcc_lo, 32, v2
	v_cndmask_b32_e32 v2, v22, v2, vcc_lo
	v_cmp_gt_i32_e32 vcc_lo, 32, v3
	v_lshlrev_b32_e32 v2, 2, v2
	v_cndmask_b32_e32 v3, v22, v3, vcc_lo
	ds_bpermute_b32 v2, v2, v1
	s_waitcnt lgkmcnt(0)
	v_max_i32_e32 v1, v1, v2
	v_lshlrev_b32_e32 v2, 2, v3
	ds_bpermute_b32 v2, v2, v1
	v_cmpx_eq_u32_e32 3, v20
	s_cbranch_execz .LBB37_188
; %bb.187:
	v_lshlrev_b32_e32 v3, 2, v19
	s_waitcnt lgkmcnt(0)
	v_max_i32_e32 v1, v1, v2
	ds_write_b32 v3, v1 offset:1024
.LBB37_188:
	s_or_b32 exec_lo, exec_lo, s0
	s_mov_b32 s0, exec_lo
	s_waitcnt lgkmcnt(0)
	s_waitcnt_vscnt null, 0x0
	s_barrier
	buffer_gl0_inv
	v_cmpx_gt_u32_e32 0x80, v0
	s_cbranch_execz .LBB37_190
; %bb.189:
	ds_read2st64_b32 v[1:2], v17 offset0:4 offset1:6
	s_waitcnt lgkmcnt(0)
	v_max_i32_e32 v1, v1, v2
	ds_write_b32 v17, v1 offset:1024
.LBB37_190:
	s_or_b32 exec_lo, exec_lo, s0
	s_mov_b32 s0, exec_lo
	s_waitcnt lgkmcnt(0)
	s_barrier
	buffer_gl0_inv
	v_cmpx_gt_u32_e32 64, v0
	s_cbranch_execz .LBB37_192
; %bb.191:
	ds_read2st64_b32 v[1:2], v17 offset0:4 offset1:5
	s_waitcnt lgkmcnt(0)
	v_max_i32_e32 v1, v1, v2
	ds_write_b32 v17, v1 offset:1024
.LBB37_192:
	s_or_b32 exec_lo, exec_lo, s0
	s_mov_b32 s0, exec_lo
	s_waitcnt lgkmcnt(0)
	s_barrier
	buffer_gl0_inv
	v_cmpx_gt_u32_e32 32, v0
	s_cbranch_execz .LBB37_194
; %bb.193:
	v_add_nc_u32_e32 v1, 0x400, v17
	ds_read2_b32 v[1:2], v1 offset1:32
	s_waitcnt lgkmcnt(0)
	v_max_i32_e32 v1, v1, v2
	ds_write_b32 v17, v1 offset:1024
.LBB37_194:
	s_or_b32 exec_lo, exec_lo, s0
	s_mov_b32 s0, exec_lo
	s_waitcnt lgkmcnt(0)
	s_barrier
	buffer_gl0_inv
	v_cmpx_gt_u32_e32 16, v0
	s_cbranch_execz .LBB37_196
; %bb.195:
	v_add_nc_u32_e32 v1, 0x400, v17
	ds_read2_b32 v[1:2], v1 offset1:16
	s_waitcnt lgkmcnt(0)
	v_max_i32_e32 v1, v1, v2
	ds_write_b32 v17, v1 offset:1024
.LBB37_196:
	;; [unrolled: 14-line block ×5, first 2 shown]
	s_or_b32 exec_lo, exec_lo, s0
	v_cmp_eq_u32_e32 vcc_lo, 0, v0
	s_waitcnt lgkmcnt(0)
	s_barrier
	buffer_gl0_inv
	s_and_saveexec_b32 s0, vcc_lo
	s_cbranch_execz .LBB37_204
; %bb.203:
	v_mov_b32_e32 v3, 0
	ds_read_b64 v[1:2], v3 offset:1024
	s_waitcnt lgkmcnt(0)
	v_max_i32_e32 v1, v1, v2
	ds_write_b32 v3, v1 offset:1024
.LBB37_204:
	s_or_b32 exec_lo, exec_lo, s0
	s_waitcnt lgkmcnt(0)
	s_barrier
	buffer_gl0_inv
	s_and_saveexec_b32 s0, vcc_lo
	s_cbranch_execz .LBB37_207
; %bb.205:
	v_mbcnt_lo_u32_b32 v1, exec_lo, 0
	v_cmp_eq_u32_e32 vcc_lo, 0, v1
	s_and_b32 exec_lo, exec_lo, vcc_lo
	s_cbranch_execz .LBB37_207
; %bb.206:
	v_mov_b32_e32 v1, 0
	s_load_dwordx2 s[2:3], s[4:5], 0x8
	ds_read_b32 v2, v1 offset:1024
	s_waitcnt lgkmcnt(0)
	v_add_nc_u32_e32 v2, 1, v2
	global_atomic_smax v1, v2, s[2:3]
.LBB37_207:
	s_or_b32 exec_lo, exec_lo, s0
	v_cmp_eq_u32_e32 vcc_lo, 0, v0
	s_and_b32 s0, vcc_lo, s60
	s_and_saveexec_b32 s1, s0
	s_cbranch_execz .LBB37_214
.LBB37_208:
	v_mov_b32_e32 v0, 0x7fc00000
	s_mov_b32 s0, exec_lo
.LBB37_209:                             ; =>This Inner Loop Header: Depth=1
	s_ff1_i32_b32 s2, s0
	v_max_f32_e32 v0, v0, v0
	v_readlane_b32 s3, v21, s2
	s_lshl_b32 s2, 1, s2
	s_andn2_b32 s0, s0, s2
	s_cmp_lg_u32 s0, 0
	v_max_f32_e64 v1, s3, s3
	v_max_f32_e32 v0, v0, v1
	s_cbranch_scc1 .LBB37_209
; %bb.210:
	v_mbcnt_lo_u32_b32 v1, exec_lo, 0
	s_mov_b32 s2, 0
	s_mov_b32 s3, exec_lo
	v_cmpx_eq_u32_e32 0, v1
	s_xor_b32 s3, exec_lo, s3
	s_cbranch_execz .LBB37_214
; %bb.211:
	v_mov_b32_e32 v2, 0
	v_max_f32_e32 v3, v0, v0
	global_load_dword v1, v2, s[44:45]
.LBB37_212:                             ; =>This Inner Loop Header: Depth=1
	s_waitcnt vmcnt(0)
	v_max_f32_e32 v0, v1, v1
	v_max_f32_e32 v0, v0, v3
	global_atomic_cmpswap v0, v2, v[0:1], s[44:45] glc
	s_waitcnt vmcnt(0)
	v_cmp_eq_u32_e64 s0, v0, v1
	v_mov_b32_e32 v1, v0
	s_or_b32 s2, s0, s2
	s_andn2_b32 exec_lo, exec_lo, s2
	s_cbranch_execnz .LBB37_212
; %bb.213:
	s_or_b32 exec_lo, exec_lo, s2
.LBB37_214:
	s_or_b32 exec_lo, exec_lo, s1
	s_and_b32 s0, vcc_lo, s33
	s_and_saveexec_b32 s1, s0
	s_cbranch_execz .LBB37_220
; %bb.215:
	v_mov_b32_e32 v0, 0x7fc00000
	s_mov_b32 s0, exec_lo
.LBB37_216:                             ; =>This Inner Loop Header: Depth=1
	s_ff1_i32_b32 s1, s0
	v_max_f32_e32 v0, v0, v0
	v_readlane_b32 s2, v18, s1
	s_lshl_b32 s1, 1, s1
	s_andn2_b32 s0, s0, s1
	s_cmp_lg_u32 s0, 0
	v_max_f32_e64 v1, s2, s2
	v_max_f32_e32 v0, v0, v1
	s_cbranch_scc1 .LBB37_216
; %bb.217:
	v_mbcnt_lo_u32_b32 v1, exec_lo, 0
	s_mov_b32 s0, 0
	s_mov_b32 s1, exec_lo
	v_cmpx_eq_u32_e32 0, v1
	s_xor_b32 s1, exec_lo, s1
	s_cbranch_execz .LBB37_220
; %bb.218:
	v_mov_b32_e32 v2, 0
	v_max_f32_e32 v3, v0, v0
	global_load_dword v1, v2, s[46:47]
.LBB37_219:                             ; =>This Inner Loop Header: Depth=1
	s_waitcnt vmcnt(0)
	v_max_f32_e32 v0, v1, v1
	v_max_f32_e32 v0, v0, v3
	global_atomic_cmpswap v0, v2, v[0:1], s[46:47] glc
	s_waitcnt vmcnt(0)
	v_cmp_eq_u32_e32 vcc_lo, v0, v1
	v_mov_b32_e32 v1, v0
	s_or_b32 s0, vcc_lo, s0
	s_andn2_b32 exec_lo, exec_lo, s0
	s_cbranch_execnz .LBB37_219
.LBB37_220:
	s_endpgm
	.section	.rodata,"a",@progbits
	.p2align	6, 0x0
	.amdhsa_kernel _ZN9rocsparseL6kernelILi1024ELi4E21rocsparse_complex_numIfEiiEEvbbbT3_PS3_NS_15floating_traitsIT1_E6data_tES3_T2_PKS9_SB_PKS3_PKS6_21rocsparse_index_base_SB_SB_SD_PS6_SH_SG_SB_SB_SD_SH_SH_SG_SH_SH_PS8_SI_PKS8_
		.amdhsa_group_segment_fixed_size 2048
		.amdhsa_private_segment_fixed_size 0
		.amdhsa_kernarg_size 208
		.amdhsa_user_sgpr_count 6
		.amdhsa_user_sgpr_private_segment_buffer 1
		.amdhsa_user_sgpr_dispatch_ptr 0
		.amdhsa_user_sgpr_queue_ptr 0
		.amdhsa_user_sgpr_kernarg_segment_ptr 1
		.amdhsa_user_sgpr_dispatch_id 0
		.amdhsa_user_sgpr_flat_scratch_init 0
		.amdhsa_user_sgpr_private_segment_size 0
		.amdhsa_wavefront_size32 1
		.amdhsa_uses_dynamic_stack 0
		.amdhsa_system_sgpr_private_segment_wavefront_offset 0
		.amdhsa_system_sgpr_workgroup_id_x 1
		.amdhsa_system_sgpr_workgroup_id_y 0
		.amdhsa_system_sgpr_workgroup_id_z 0
		.amdhsa_system_sgpr_workgroup_info 0
		.amdhsa_system_vgpr_workitem_id 0
		.amdhsa_next_free_vgpr 43
		.amdhsa_next_free_sgpr 83
		.amdhsa_reserve_vcc 1
		.amdhsa_reserve_flat_scratch 0
		.amdhsa_float_round_mode_32 0
		.amdhsa_float_round_mode_16_64 0
		.amdhsa_float_denorm_mode_32 3
		.amdhsa_float_denorm_mode_16_64 3
		.amdhsa_dx10_clamp 1
		.amdhsa_ieee_mode 1
		.amdhsa_fp16_overflow 0
		.amdhsa_workgroup_processor_mode 1
		.amdhsa_memory_ordered 1
		.amdhsa_forward_progress 1
		.amdhsa_shared_vgpr_count 0
		.amdhsa_exception_fp_ieee_invalid_op 0
		.amdhsa_exception_fp_denorm_src 0
		.amdhsa_exception_fp_ieee_div_zero 0
		.amdhsa_exception_fp_ieee_overflow 0
		.amdhsa_exception_fp_ieee_underflow 0
		.amdhsa_exception_fp_ieee_inexact 0
		.amdhsa_exception_int_div_zero 0
	.end_amdhsa_kernel
	.section	.text._ZN9rocsparseL6kernelILi1024ELi4E21rocsparse_complex_numIfEiiEEvbbbT3_PS3_NS_15floating_traitsIT1_E6data_tES3_T2_PKS9_SB_PKS3_PKS6_21rocsparse_index_base_SB_SB_SD_PS6_SH_SG_SB_SB_SD_SH_SH_SG_SH_SH_PS8_SI_PKS8_,"axG",@progbits,_ZN9rocsparseL6kernelILi1024ELi4E21rocsparse_complex_numIfEiiEEvbbbT3_PS3_NS_15floating_traitsIT1_E6data_tES3_T2_PKS9_SB_PKS3_PKS6_21rocsparse_index_base_SB_SB_SD_PS6_SH_SG_SB_SB_SD_SH_SH_SG_SH_SH_PS8_SI_PKS8_,comdat
.Lfunc_end37:
	.size	_ZN9rocsparseL6kernelILi1024ELi4E21rocsparse_complex_numIfEiiEEvbbbT3_PS3_NS_15floating_traitsIT1_E6data_tES3_T2_PKS9_SB_PKS3_PKS6_21rocsparse_index_base_SB_SB_SD_PS6_SH_SG_SB_SB_SD_SH_SH_SG_SH_SH_PS8_SI_PKS8_, .Lfunc_end37-_ZN9rocsparseL6kernelILi1024ELi4E21rocsparse_complex_numIfEiiEEvbbbT3_PS3_NS_15floating_traitsIT1_E6data_tES3_T2_PKS9_SB_PKS3_PKS6_21rocsparse_index_base_SB_SB_SD_PS6_SH_SG_SB_SB_SD_SH_SH_SG_SH_SH_PS8_SI_PKS8_
                                        ; -- End function
	.set _ZN9rocsparseL6kernelILi1024ELi4E21rocsparse_complex_numIfEiiEEvbbbT3_PS3_NS_15floating_traitsIT1_E6data_tES3_T2_PKS9_SB_PKS3_PKS6_21rocsparse_index_base_SB_SB_SD_PS6_SH_SG_SB_SB_SD_SH_SH_SG_SH_SH_PS8_SI_PKS8_.num_vgpr, 43
	.set _ZN9rocsparseL6kernelILi1024ELi4E21rocsparse_complex_numIfEiiEEvbbbT3_PS3_NS_15floating_traitsIT1_E6data_tES3_T2_PKS9_SB_PKS3_PKS6_21rocsparse_index_base_SB_SB_SD_PS6_SH_SG_SB_SB_SD_SH_SH_SG_SH_SH_PS8_SI_PKS8_.num_agpr, 0
	.set _ZN9rocsparseL6kernelILi1024ELi4E21rocsparse_complex_numIfEiiEEvbbbT3_PS3_NS_15floating_traitsIT1_E6data_tES3_T2_PKS9_SB_PKS3_PKS6_21rocsparse_index_base_SB_SB_SD_PS6_SH_SG_SB_SB_SD_SH_SH_SG_SH_SH_PS8_SI_PKS8_.numbered_sgpr, 83
	.set _ZN9rocsparseL6kernelILi1024ELi4E21rocsparse_complex_numIfEiiEEvbbbT3_PS3_NS_15floating_traitsIT1_E6data_tES3_T2_PKS9_SB_PKS3_PKS6_21rocsparse_index_base_SB_SB_SD_PS6_SH_SG_SB_SB_SD_SH_SH_SG_SH_SH_PS8_SI_PKS8_.num_named_barrier, 0
	.set _ZN9rocsparseL6kernelILi1024ELi4E21rocsparse_complex_numIfEiiEEvbbbT3_PS3_NS_15floating_traitsIT1_E6data_tES3_T2_PKS9_SB_PKS3_PKS6_21rocsparse_index_base_SB_SB_SD_PS6_SH_SG_SB_SB_SD_SH_SH_SG_SH_SH_PS8_SI_PKS8_.private_seg_size, 0
	.set _ZN9rocsparseL6kernelILi1024ELi4E21rocsparse_complex_numIfEiiEEvbbbT3_PS3_NS_15floating_traitsIT1_E6data_tES3_T2_PKS9_SB_PKS3_PKS6_21rocsparse_index_base_SB_SB_SD_PS6_SH_SG_SB_SB_SD_SH_SH_SG_SH_SH_PS8_SI_PKS8_.uses_vcc, 1
	.set _ZN9rocsparseL6kernelILi1024ELi4E21rocsparse_complex_numIfEiiEEvbbbT3_PS3_NS_15floating_traitsIT1_E6data_tES3_T2_PKS9_SB_PKS3_PKS6_21rocsparse_index_base_SB_SB_SD_PS6_SH_SG_SB_SB_SD_SH_SH_SG_SH_SH_PS8_SI_PKS8_.uses_flat_scratch, 0
	.set _ZN9rocsparseL6kernelILi1024ELi4E21rocsparse_complex_numIfEiiEEvbbbT3_PS3_NS_15floating_traitsIT1_E6data_tES3_T2_PKS9_SB_PKS3_PKS6_21rocsparse_index_base_SB_SB_SD_PS6_SH_SG_SB_SB_SD_SH_SH_SG_SH_SH_PS8_SI_PKS8_.has_dyn_sized_stack, 0
	.set _ZN9rocsparseL6kernelILi1024ELi4E21rocsparse_complex_numIfEiiEEvbbbT3_PS3_NS_15floating_traitsIT1_E6data_tES3_T2_PKS9_SB_PKS3_PKS6_21rocsparse_index_base_SB_SB_SD_PS6_SH_SG_SB_SB_SD_SH_SH_SG_SH_SH_PS8_SI_PKS8_.has_recursion, 0
	.set _ZN9rocsparseL6kernelILi1024ELi4E21rocsparse_complex_numIfEiiEEvbbbT3_PS3_NS_15floating_traitsIT1_E6data_tES3_T2_PKS9_SB_PKS3_PKS6_21rocsparse_index_base_SB_SB_SD_PS6_SH_SG_SB_SB_SD_SH_SH_SG_SH_SH_PS8_SI_PKS8_.has_indirect_call, 0
	.section	.AMDGPU.csdata,"",@progbits
; Kernel info:
; codeLenInByte = 9200
; TotalNumSgprs: 85
; NumVgprs: 43
; ScratchSize: 0
; MemoryBound: 0
; FloatMode: 240
; IeeeMode: 1
; LDSByteSize: 2048 bytes/workgroup (compile time only)
; SGPRBlocks: 0
; VGPRBlocks: 5
; NumSGPRsForWavesPerEU: 85
; NumVGPRsForWavesPerEU: 43
; Occupancy: 16
; WaveLimiterHint : 1
; COMPUTE_PGM_RSRC2:SCRATCH_EN: 0
; COMPUTE_PGM_RSRC2:USER_SGPR: 6
; COMPUTE_PGM_RSRC2:TRAP_HANDLER: 0
; COMPUTE_PGM_RSRC2:TGID_X_EN: 1
; COMPUTE_PGM_RSRC2:TGID_Y_EN: 0
; COMPUTE_PGM_RSRC2:TGID_Z_EN: 0
; COMPUTE_PGM_RSRC2:TIDIG_COMP_CNT: 0
	.section	.text._ZN9rocsparseL6kernelILi1024ELi8E21rocsparse_complex_numIfEiiEEvbbbT3_PS3_NS_15floating_traitsIT1_E6data_tES3_T2_PKS9_SB_PKS3_PKS6_21rocsparse_index_base_SB_SB_SD_PS6_SH_SG_SB_SB_SD_SH_SH_SG_SH_SH_PS8_SI_PKS8_,"axG",@progbits,_ZN9rocsparseL6kernelILi1024ELi8E21rocsparse_complex_numIfEiiEEvbbbT3_PS3_NS_15floating_traitsIT1_E6data_tES3_T2_PKS9_SB_PKS3_PKS6_21rocsparse_index_base_SB_SB_SD_PS6_SH_SG_SB_SB_SD_SH_SH_SG_SH_SH_PS8_SI_PKS8_,comdat
	.globl	_ZN9rocsparseL6kernelILi1024ELi8E21rocsparse_complex_numIfEiiEEvbbbT3_PS3_NS_15floating_traitsIT1_E6data_tES3_T2_PKS9_SB_PKS3_PKS6_21rocsparse_index_base_SB_SB_SD_PS6_SH_SG_SB_SB_SD_SH_SH_SG_SH_SH_PS8_SI_PKS8_ ; -- Begin function _ZN9rocsparseL6kernelILi1024ELi8E21rocsparse_complex_numIfEiiEEvbbbT3_PS3_NS_15floating_traitsIT1_E6data_tES3_T2_PKS9_SB_PKS3_PKS6_21rocsparse_index_base_SB_SB_SD_PS6_SH_SG_SB_SB_SD_SH_SH_SG_SH_SH_PS8_SI_PKS8_
	.p2align	8
	.type	_ZN9rocsparseL6kernelILi1024ELi8E21rocsparse_complex_numIfEiiEEvbbbT3_PS3_NS_15floating_traitsIT1_E6data_tES3_T2_PKS9_SB_PKS3_PKS6_21rocsparse_index_base_SB_SB_SD_PS6_SH_SG_SB_SB_SD_SH_SH_SG_SH_SH_PS8_SI_PKS8_,@function
_ZN9rocsparseL6kernelILi1024ELi8E21rocsparse_complex_numIfEiiEEvbbbT3_PS3_NS_15floating_traitsIT1_E6data_tES3_T2_PKS9_SB_PKS3_PKS6_21rocsparse_index_base_SB_SB_SD_PS6_SH_SG_SB_SB_SD_SH_SH_SG_SH_SH_PS8_SI_PKS8_: ; @_ZN9rocsparseL6kernelILi1024ELi8E21rocsparse_complex_numIfEiiEEvbbbT3_PS3_NS_15floating_traitsIT1_E6data_tES3_T2_PKS9_SB_PKS3_PKS6_21rocsparse_index_base_SB_SB_SD_PS6_SH_SG_SB_SB_SD_SH_SH_SG_SH_SH_PS8_SI_PKS8_
; %bb.0:
	s_clause 0x3
	s_load_dword s0, s[4:5], 0x0
	s_load_dwordx2 s[14:15], s[4:5], 0x0
	s_load_dwordx2 s[34:35], s[4:5], 0x10
	s_load_dwordx4 s[44:47], s[4:5], 0xb8
	v_lshrrev_b32_e32 v19, 3, v0
	v_mov_b32_e32 v1, 0
	v_lshlrev_b32_e32 v17, 2, v0
	v_and_b32_e32 v20, 7, v0
	v_mbcnt_lo_u32_b32 v21, -1, 0
	v_mov_b32_e32 v22, 0
	v_mov_b32_e32 v18, 0
	s_mov_b32 s60, 0
	ds_write_b32 v17, v1
	s_waitcnt lgkmcnt(0)
	s_barrier
	buffer_gl0_inv
	s_bitcmp1_b32 s0, 0
	s_cselect_b32 s59, -1, 0
	s_bitcmp1_b32 s0, 8
	s_cselect_b32 s58, -1, 0
	s_bitcmp1_b32 s14, 16
	s_cselect_b32 s33, -1, 0
	s_lshl_b32 s65, s6, 10
	s_cmp_gt_i32 s15, 0
	v_or_b32_e32 v23, s65, v19
	s_cselect_b32 s0, -1, 0
	v_cmp_gt_i32_e32 vcc_lo, s35, v23
	s_and_b32 s0, s0, vcc_lo
	s_and_saveexec_b32 s61, s0
	s_cbranch_execnz .LBB38_3
; %bb.1:
	s_or_b32 exec_lo, exec_lo, s61
	s_andn2_b32 vcc_lo, exec_lo, s59
	s_cbranch_vccz .LBB38_182
.LBB38_2:
	v_cmp_eq_u32_e32 vcc_lo, 0, v0
	s_and_b32 s0, vcc_lo, s58
	s_and_saveexec_b32 s1, s0
	s_cbranch_execnz .LBB38_202
	s_branch .LBB38_208
.LBB38_3:
	s_clause 0x9
	s_load_dword s62, s[4:5], 0x40
	s_load_dword s63, s[4:5], 0x70
	s_load_dwordx2 s[52:53], s[4:5], 0x98
	s_load_dword s64, s[4:5], 0xa0
	s_load_dwordx2 s[54:55], s[4:5], 0x68
	s_load_dwordx2 s[56:57], s[4:5], 0xc8
	s_load_dwordx4 s[48:51], s[4:5], 0xa8
	s_load_dwordx8 s[16:23], s[4:5], 0x78
	s_load_dwordx8 s[24:31], s[4:5], 0x48
	;; [unrolled: 1-line block ×3, first 2 shown]
	s_addk_i32 s65, 0x400
	v_cmp_eq_u32_e64 s0, 7, v20
	v_lshlrev_b32_e32 v24, 2, v19
	v_cmp_gt_u32_e64 s1, 64, v0
	v_cmp_gt_u32_e64 s2, 32, v0
	;; [unrolled: 1-line block ×7, first 2 shown]
	s_waitcnt lgkmcnt(0)
	v_subrev_nc_u32_e32 v25, s62, v20
	v_cmp_eq_u32_e64 s10, 0, v0
	v_subrev_nc_u32_e32 v26, s63, v20
	v_subrev_nc_u32_e32 v27, s64, v20
	v_cmp_eq_u32_e64 s11, 0, v20
	v_mov_b32_e32 v2, 0
	v_mov_b32_e32 v18, 0
	;; [unrolled: 1-line block ×3, first 2 shown]
	s_and_b32 s12, s58, s33
	s_xor_b32 s66, s58, -1
	s_xor_b32 s67, s12, -1
	s_mov_b32 s68, 0
	s_branch .LBB38_5
.LBB38_4:                               ;   in Loop: Header=BB38_5 Depth=1
	s_or_b32 exec_lo, exec_lo, s12
	s_and_b32 s12, exec_lo, s13
	s_or_b32 s60, s12, s60
	s_andn2_b32 exec_lo, exec_lo, s60
	s_cbranch_execz .LBB38_181
.LBB38_5:                               ; =>This Loop Header: Depth=1
                                        ;     Child Loop BB38_9 Depth 2
                                        ;       Child Loop BB38_14 Depth 3
                                        ;         Child Loop BB38_18 Depth 4
                                        ;         Child Loop BB38_53 Depth 4
	;; [unrolled: 1-line block ×5, first 2 shown]
                                        ;     Child Loop BB38_160 Depth 2
                                        ;       Child Loop BB38_163 Depth 3
                                        ;       Child Loop BB38_166 Depth 3
	v_cndmask_b32_e64 v22, v22, 0, s58
	v_cndmask_b32_e64 v18, v18, 0, s33
	s_mov_b32 s69, 0
	s_branch .LBB38_9
.LBB38_6:                               ;   in Loop: Header=BB38_9 Depth=2
	s_or_b32 exec_lo, exec_lo, s72
.LBB38_7:                               ;   in Loop: Header=BB38_9 Depth=2
	s_or_b32 exec_lo, exec_lo, s71
.LBB38_8:                               ;   in Loop: Header=BB38_9 Depth=2
	s_or_b32 exec_lo, exec_lo, s70
	s_add_i32 s69, s69, 1
	s_cmp_eq_u32 s69, 8
	s_cbranch_scc1 .LBB38_121
.LBB38_9:                               ;   Parent Loop BB38_5 Depth=1
                                        ; =>  This Loop Header: Depth=2
                                        ;       Child Loop BB38_14 Depth 3
                                        ;         Child Loop BB38_18 Depth 4
                                        ;         Child Loop BB38_53 Depth 4
	;; [unrolled: 1-line block ×5, first 2 shown]
	v_lshl_add_u32 v3, s69, 7, v23
	s_mov_b32 s70, exec_lo
	v_cmpx_gt_i32_e64 s35, v3
	s_cbranch_execz .LBB38_8
; %bb.10:                               ;   in Loop: Header=BB38_9 Depth=2
	v_ashrrev_i32_e32 v4, 31, v3
	s_mov_b32 s71, exec_lo
	v_lshlrev_b64 v[5:6], 2, v[3:4]
	v_add_co_u32 v7, vcc_lo, s36, v5
	v_add_co_ci_u32_e64 v8, null, s37, v6, vcc_lo
	v_add_co_u32 v9, vcc_lo, s38, v5
	v_add_co_ci_u32_e64 v10, null, s39, v6, vcc_lo
	global_load_dword v1, v[7:8], off
	global_load_dword v7, v[9:10], off
	s_waitcnt vmcnt(1)
	v_add_nc_u32_e32 v4, v25, v1
	s_waitcnt vmcnt(0)
	v_subrev_nc_u32_e32 v28, s62, v7
	v_cmpx_lt_i32_e64 v4, v28
	s_cbranch_execz .LBB38_7
; %bb.11:                               ;   in Loop: Header=BB38_9 Depth=2
	v_add_co_u32 v7, vcc_lo, s24, v5
	v_add_co_ci_u32_e64 v8, null, s25, v6, vcc_lo
	v_add_co_u32 v5, vcc_lo, s26, v5
	v_add_co_ci_u32_e64 v6, null, s27, v6, vcc_lo
	global_load_dword v1, v[7:8], off
	s_mov_b32 s72, 0
	global_load_dword v5, v[5:6], off
	s_waitcnt vmcnt(1)
	v_subrev_nc_u32_e32 v6, s63, v1
	s_waitcnt vmcnt(0)
	v_sub_nc_u32_e32 v29, v5, v1
	v_ashrrev_i32_e32 v7, 31, v6
	v_cmp_lt_i32_e64 s12, 0, v29
	v_lshlrev_b64 v[8:9], 2, v[6:7]
	v_lshlrev_b64 v[10:11], 3, v[6:7]
	v_add_co_u32 v30, vcc_lo, s28, v8
	v_add_co_ci_u32_e64 v31, null, s29, v9, vcc_lo
	v_add_co_u32 v32, vcc_lo, s30, v10
	v_add_co_ci_u32_e64 v33, null, s31, v11, vcc_lo
	s_branch .LBB38_14
.LBB38_12:                              ;   in Loop: Header=BB38_14 Depth=3
	s_or_b32 exec_lo, exec_lo, s13
.LBB38_13:                              ;   in Loop: Header=BB38_14 Depth=3
	s_or_b32 exec_lo, exec_lo, s14
	v_add_nc_u32_e32 v4, 8, v4
	v_cmp_ge_i32_e32 vcc_lo, v4, v28
	s_or_b32 s72, vcc_lo, s72
	s_andn2_b32 exec_lo, exec_lo, s72
	s_cbranch_execz .LBB38_6
.LBB38_14:                              ;   Parent Loop BB38_5 Depth=1
                                        ;     Parent Loop BB38_9 Depth=2
                                        ; =>    This Loop Header: Depth=3
                                        ;         Child Loop BB38_18 Depth 4
                                        ;         Child Loop BB38_53 Depth 4
	;; [unrolled: 1-line block ×5, first 2 shown]
	v_ashrrev_i32_e32 v5, 31, v4
	v_mov_b32_e32 v34, 0
	v_mov_b32_e32 v35, 0
	v_lshlrev_b64 v[7:8], 2, v[4:5]
	v_add_co_u32 v7, vcc_lo, s40, v7
	v_add_co_ci_u32_e64 v8, null, s41, v8, vcc_lo
	global_load_dword v1, v[7:8], off
	s_waitcnt vmcnt(0)
	v_subrev_nc_u32_e32 v7, s62, v1
	v_mov_b32_e32 v1, 0
	v_ashrrev_i32_e32 v8, 31, v7
	v_lshlrev_b64 v[9:10], 2, v[7:8]
	v_add_co_u32 v11, vcc_lo, s16, v9
	v_add_co_ci_u32_e64 v12, null, s17, v10, vcc_lo
	v_add_co_u32 v9, vcc_lo, s18, v9
	v_add_co_ci_u32_e64 v10, null, s19, v10, vcc_lo
	global_load_dword v12, v[11:12], off
	global_load_dword v9, v[9:10], off
	s_waitcnt vmcnt(1)
	v_subrev_nc_u32_e32 v11, s64, v12
	s_waitcnt vmcnt(0)
	v_sub_nc_u32_e32 v36, v9, v12
	v_mov_b32_e32 v12, v1
	s_and_saveexec_b32 s14, s12
	s_cbranch_execz .LBB38_22
; %bb.15:                               ;   in Loop: Header=BB38_14 Depth=3
	v_ashrrev_i32_e32 v12, 31, v11
	v_mov_b32_e32 v34, 0
	v_mov_b32_e32 v1, 0
	;; [unrolled: 1-line block ×3, first 2 shown]
	s_mov_b32 s73, 0
	v_lshlrev_b64 v[9:10], 2, v[11:12]
	v_lshlrev_b64 v[12:13], 3, v[11:12]
                                        ; implicit-def: $sgpr74
	v_add_co_u32 v9, vcc_lo, s20, v9
	v_add_co_ci_u32_e64 v10, null, s21, v10, vcc_lo
	v_add_co_u32 v14, vcc_lo, s22, v12
	v_add_co_ci_u32_e64 v15, null, s23, v13, vcc_lo
	v_mov_b32_e32 v12, 0
	s_branch .LBB38_18
.LBB38_16:                              ;   in Loop: Header=BB38_18 Depth=4
	s_or_b32 exec_lo, exec_lo, s13
	v_cmp_le_i32_e32 vcc_lo, v16, v37
	v_cmp_ge_i32_e64 s13, v16, v37
	v_add_co_ci_u32_e64 v1, null, 0, v1, vcc_lo
	v_add_co_ci_u32_e64 v12, null, 0, v12, s13
	s_andn2_b32 s13, s74, exec_lo
	v_cmp_ge_i32_e32 vcc_lo, v1, v29
	s_and_b32 s74, vcc_lo, exec_lo
	s_or_b32 s74, s13, s74
.LBB38_17:                              ;   in Loop: Header=BB38_18 Depth=4
	s_or_b32 exec_lo, exec_lo, s75
	s_and_b32 s13, exec_lo, s74
	s_or_b32 s73, s13, s73
	s_andn2_b32 exec_lo, exec_lo, s73
	s_cbranch_execz .LBB38_21
.LBB38_18:                              ;   Parent Loop BB38_5 Depth=1
                                        ;     Parent Loop BB38_9 Depth=2
                                        ;       Parent Loop BB38_14 Depth=3
                                        ; =>      This Inner Loop Header: Depth=4
	s_or_b32 s74, s74, exec_lo
	s_mov_b32 s75, exec_lo
	v_cmpx_lt_i32_e64 v12, v36
	s_cbranch_execz .LBB38_17
; %bb.19:                               ;   in Loop: Header=BB38_18 Depth=4
	v_mov_b32_e32 v13, v2
	v_lshlrev_b64 v[37:38], 2, v[1:2]
	s_mov_b32 s13, exec_lo
	v_lshlrev_b64 v[39:40], 2, v[12:13]
	v_add_co_u32 v37, vcc_lo, v30, v37
	v_add_co_ci_u32_e64 v38, null, v31, v38, vcc_lo
	v_add_co_u32 v39, vcc_lo, v9, v39
	v_add_co_ci_u32_e64 v40, null, v10, v40, vcc_lo
	global_load_dword v16, v[37:38], off
	global_load_dword v37, v[39:40], off
	s_waitcnt vmcnt(1)
	v_subrev_nc_u32_e32 v16, s63, v16
	s_waitcnt vmcnt(0)
	v_subrev_nc_u32_e32 v37, s64, v37
	v_cmpx_eq_u32_e64 v16, v37
	s_cbranch_execz .LBB38_16
; %bb.20:                               ;   in Loop: Header=BB38_18 Depth=4
	v_lshlrev_b64 v[38:39], 3, v[1:2]
	v_lshlrev_b64 v[40:41], 3, v[12:13]
	v_add_co_u32 v38, vcc_lo, v32, v38
	v_add_co_ci_u32_e64 v39, null, v33, v39, vcc_lo
	v_add_co_u32 v40, vcc_lo, v14, v40
	v_add_co_ci_u32_e64 v41, null, v15, v41, vcc_lo
	global_load_dwordx2 v[38:39], v[38:39], off
	global_load_dwordx2 v[40:41], v[40:41], off
	s_waitcnt vmcnt(0)
	v_fmac_f32_e32 v34, v38, v40
	v_fmac_f32_e32 v35, v39, v40
	v_fma_f32 v34, -v39, v41, v34
	v_fmac_f32_e32 v35, v38, v41
	s_branch .LBB38_16
.LBB38_21:                              ;   in Loop: Header=BB38_14 Depth=3
	s_or_b32 exec_lo, exec_lo, s73
.LBB38_22:                              ;   in Loop: Header=BB38_14 Depth=3
	s_or_b32 exec_lo, exec_lo, s14
	v_lshlrev_b64 v[9:10], 3, v[4:5]
	v_cmp_le_i32_e64 s13, v3, v7
	s_mov_b32 s73, exec_lo
	v_add_co_u32 v9, vcc_lo, s42, v9
	v_add_co_ci_u32_e64 v10, null, s43, v10, vcc_lo
	global_load_dwordx2 v[9:10], v[9:10], off
	s_waitcnt vmcnt(0)
	v_sub_f32_e32 v13, v9, v34
	v_sub_f32_e32 v14, v10, v35
	v_cmpx_gt_i32_e64 v3, v7
	s_cbranch_execz .LBB38_32
; %bb.23:                               ;   in Loop: Header=BB38_14 Depth=3
	v_lshlrev_b64 v[15:16], 3, v[7:8]
                                        ; implicit-def: $vgpr38
	s_mov_b32 s14, exec_lo
	v_add_co_u32 v15, vcc_lo, s48, v15
	v_add_co_ci_u32_e64 v16, null, s49, v16, vcc_lo
	global_load_dwordx2 v[15:16], v[15:16], off
	s_waitcnt vmcnt(0)
	v_cmp_gt_f32_e32 vcc_lo, 0, v15
	v_cndmask_b32_e64 v5, v15, -v15, vcc_lo
	v_cmp_gt_f32_e32 vcc_lo, 0, v16
	v_cndmask_b32_e64 v37, v16, -v16, vcc_lo
	v_cmpx_ngt_f32_e32 v5, v37
	s_xor_b32 s74, exec_lo, s14
	s_cbranch_execz .LBB38_27
; %bb.24:                               ;   in Loop: Header=BB38_14 Depth=3
	v_mov_b32_e32 v38, 0
	s_mov_b32 s75, exec_lo
	v_cmpx_neq_f32_e32 0, v16
	s_cbranch_execz .LBB38_26
; %bb.25:                               ;   in Loop: Header=BB38_14 Depth=3
	v_div_scale_f32 v38, null, v37, v37, v5
	v_div_scale_f32 v41, vcc_lo, v5, v37, v5
	v_rcp_f32_e32 v39, v38
	v_fma_f32 v40, -v38, v39, 1.0
	v_fmac_f32_e32 v39, v40, v39
	v_mul_f32_e32 v40, v41, v39
	v_fma_f32 v42, -v38, v40, v41
	v_fmac_f32_e32 v40, v42, v39
	v_fma_f32 v38, -v38, v40, v41
	v_div_fmas_f32 v38, v38, v39, v40
	v_div_fixup_f32 v5, v38, v37, v5
	v_fma_f32 v5, v5, v5, 1.0
	v_mul_f32_e32 v38, 0x4f800000, v5
	v_cmp_gt_f32_e32 vcc_lo, 0xf800000, v5
	v_cndmask_b32_e32 v5, v5, v38, vcc_lo
	v_sqrt_f32_e32 v38, v5
	v_add_nc_u32_e32 v39, -1, v38
	v_add_nc_u32_e32 v40, 1, v38
	v_fma_f32 v41, -v39, v38, v5
	v_fma_f32 v42, -v40, v38, v5
	v_cmp_ge_f32_e64 s14, 0, v41
	v_cndmask_b32_e64 v38, v38, v39, s14
	v_cmp_lt_f32_e64 s14, 0, v42
	v_cndmask_b32_e64 v38, v38, v40, s14
	v_mul_f32_e32 v39, 0x37800000, v38
	v_cndmask_b32_e32 v38, v38, v39, vcc_lo
	v_cmp_class_f32_e64 vcc_lo, v5, 0x260
	v_cndmask_b32_e32 v5, v38, v5, vcc_lo
	v_mul_f32_e32 v38, v37, v5
.LBB38_26:                              ;   in Loop: Header=BB38_14 Depth=3
	s_or_b32 exec_lo, exec_lo, s75
                                        ; implicit-def: $vgpr5
                                        ; implicit-def: $vgpr37
.LBB38_27:                              ;   in Loop: Header=BB38_14 Depth=3
	s_andn2_saveexec_b32 s74, s74
	s_cbranch_execz .LBB38_29
; %bb.28:                               ;   in Loop: Header=BB38_14 Depth=3
	v_div_scale_f32 v38, null, v5, v5, v37
	v_div_scale_f32 v41, vcc_lo, v37, v5, v37
	v_rcp_f32_e32 v39, v38
	v_fma_f32 v40, -v38, v39, 1.0
	v_fmac_f32_e32 v39, v40, v39
	v_mul_f32_e32 v40, v41, v39
	v_fma_f32 v42, -v38, v40, v41
	v_fmac_f32_e32 v40, v42, v39
	v_fma_f32 v38, -v38, v40, v41
	v_div_fmas_f32 v38, v38, v39, v40
	v_div_fixup_f32 v37, v38, v5, v37
	v_fma_f32 v37, v37, v37, 1.0
	v_mul_f32_e32 v38, 0x4f800000, v37
	v_cmp_gt_f32_e32 vcc_lo, 0xf800000, v37
	v_cndmask_b32_e32 v37, v37, v38, vcc_lo
	v_sqrt_f32_e32 v38, v37
	v_add_nc_u32_e32 v39, -1, v38
	v_add_nc_u32_e32 v40, 1, v38
	v_fma_f32 v41, -v39, v38, v37
	v_fma_f32 v42, -v40, v38, v37
	v_cmp_ge_f32_e64 s14, 0, v41
	v_cndmask_b32_e64 v38, v38, v39, s14
	v_cmp_lt_f32_e64 s14, 0, v42
	v_cndmask_b32_e64 v38, v38, v40, s14
	v_mul_f32_e32 v39, 0x37800000, v38
	v_cndmask_b32_e32 v38, v38, v39, vcc_lo
	v_cmp_class_f32_e64 vcc_lo, v37, 0x260
	v_cndmask_b32_e32 v37, v38, v37, vcc_lo
	v_mul_f32_e32 v38, v5, v37
.LBB38_29:                              ;   in Loop: Header=BB38_14 Depth=3
	s_or_b32 exec_lo, exec_lo, s74
	v_mov_b32_e32 v5, 0
	v_mov_b32_e32 v37, 0
	s_mov_b32 s14, exec_lo
	v_cmpx_lt_f32_e32 0, v38
	s_cbranch_execz .LBB38_31
; %bb.30:                               ;   in Loop: Header=BB38_14 Depth=3
	v_mul_f32_e32 v5, v16, v16
	v_fmac_f32_e32 v5, v15, v15
	v_div_scale_f32 v37, null, v5, v5, 1.0
	v_div_scale_f32 v40, vcc_lo, 1.0, v5, 1.0
	v_rcp_f32_e32 v38, v37
	v_fma_f32 v39, -v37, v38, 1.0
	v_fmac_f32_e32 v38, v39, v38
	v_mul_f32_e32 v39, v40, v38
	v_fma_f32 v41, -v37, v39, v40
	v_fmac_f32_e32 v39, v41, v38
	v_fma_f32 v37, -v37, v39, v40
	v_mul_f32_e32 v40, v14, v16
	v_mul_f32_e64 v16, v16, -v13
	v_div_fmas_f32 v37, v37, v38, v39
	v_fmac_f32_e32 v40, v13, v15
	v_fmac_f32_e32 v16, v14, v15
	v_div_fixup_f32 v5, v37, v5, 1.0
	v_mul_f32_e32 v37, v40, v5
	v_mul_f32_e32 v5, v16, v5
.LBB38_31:                              ;   in Loop: Header=BB38_14 Depth=3
	s_or_b32 exec_lo, exec_lo, s14
	v_mov_b32_e32 v14, v5
	v_mov_b32_e32 v13, v37
.LBB38_32:                              ;   in Loop: Header=BB38_14 Depth=3
	s_or_b32 exec_lo, exec_lo, s73
	v_cmp_gt_f32_e32 vcc_lo, 0, v13
                                        ; implicit-def: $vgpr16
	s_mov_b32 s14, exec_lo
	v_cndmask_b32_e64 v5, v13, -v13, vcc_lo
	v_cmp_gt_f32_e32 vcc_lo, 0, v14
	v_cndmask_b32_e64 v15, v14, -v14, vcc_lo
	v_cmpx_ngt_f32_e32 v5, v15
	s_xor_b32 s73, exec_lo, s14
	s_cbranch_execnz .LBB38_36
; %bb.33:                               ;   in Loop: Header=BB38_14 Depth=3
	s_andn2_saveexec_b32 s73, s73
	s_cbranch_execnz .LBB38_39
.LBB38_34:                              ;   in Loop: Header=BB38_14 Depth=3
	s_or_b32 exec_lo, exec_lo, s73
	v_cmp_class_f32_e64 s14, v16, 0x1f8
	s_and_saveexec_b32 s73, s14
	s_cbranch_execnz .LBB38_40
.LBB38_35:                              ;   in Loop: Header=BB38_14 Depth=3
	s_or_b32 exec_lo, exec_lo, s73
	s_and_b32 s13, s33, s14
	s_and_saveexec_b32 s14, s13
	s_cbranch_execz .LBB38_13
	s_branch .LBB38_81
.LBB38_36:                              ;   in Loop: Header=BB38_14 Depth=3
	v_mov_b32_e32 v16, 0
	s_mov_b32 s74, exec_lo
	v_cmpx_neq_f32_e32 0, v14
	s_cbranch_execz .LBB38_38
; %bb.37:                               ;   in Loop: Header=BB38_14 Depth=3
	v_div_scale_f32 v16, null, v15, v15, v5
	v_div_scale_f32 v39, vcc_lo, v5, v15, v5
	v_rcp_f32_e32 v37, v16
	v_fma_f32 v38, -v16, v37, 1.0
	v_fmac_f32_e32 v37, v38, v37
	v_mul_f32_e32 v38, v39, v37
	v_fma_f32 v40, -v16, v38, v39
	v_fmac_f32_e32 v38, v40, v37
	v_fma_f32 v16, -v16, v38, v39
	v_div_fmas_f32 v16, v16, v37, v38
	v_div_fixup_f32 v5, v16, v15, v5
	v_fma_f32 v5, v5, v5, 1.0
	v_mul_f32_e32 v16, 0x4f800000, v5
	v_cmp_gt_f32_e32 vcc_lo, 0xf800000, v5
	v_cndmask_b32_e32 v5, v5, v16, vcc_lo
	v_sqrt_f32_e32 v16, v5
	v_add_nc_u32_e32 v37, -1, v16
	v_add_nc_u32_e32 v38, 1, v16
	v_fma_f32 v39, -v37, v16, v5
	v_fma_f32 v40, -v38, v16, v5
	v_cmp_ge_f32_e64 s14, 0, v39
	v_cndmask_b32_e64 v16, v16, v37, s14
	v_cmp_lt_f32_e64 s14, 0, v40
	v_cndmask_b32_e64 v16, v16, v38, s14
	v_mul_f32_e32 v37, 0x37800000, v16
	v_cndmask_b32_e32 v16, v16, v37, vcc_lo
	v_cmp_class_f32_e64 vcc_lo, v5, 0x260
	v_cndmask_b32_e32 v5, v16, v5, vcc_lo
	v_mul_f32_e32 v16, v15, v5
.LBB38_38:                              ;   in Loop: Header=BB38_14 Depth=3
	s_or_b32 exec_lo, exec_lo, s74
                                        ; implicit-def: $vgpr5
                                        ; implicit-def: $vgpr15
	s_andn2_saveexec_b32 s73, s73
	s_cbranch_execz .LBB38_34
.LBB38_39:                              ;   in Loop: Header=BB38_14 Depth=3
	v_div_scale_f32 v16, null, v5, v5, v15
	v_div_scale_f32 v39, vcc_lo, v15, v5, v15
	v_rcp_f32_e32 v37, v16
	v_fma_f32 v38, -v16, v37, 1.0
	v_fmac_f32_e32 v37, v38, v37
	v_mul_f32_e32 v38, v39, v37
	v_fma_f32 v40, -v16, v38, v39
	v_fmac_f32_e32 v38, v40, v37
	v_fma_f32 v16, -v16, v38, v39
	v_div_fmas_f32 v16, v16, v37, v38
	v_div_fixup_f32 v15, v16, v5, v15
	v_fma_f32 v15, v15, v15, 1.0
	v_mul_f32_e32 v16, 0x4f800000, v15
	v_cmp_gt_f32_e32 vcc_lo, 0xf800000, v15
	v_cndmask_b32_e32 v15, v15, v16, vcc_lo
	v_sqrt_f32_e32 v16, v15
	v_add_nc_u32_e32 v37, -1, v16
	v_add_nc_u32_e32 v38, 1, v16
	v_fma_f32 v39, -v37, v16, v15
	v_fma_f32 v40, -v38, v16, v15
	v_cmp_ge_f32_e64 s14, 0, v39
	v_cndmask_b32_e64 v16, v16, v37, s14
	v_cmp_lt_f32_e64 s14, 0, v40
	v_cndmask_b32_e64 v16, v16, v38, s14
	v_mul_f32_e32 v37, 0x37800000, v16
	v_cndmask_b32_e32 v16, v16, v37, vcc_lo
	v_cmp_class_f32_e64 vcc_lo, v15, 0x260
	v_cndmask_b32_e32 v15, v16, v15, vcc_lo
	v_mul_f32_e32 v16, v5, v15
	s_or_b32 exec_lo, exec_lo, s73
	v_cmp_class_f32_e64 s14, v16, 0x1f8
	s_and_saveexec_b32 s73, s14
	s_cbranch_execz .LBB38_35
.LBB38_40:                              ;   in Loop: Header=BB38_14 Depth=3
	s_and_saveexec_b32 s74, s13
	s_xor_b32 s74, exec_lo, s74
	s_cbranch_execz .LBB38_65
; %bb.41:                               ;   in Loop: Header=BB38_14 Depth=3
	s_mov_b32 s13, exec_lo
	v_cmpx_ge_i32_e64 v3, v7
	s_xor_b32 s75, exec_lo, s13
	s_cbranch_execz .LBB38_49
; %bb.42:                               ;   in Loop: Header=BB38_14 Depth=3
	v_lshlrev_b64 v[15:16], 3, v[7:8]
	v_add_co_u32 v37, vcc_lo, s50, v15
	v_add_co_ci_u32_e64 v38, null, s51, v16, vcc_lo
	s_andn2_b32 vcc_lo, exec_lo, s58
	global_store_dwordx2 v[37:38], v[13:14], off
	s_cbranch_vccnz .LBB38_48
; %bb.43:                               ;   in Loop: Header=BB38_14 Depth=3
	v_add_co_u32 v15, vcc_lo, s48, v15
	v_add_co_ci_u32_e64 v16, null, s49, v16, vcc_lo
	s_mov_b32 s13, exec_lo
	global_load_dwordx2 v[15:16], v[15:16], off
	s_waitcnt vmcnt(0)
	v_sub_f32_e32 v5, v15, v13
	v_sub_f32_e32 v15, v16, v14
                                        ; implicit-def: $vgpr14
	v_cmp_gt_f32_e32 vcc_lo, 0, v5
	v_cndmask_b32_e64 v5, v5, -v5, vcc_lo
	v_cmp_gt_f32_e32 vcc_lo, 0, v15
	v_cndmask_b32_e64 v13, v15, -v15, vcc_lo
	v_cmpx_ngt_f32_e32 v5, v13
	s_xor_b32 s76, exec_lo, s13
	s_cbranch_execnz .LBB38_109
; %bb.44:                               ;   in Loop: Header=BB38_14 Depth=3
	s_andn2_saveexec_b32 s76, s76
	s_cbranch_execnz .LBB38_112
.LBB38_45:                              ;   in Loop: Header=BB38_14 Depth=3
	s_or_b32 exec_lo, exec_lo, s76
	v_cmp_class_f32_e64 s76, v14, 0x1f8
	s_and_saveexec_b32 s13, s76
.LBB38_46:                              ;   in Loop: Header=BB38_14 Depth=3
	v_cmp_lt_f32_e32 vcc_lo, v22, v14
	v_cndmask_b32_e32 v22, v22, v14, vcc_lo
.LBB38_47:                              ;   in Loop: Header=BB38_14 Depth=3
	s_or_b32 exec_lo, exec_lo, s13
.LBB38_48:                              ;   in Loop: Header=BB38_14 Depth=3
                                        ; implicit-def: $vgpr13
.LBB38_49:                              ;   in Loop: Header=BB38_14 Depth=3
	s_andn2_saveexec_b32 s75, s75
	s_cbranch_execz .LBB38_64
; %bb.50:                               ;   in Loop: Header=BB38_14 Depth=3
	s_mov_b32 s76, exec_lo
	v_cmpx_lt_i32_e64 v12, v36
	s_cbranch_execz .LBB38_63
; %bb.51:                               ;   in Loop: Header=BB38_14 Depth=3
	v_mov_b32_e32 v5, v12
	s_mov_b32 s13, 0
                                        ; implicit-def: $sgpr77
                                        ; implicit-def: $sgpr79
                                        ; implicit-def: $sgpr78
	s_inst_prefetch 0x1
	s_branch .LBB38_53
	.p2align	6
.LBB38_52:                              ;   in Loop: Header=BB38_53 Depth=4
	s_or_b32 exec_lo, exec_lo, s80
	s_and_b32 s80, exec_lo, s79
	s_or_b32 s13, s80, s13
	s_andn2_b32 s77, s77, exec_lo
	s_and_b32 s80, s78, exec_lo
	s_or_b32 s77, s77, s80
	s_andn2_b32 exec_lo, exec_lo, s13
	s_cbranch_execz .LBB38_55
.LBB38_53:                              ;   Parent Loop BB38_5 Depth=1
                                        ;     Parent Loop BB38_9 Depth=2
                                        ;       Parent Loop BB38_14 Depth=3
                                        ; =>      This Inner Loop Header: Depth=4
	v_add_nc_u32_e32 v15, v11, v5
	s_or_b32 s78, s78, exec_lo
	s_or_b32 s79, s79, exec_lo
	s_mov_b32 s80, exec_lo
	v_ashrrev_i32_e32 v16, 31, v15
	v_lshlrev_b64 v[37:38], 2, v[15:16]
	v_add_co_u32 v37, vcc_lo, s20, v37
	v_add_co_ci_u32_e64 v38, null, s21, v38, vcc_lo
	global_load_dword v37, v[37:38], off
	s_waitcnt vmcnt(0)
	v_subrev_nc_u32_e32 v37, s64, v37
	v_cmpx_ne_u32_e64 v37, v3
	s_cbranch_execz .LBB38_52
; %bb.54:                               ;   in Loop: Header=BB38_53 Depth=4
	v_add_nc_u32_e32 v5, 1, v5
	s_andn2_b32 s79, s79, exec_lo
	s_andn2_b32 s78, s78, exec_lo
	v_cmp_ge_i32_e32 vcc_lo, v5, v36
	s_and_b32 s81, vcc_lo, exec_lo
	s_or_b32 s79, s79, s81
	s_branch .LBB38_52
.LBB38_55:                              ;   in Loop: Header=BB38_14 Depth=3
	s_inst_prefetch 0x2
	s_or_b32 exec_lo, exec_lo, s13
	s_and_saveexec_b32 s13, s77
	s_xor_b32 s77, exec_lo, s13
	s_cbranch_execz .LBB38_62
; %bb.56:                               ;   in Loop: Header=BB38_14 Depth=3
	v_lshlrev_b64 v[15:16], 3, v[15:16]
	v_add_co_u32 v37, vcc_lo, s52, v15
	v_add_co_ci_u32_e64 v38, null, s53, v16, vcc_lo
	s_andn2_b32 vcc_lo, exec_lo, s58
	global_store_dwordx2 v[37:38], v[13:14], off
	s_cbranch_vccnz .LBB38_62
; %bb.57:                               ;   in Loop: Header=BB38_14 Depth=3
	v_add_co_u32 v15, vcc_lo, s22, v15
	v_add_co_ci_u32_e64 v16, null, s23, v16, vcc_lo
	s_mov_b32 s13, exec_lo
	global_load_dwordx2 v[15:16], v[15:16], off
	s_waitcnt vmcnt(0)
	v_sub_f32_e32 v5, v15, v13
	v_sub_f32_e32 v15, v16, v14
                                        ; implicit-def: $vgpr14
	v_cmp_gt_f32_e32 vcc_lo, 0, v5
	v_cndmask_b32_e64 v5, v5, -v5, vcc_lo
	v_cmp_gt_f32_e32 vcc_lo, 0, v15
	v_cndmask_b32_e64 v13, v15, -v15, vcc_lo
	v_cmpx_ngt_f32_e32 v5, v13
	s_xor_b32 s78, exec_lo, s13
	s_cbranch_execnz .LBB38_117
; %bb.58:                               ;   in Loop: Header=BB38_14 Depth=3
	s_andn2_saveexec_b32 s78, s78
	s_cbranch_execnz .LBB38_120
.LBB38_59:                              ;   in Loop: Header=BB38_14 Depth=3
	s_or_b32 exec_lo, exec_lo, s78
	v_cmp_class_f32_e64 s78, v14, 0x1f8
	s_and_saveexec_b32 s13, s78
.LBB38_60:                              ;   in Loop: Header=BB38_14 Depth=3
	v_cmp_lt_f32_e32 vcc_lo, v22, v14
	v_cndmask_b32_e32 v22, v22, v14, vcc_lo
.LBB38_61:                              ;   in Loop: Header=BB38_14 Depth=3
	s_or_b32 exec_lo, exec_lo, s13
.LBB38_62:                              ;   in Loop: Header=BB38_14 Depth=3
	s_or_b32 exec_lo, exec_lo, s77
.LBB38_63:                              ;   in Loop: Header=BB38_14 Depth=3
	s_or_b32 exec_lo, exec_lo, s76
.LBB38_64:                              ;   in Loop: Header=BB38_14 Depth=3
	s_or_b32 exec_lo, exec_lo, s75
                                        ; implicit-def: $vgpr13
.LBB38_65:                              ;   in Loop: Header=BB38_14 Depth=3
	s_andn2_saveexec_b32 s74, s74
	s_cbranch_execz .LBB38_80
; %bb.66:                               ;   in Loop: Header=BB38_14 Depth=3
	s_mov_b32 s75, exec_lo
	v_cmpx_lt_i32_e64 v1, v29
	s_cbranch_execz .LBB38_79
; %bb.67:                               ;   in Loop: Header=BB38_14 Depth=3
	v_mov_b32_e32 v5, v1
	s_mov_b32 s13, 0
                                        ; implicit-def: $sgpr76
                                        ; implicit-def: $sgpr78
                                        ; implicit-def: $sgpr77
	s_inst_prefetch 0x1
	s_branch .LBB38_69
	.p2align	6
.LBB38_68:                              ;   in Loop: Header=BB38_69 Depth=4
	s_or_b32 exec_lo, exec_lo, s79
	s_and_b32 s79, exec_lo, s78
	s_or_b32 s13, s79, s13
	s_andn2_b32 s76, s76, exec_lo
	s_and_b32 s79, s77, exec_lo
	s_or_b32 s76, s76, s79
	s_andn2_b32 exec_lo, exec_lo, s13
	s_cbranch_execz .LBB38_71
.LBB38_69:                              ;   Parent Loop BB38_5 Depth=1
                                        ;     Parent Loop BB38_9 Depth=2
                                        ;       Parent Loop BB38_14 Depth=3
                                        ; =>      This Inner Loop Header: Depth=4
	v_add_nc_u32_e32 v15, v6, v5
	s_or_b32 s77, s77, exec_lo
	s_or_b32 s78, s78, exec_lo
	s_mov_b32 s79, exec_lo
	v_ashrrev_i32_e32 v16, 31, v15
	v_lshlrev_b64 v[37:38], 2, v[15:16]
	v_add_co_u32 v37, vcc_lo, s28, v37
	v_add_co_ci_u32_e64 v38, null, s29, v38, vcc_lo
	global_load_dword v37, v[37:38], off
	s_waitcnt vmcnt(0)
	v_subrev_nc_u32_e32 v37, s63, v37
	v_cmpx_ne_u32_e64 v37, v7
	s_cbranch_execz .LBB38_68
; %bb.70:                               ;   in Loop: Header=BB38_69 Depth=4
	v_add_nc_u32_e32 v5, 1, v5
	s_andn2_b32 s78, s78, exec_lo
	s_andn2_b32 s77, s77, exec_lo
	v_cmp_ge_i32_e32 vcc_lo, v5, v29
	s_and_b32 s80, vcc_lo, exec_lo
	s_or_b32 s78, s78, s80
	s_branch .LBB38_68
.LBB38_71:                              ;   in Loop: Header=BB38_14 Depth=3
	s_inst_prefetch 0x2
	s_or_b32 exec_lo, exec_lo, s13
	s_and_saveexec_b32 s13, s76
	s_xor_b32 s76, exec_lo, s13
	s_cbranch_execz .LBB38_78
; %bb.72:                               ;   in Loop: Header=BB38_14 Depth=3
	v_lshlrev_b64 v[15:16], 3, v[15:16]
	v_add_co_u32 v37, vcc_lo, s54, v15
	v_add_co_ci_u32_e64 v38, null, s55, v16, vcc_lo
	s_andn2_b32 vcc_lo, exec_lo, s58
	global_store_dwordx2 v[37:38], v[13:14], off
	s_cbranch_vccnz .LBB38_78
; %bb.73:                               ;   in Loop: Header=BB38_14 Depth=3
	v_add_co_u32 v15, vcc_lo, s30, v15
	v_add_co_ci_u32_e64 v16, null, s31, v16, vcc_lo
	s_mov_b32 s13, exec_lo
	global_load_dwordx2 v[15:16], v[15:16], off
	s_waitcnt vmcnt(0)
	v_sub_f32_e32 v5, v15, v13
	v_sub_f32_e32 v15, v16, v14
                                        ; implicit-def: $vgpr14
	v_cmp_gt_f32_e32 vcc_lo, 0, v5
	v_cndmask_b32_e64 v5, v5, -v5, vcc_lo
	v_cmp_gt_f32_e32 vcc_lo, 0, v15
	v_cndmask_b32_e64 v13, v15, -v15, vcc_lo
	v_cmpx_ngt_f32_e32 v5, v13
	s_xor_b32 s77, exec_lo, s13
	s_cbranch_execnz .LBB38_113
; %bb.74:                               ;   in Loop: Header=BB38_14 Depth=3
	s_andn2_saveexec_b32 s77, s77
	s_cbranch_execnz .LBB38_116
.LBB38_75:                              ;   in Loop: Header=BB38_14 Depth=3
	s_or_b32 exec_lo, exec_lo, s77
	v_cmp_class_f32_e64 s77, v14, 0x1f8
	s_and_saveexec_b32 s13, s77
.LBB38_76:                              ;   in Loop: Header=BB38_14 Depth=3
	v_cmp_lt_f32_e32 vcc_lo, v22, v14
	v_cndmask_b32_e32 v22, v22, v14, vcc_lo
.LBB38_77:                              ;   in Loop: Header=BB38_14 Depth=3
	s_or_b32 exec_lo, exec_lo, s13
.LBB38_78:                              ;   in Loop: Header=BB38_14 Depth=3
	s_or_b32 exec_lo, exec_lo, s76
.LBB38_79:                              ;   in Loop: Header=BB38_14 Depth=3
	s_or_b32 exec_lo, exec_lo, s75
.LBB38_80:                              ;   in Loop: Header=BB38_14 Depth=3
	s_or_b32 exec_lo, exec_lo, s74
	s_or_b32 exec_lo, exec_lo, s73
	s_and_b32 s13, s33, s14
	s_and_saveexec_b32 s14, s13
	s_cbranch_execz .LBB38_13
.LBB38_81:                              ;   in Loop: Header=BB38_14 Depth=3
	s_mov_b32 s13, exec_lo
	v_cmpx_ge_i32_e64 v12, v36
	s_xor_b32 s13, exec_lo, s13
	s_cbranch_execnz .LBB38_88
; %bb.82:                               ;   in Loop: Header=BB38_14 Depth=3
	s_andn2_saveexec_b32 s13, s13
	s_cbranch_execnz .LBB38_102
.LBB38_83:                              ;   in Loop: Header=BB38_14 Depth=3
	s_or_b32 exec_lo, exec_lo, s13
	s_mov_b32 s13, exec_lo
	v_cmpx_eq_u32_e64 v3, v7
	s_cbranch_execz .LBB38_85
.LBB38_84:                              ;   in Loop: Header=BB38_14 Depth=3
	v_lshlrev_b64 v[7:8], 3, v[7:8]
	v_add_co_u32 v7, vcc_lo, s48, v7
	v_add_co_ci_u32_e64 v8, null, s49, v8, vcc_lo
	global_load_dwordx2 v[7:8], v[7:8], off
	s_waitcnt vmcnt(0)
	v_add_f32_e32 v34, v34, v7
	v_add_f32_e32 v35, v35, v8
.LBB38_85:                              ;   in Loop: Header=BB38_14 Depth=3
	s_or_b32 exec_lo, exec_lo, s13
	v_sub_f32_e32 v1, v9, v34
	v_sub_f32_e32 v8, v10, v35
                                        ; implicit-def: $vgpr7
	s_mov_b32 s13, exec_lo
	v_cmp_gt_f32_e32 vcc_lo, 0, v1
	v_cndmask_b32_e64 v1, v1, -v1, vcc_lo
	v_cmp_gt_f32_e32 vcc_lo, 0, v8
	v_cndmask_b32_e64 v5, v8, -v8, vcc_lo
	v_cmpx_ngt_f32_e32 v1, v5
	s_xor_b32 s73, exec_lo, s13
	s_cbranch_execnz .LBB38_93
; %bb.86:                               ;   in Loop: Header=BB38_14 Depth=3
	s_andn2_saveexec_b32 s73, s73
	s_cbranch_execnz .LBB38_96
.LBB38_87:                              ;   in Loop: Header=BB38_14 Depth=3
	s_or_b32 exec_lo, exec_lo, s73
	v_cmp_class_f32_e64 s73, v7, 0x1f8
	s_and_saveexec_b32 s13, s73
	s_cbranch_execz .LBB38_12
	s_branch .LBB38_97
.LBB38_88:                              ;   in Loop: Header=BB38_14 Depth=3
	s_mov_b32 s73, exec_lo
	v_cmpx_lt_i32_e64 v1, v29
	s_cbranch_execz .LBB38_101
; %bb.89:                               ;   in Loop: Header=BB38_14 Depth=3
	s_mov_b32 s75, 0
                                        ; implicit-def: $sgpr74
                                        ; implicit-def: $sgpr77
                                        ; implicit-def: $sgpr76
	s_inst_prefetch 0x1
	s_branch .LBB38_91
	.p2align	6
.LBB38_90:                              ;   in Loop: Header=BB38_91 Depth=4
	s_or_b32 exec_lo, exec_lo, s78
	s_and_b32 s78, exec_lo, s77
	s_or_b32 s75, s78, s75
	s_andn2_b32 s74, s74, exec_lo
	s_and_b32 s78, s76, exec_lo
	s_or_b32 s74, s74, s78
	s_andn2_b32 exec_lo, exec_lo, s75
	s_cbranch_execz .LBB38_98
.LBB38_91:                              ;   Parent Loop BB38_5 Depth=1
                                        ;     Parent Loop BB38_9 Depth=2
                                        ;       Parent Loop BB38_14 Depth=3
                                        ; =>      This Inner Loop Header: Depth=4
	v_add_nc_u32_e32 v11, v6, v1
	s_or_b32 s76, s76, exec_lo
	s_or_b32 s77, s77, exec_lo
	s_mov_b32 s78, exec_lo
	v_ashrrev_i32_e32 v12, 31, v11
	v_lshlrev_b64 v[13:14], 2, v[11:12]
	v_add_co_u32 v13, vcc_lo, s28, v13
	v_add_co_ci_u32_e64 v14, null, s29, v14, vcc_lo
	global_load_dword v5, v[13:14], off
	s_waitcnt vmcnt(0)
	v_subrev_nc_u32_e32 v5, s63, v5
	v_cmpx_ne_u32_e64 v5, v7
	s_cbranch_execz .LBB38_90
; %bb.92:                               ;   in Loop: Header=BB38_91 Depth=4
	v_add_nc_u32_e32 v1, 1, v1
	s_andn2_b32 s77, s77, exec_lo
	s_andn2_b32 s76, s76, exec_lo
	v_cmp_ge_i32_e32 vcc_lo, v1, v29
	s_and_b32 s79, vcc_lo, exec_lo
	s_or_b32 s77, s77, s79
	s_branch .LBB38_90
.LBB38_93:                              ;   in Loop: Header=BB38_14 Depth=3
	v_mov_b32_e32 v7, 0
	s_mov_b32 s74, exec_lo
	v_cmpx_neq_f32_e32 0, v8
	s_cbranch_execz .LBB38_95
; %bb.94:                               ;   in Loop: Header=BB38_14 Depth=3
	v_div_scale_f32 v7, null, v5, v5, v1
	v_div_scale_f32 v10, vcc_lo, v1, v5, v1
	v_rcp_f32_e32 v8, v7
	v_fma_f32 v9, -v7, v8, 1.0
	v_fmac_f32_e32 v8, v9, v8
	v_mul_f32_e32 v9, v10, v8
	v_fma_f32 v11, -v7, v9, v10
	v_fmac_f32_e32 v9, v11, v8
	v_fma_f32 v7, -v7, v9, v10
	v_div_fmas_f32 v7, v7, v8, v9
	v_div_fixup_f32 v1, v7, v5, v1
	v_fma_f32 v1, v1, v1, 1.0
	v_mul_f32_e32 v7, 0x4f800000, v1
	v_cmp_gt_f32_e32 vcc_lo, 0xf800000, v1
	v_cndmask_b32_e32 v1, v1, v7, vcc_lo
	v_sqrt_f32_e32 v7, v1
	v_add_nc_u32_e32 v8, -1, v7
	v_add_nc_u32_e32 v9, 1, v7
	v_fma_f32 v10, -v8, v7, v1
	v_fma_f32 v11, -v9, v7, v1
	v_cmp_ge_f32_e64 s13, 0, v10
	v_cndmask_b32_e64 v7, v7, v8, s13
	v_cmp_lt_f32_e64 s13, 0, v11
	v_cndmask_b32_e64 v7, v7, v9, s13
	v_mul_f32_e32 v8, 0x37800000, v7
	v_cndmask_b32_e32 v7, v7, v8, vcc_lo
	v_cmp_class_f32_e64 vcc_lo, v1, 0x260
	v_cndmask_b32_e32 v1, v7, v1, vcc_lo
	v_mul_f32_e32 v7, v5, v1
.LBB38_95:                              ;   in Loop: Header=BB38_14 Depth=3
	s_or_b32 exec_lo, exec_lo, s74
                                        ; implicit-def: $vgpr1
                                        ; implicit-def: $vgpr5
	s_andn2_saveexec_b32 s73, s73
	s_cbranch_execz .LBB38_87
.LBB38_96:                              ;   in Loop: Header=BB38_14 Depth=3
	v_div_scale_f32 v7, null, v1, v1, v5
	v_div_scale_f32 v10, vcc_lo, v5, v1, v5
	v_rcp_f32_e32 v8, v7
	v_fma_f32 v9, -v7, v8, 1.0
	v_fmac_f32_e32 v8, v9, v8
	v_mul_f32_e32 v9, v10, v8
	v_fma_f32 v11, -v7, v9, v10
	v_fmac_f32_e32 v9, v11, v8
	v_fma_f32 v7, -v7, v9, v10
	v_div_fmas_f32 v7, v7, v8, v9
	v_div_fixup_f32 v5, v7, v1, v5
	v_fma_f32 v5, v5, v5, 1.0
	v_mul_f32_e32 v7, 0x4f800000, v5
	v_cmp_gt_f32_e32 vcc_lo, 0xf800000, v5
	v_cndmask_b32_e32 v5, v5, v7, vcc_lo
	v_sqrt_f32_e32 v7, v5
	v_add_nc_u32_e32 v8, -1, v7
	v_add_nc_u32_e32 v9, 1, v7
	v_fma_f32 v10, -v8, v7, v5
	v_fma_f32 v11, -v9, v7, v5
	v_cmp_ge_f32_e64 s13, 0, v10
	v_cndmask_b32_e64 v7, v7, v8, s13
	v_cmp_lt_f32_e64 s13, 0, v11
	v_cndmask_b32_e64 v7, v7, v9, s13
	v_mul_f32_e32 v8, 0x37800000, v7
	v_cndmask_b32_e32 v7, v7, v8, vcc_lo
	v_cmp_class_f32_e64 vcc_lo, v5, 0x260
	v_cndmask_b32_e32 v5, v7, v5, vcc_lo
	v_mul_f32_e32 v7, v1, v5
	s_or_b32 exec_lo, exec_lo, s73
	v_cmp_class_f32_e64 s73, v7, 0x1f8
	s_and_saveexec_b32 s13, s73
	s_cbranch_execz .LBB38_12
.LBB38_97:                              ;   in Loop: Header=BB38_14 Depth=3
	v_cmp_lt_f32_e32 vcc_lo, v18, v7
	v_cndmask_b32_e32 v18, v18, v7, vcc_lo
	s_branch .LBB38_12
.LBB38_98:                              ;   in Loop: Header=BB38_14 Depth=3
	s_inst_prefetch 0x2
	s_or_b32 exec_lo, exec_lo, s75
	s_and_saveexec_b32 s75, s74
	s_xor_b32 s74, exec_lo, s75
	s_cbranch_execz .LBB38_100
; %bb.99:                               ;   in Loop: Header=BB38_14 Depth=3
	v_lshlrev_b64 v[11:12], 3, v[11:12]
	v_lshlrev_b64 v[13:14], 3, v[7:8]
	v_add_co_u32 v11, vcc_lo, s30, v11
	v_add_co_ci_u32_e64 v12, null, s31, v12, vcc_lo
	v_add_co_u32 v13, vcc_lo, s48, v13
	v_add_co_ci_u32_e64 v14, null, s49, v14, vcc_lo
	global_load_dwordx2 v[11:12], v[11:12], off
	global_load_dwordx2 v[13:14], v[13:14], off
	s_waitcnt vmcnt(0)
	v_mul_f32_e64 v1, v14, -v12
	v_mul_f32_e32 v5, v14, v11
	v_fmac_f32_e32 v1, v11, v13
	v_fmac_f32_e32 v5, v12, v13
	v_add_f32_e32 v34, v34, v1
	v_add_f32_e32 v35, v35, v5
.LBB38_100:                             ;   in Loop: Header=BB38_14 Depth=3
	s_or_b32 exec_lo, exec_lo, s74
.LBB38_101:                             ;   in Loop: Header=BB38_14 Depth=3
	s_or_b32 exec_lo, exec_lo, s73
                                        ; implicit-def: $vgpr12
                                        ; implicit-def: $vgpr11
                                        ; implicit-def: $vgpr36
	s_andn2_saveexec_b32 s13, s13
	s_cbranch_execz .LBB38_83
.LBB38_102:                             ;   in Loop: Header=BB38_14 Depth=3
	s_mov_b32 s74, 0
                                        ; implicit-def: $sgpr73
                                        ; implicit-def: $sgpr76
                                        ; implicit-def: $sgpr75
	s_inst_prefetch 0x1
	s_branch .LBB38_104
	.p2align	6
.LBB38_103:                             ;   in Loop: Header=BB38_104 Depth=4
	s_or_b32 exec_lo, exec_lo, s77
	s_and_b32 s77, exec_lo, s76
	s_or_b32 s74, s77, s74
	s_andn2_b32 s73, s73, exec_lo
	s_and_b32 s77, s75, exec_lo
	s_or_b32 s73, s73, s77
	s_andn2_b32 exec_lo, exec_lo, s74
	s_cbranch_execz .LBB38_106
.LBB38_104:                             ;   Parent Loop BB38_5 Depth=1
                                        ;     Parent Loop BB38_9 Depth=2
                                        ;       Parent Loop BB38_14 Depth=3
                                        ; =>      This Inner Loop Header: Depth=4
	v_add_nc_u32_e32 v13, v11, v12
	s_or_b32 s75, s75, exec_lo
	s_or_b32 s76, s76, exec_lo
	s_mov_b32 s77, exec_lo
	v_ashrrev_i32_e32 v14, 31, v13
	v_lshlrev_b64 v[15:16], 2, v[13:14]
	v_add_co_u32 v15, vcc_lo, s20, v15
	v_add_co_ci_u32_e64 v16, null, s21, v16, vcc_lo
	global_load_dword v1, v[15:16], off
	s_waitcnt vmcnt(0)
	v_subrev_nc_u32_e32 v1, s64, v1
	v_cmpx_ne_u32_e64 v1, v3
	s_cbranch_execz .LBB38_103
; %bb.105:                              ;   in Loop: Header=BB38_104 Depth=4
	v_add_nc_u32_e32 v12, 1, v12
	s_andn2_b32 s76, s76, exec_lo
	s_andn2_b32 s75, s75, exec_lo
	v_cmp_ge_i32_e32 vcc_lo, v12, v36
	s_and_b32 s78, vcc_lo, exec_lo
	s_or_b32 s76, s76, s78
	s_branch .LBB38_103
.LBB38_106:                             ;   in Loop: Header=BB38_14 Depth=3
	s_inst_prefetch 0x2
	s_or_b32 exec_lo, exec_lo, s74
	s_and_saveexec_b32 s74, s73
	s_xor_b32 s73, exec_lo, s74
	s_cbranch_execz .LBB38_108
; %bb.107:                              ;   in Loop: Header=BB38_14 Depth=3
	v_lshlrev_b64 v[11:12], 3, v[13:14]
	v_add_co_u32 v11, vcc_lo, s22, v11
	v_add_co_ci_u32_e64 v12, null, s23, v12, vcc_lo
	global_load_dwordx2 v[11:12], v[11:12], off
	s_waitcnt vmcnt(0)
	v_add_f32_e32 v34, v34, v11
	v_add_f32_e32 v35, v35, v12
.LBB38_108:                             ;   in Loop: Header=BB38_14 Depth=3
	s_or_b32 exec_lo, exec_lo, s73
	s_or_b32 exec_lo, exec_lo, s13
	s_mov_b32 s13, exec_lo
	v_cmpx_eq_u32_e64 v3, v7
	s_cbranch_execnz .LBB38_84
	s_branch .LBB38_85
.LBB38_109:                             ;   in Loop: Header=BB38_14 Depth=3
	v_mov_b32_e32 v14, 0
	s_mov_b32 s77, exec_lo
	v_cmpx_neq_f32_e32 0, v15
	s_cbranch_execz .LBB38_111
; %bb.110:                              ;   in Loop: Header=BB38_14 Depth=3
	v_div_scale_f32 v14, null, v13, v13, v5
	v_div_scale_f32 v37, vcc_lo, v5, v13, v5
	v_rcp_f32_e32 v15, v14
	v_fma_f32 v16, -v14, v15, 1.0
	v_fmac_f32_e32 v15, v16, v15
	v_mul_f32_e32 v16, v37, v15
	v_fma_f32 v38, -v14, v16, v37
	v_fmac_f32_e32 v16, v38, v15
	v_fma_f32 v14, -v14, v16, v37
	v_div_fmas_f32 v14, v14, v15, v16
	v_div_fixup_f32 v5, v14, v13, v5
	v_fma_f32 v5, v5, v5, 1.0
	v_mul_f32_e32 v14, 0x4f800000, v5
	v_cmp_gt_f32_e32 vcc_lo, 0xf800000, v5
	v_cndmask_b32_e32 v5, v5, v14, vcc_lo
	v_sqrt_f32_e32 v14, v5
	v_add_nc_u32_e32 v15, -1, v14
	v_add_nc_u32_e32 v16, 1, v14
	v_fma_f32 v37, -v15, v14, v5
	v_fma_f32 v38, -v16, v14, v5
	v_cmp_ge_f32_e64 s13, 0, v37
	v_cndmask_b32_e64 v14, v14, v15, s13
	v_cmp_lt_f32_e64 s13, 0, v38
	v_cndmask_b32_e64 v14, v14, v16, s13
	v_mul_f32_e32 v15, 0x37800000, v14
	v_cndmask_b32_e32 v14, v14, v15, vcc_lo
	v_cmp_class_f32_e64 vcc_lo, v5, 0x260
	v_cndmask_b32_e32 v5, v14, v5, vcc_lo
	v_mul_f32_e32 v14, v13, v5
.LBB38_111:                             ;   in Loop: Header=BB38_14 Depth=3
	s_or_b32 exec_lo, exec_lo, s77
                                        ; implicit-def: $vgpr5
                                        ; implicit-def: $vgpr13
	s_andn2_saveexec_b32 s76, s76
	s_cbranch_execz .LBB38_45
.LBB38_112:                             ;   in Loop: Header=BB38_14 Depth=3
	v_div_scale_f32 v14, null, v5, v5, v13
	v_div_scale_f32 v37, vcc_lo, v13, v5, v13
	v_rcp_f32_e32 v15, v14
	v_fma_f32 v16, -v14, v15, 1.0
	v_fmac_f32_e32 v15, v16, v15
	v_mul_f32_e32 v16, v37, v15
	v_fma_f32 v38, -v14, v16, v37
	v_fmac_f32_e32 v16, v38, v15
	v_fma_f32 v14, -v14, v16, v37
	v_div_fmas_f32 v14, v14, v15, v16
	v_div_fixup_f32 v13, v14, v5, v13
	v_fma_f32 v13, v13, v13, 1.0
	v_mul_f32_e32 v14, 0x4f800000, v13
	v_cmp_gt_f32_e32 vcc_lo, 0xf800000, v13
	v_cndmask_b32_e32 v13, v13, v14, vcc_lo
	v_sqrt_f32_e32 v14, v13
	v_add_nc_u32_e32 v15, -1, v14
	v_add_nc_u32_e32 v16, 1, v14
	v_fma_f32 v37, -v15, v14, v13
	v_fma_f32 v38, -v16, v14, v13
	v_cmp_ge_f32_e64 s13, 0, v37
	v_cndmask_b32_e64 v14, v14, v15, s13
	v_cmp_lt_f32_e64 s13, 0, v38
	v_cndmask_b32_e64 v14, v14, v16, s13
	v_mul_f32_e32 v15, 0x37800000, v14
	v_cndmask_b32_e32 v14, v14, v15, vcc_lo
	v_cmp_class_f32_e64 vcc_lo, v13, 0x260
	v_cndmask_b32_e32 v13, v14, v13, vcc_lo
	v_mul_f32_e32 v14, v5, v13
	s_or_b32 exec_lo, exec_lo, s76
	v_cmp_class_f32_e64 s76, v14, 0x1f8
	s_and_saveexec_b32 s13, s76
	s_cbranch_execnz .LBB38_46
	s_branch .LBB38_47
.LBB38_113:                             ;   in Loop: Header=BB38_14 Depth=3
	v_mov_b32_e32 v14, 0
	s_mov_b32 s78, exec_lo
	v_cmpx_neq_f32_e32 0, v15
	s_cbranch_execz .LBB38_115
; %bb.114:                              ;   in Loop: Header=BB38_14 Depth=3
	v_div_scale_f32 v14, null, v13, v13, v5
	v_div_scale_f32 v37, vcc_lo, v5, v13, v5
	v_rcp_f32_e32 v15, v14
	v_fma_f32 v16, -v14, v15, 1.0
	v_fmac_f32_e32 v15, v16, v15
	v_mul_f32_e32 v16, v37, v15
	v_fma_f32 v38, -v14, v16, v37
	v_fmac_f32_e32 v16, v38, v15
	v_fma_f32 v14, -v14, v16, v37
	v_div_fmas_f32 v14, v14, v15, v16
	v_div_fixup_f32 v5, v14, v13, v5
	v_fma_f32 v5, v5, v5, 1.0
	v_mul_f32_e32 v14, 0x4f800000, v5
	v_cmp_gt_f32_e32 vcc_lo, 0xf800000, v5
	v_cndmask_b32_e32 v5, v5, v14, vcc_lo
	v_sqrt_f32_e32 v14, v5
	v_add_nc_u32_e32 v15, -1, v14
	v_add_nc_u32_e32 v16, 1, v14
	v_fma_f32 v37, -v15, v14, v5
	v_fma_f32 v38, -v16, v14, v5
	v_cmp_ge_f32_e64 s13, 0, v37
	v_cndmask_b32_e64 v14, v14, v15, s13
	v_cmp_lt_f32_e64 s13, 0, v38
	v_cndmask_b32_e64 v14, v14, v16, s13
	v_mul_f32_e32 v15, 0x37800000, v14
	v_cndmask_b32_e32 v14, v14, v15, vcc_lo
	v_cmp_class_f32_e64 vcc_lo, v5, 0x260
	v_cndmask_b32_e32 v5, v14, v5, vcc_lo
	v_mul_f32_e32 v14, v13, v5
.LBB38_115:                             ;   in Loop: Header=BB38_14 Depth=3
	s_or_b32 exec_lo, exec_lo, s78
                                        ; implicit-def: $vgpr5
                                        ; implicit-def: $vgpr13
	s_andn2_saveexec_b32 s77, s77
	s_cbranch_execz .LBB38_75
.LBB38_116:                             ;   in Loop: Header=BB38_14 Depth=3
	v_div_scale_f32 v14, null, v5, v5, v13
	v_div_scale_f32 v37, vcc_lo, v13, v5, v13
	v_rcp_f32_e32 v15, v14
	v_fma_f32 v16, -v14, v15, 1.0
	v_fmac_f32_e32 v15, v16, v15
	v_mul_f32_e32 v16, v37, v15
	v_fma_f32 v38, -v14, v16, v37
	v_fmac_f32_e32 v16, v38, v15
	v_fma_f32 v14, -v14, v16, v37
	v_div_fmas_f32 v14, v14, v15, v16
	v_div_fixup_f32 v13, v14, v5, v13
	v_fma_f32 v13, v13, v13, 1.0
	v_mul_f32_e32 v14, 0x4f800000, v13
	v_cmp_gt_f32_e32 vcc_lo, 0xf800000, v13
	v_cndmask_b32_e32 v13, v13, v14, vcc_lo
	v_sqrt_f32_e32 v14, v13
	v_add_nc_u32_e32 v15, -1, v14
	v_add_nc_u32_e32 v16, 1, v14
	v_fma_f32 v37, -v15, v14, v13
	v_fma_f32 v38, -v16, v14, v13
	v_cmp_ge_f32_e64 s13, 0, v37
	v_cndmask_b32_e64 v14, v14, v15, s13
	v_cmp_lt_f32_e64 s13, 0, v38
	v_cndmask_b32_e64 v14, v14, v16, s13
	v_mul_f32_e32 v15, 0x37800000, v14
	v_cndmask_b32_e32 v14, v14, v15, vcc_lo
	v_cmp_class_f32_e64 vcc_lo, v13, 0x260
	v_cndmask_b32_e32 v13, v14, v13, vcc_lo
	v_mul_f32_e32 v14, v5, v13
	s_or_b32 exec_lo, exec_lo, s77
	v_cmp_class_f32_e64 s77, v14, 0x1f8
	s_and_saveexec_b32 s13, s77
	s_cbranch_execnz .LBB38_76
	s_branch .LBB38_77
.LBB38_117:                             ;   in Loop: Header=BB38_14 Depth=3
	v_mov_b32_e32 v14, 0
	s_mov_b32 s79, exec_lo
	v_cmpx_neq_f32_e32 0, v15
	s_cbranch_execz .LBB38_119
; %bb.118:                              ;   in Loop: Header=BB38_14 Depth=3
	v_div_scale_f32 v14, null, v13, v13, v5
	v_div_scale_f32 v37, vcc_lo, v5, v13, v5
	v_rcp_f32_e32 v15, v14
	v_fma_f32 v16, -v14, v15, 1.0
	v_fmac_f32_e32 v15, v16, v15
	v_mul_f32_e32 v16, v37, v15
	v_fma_f32 v38, -v14, v16, v37
	v_fmac_f32_e32 v16, v38, v15
	v_fma_f32 v14, -v14, v16, v37
	v_div_fmas_f32 v14, v14, v15, v16
	v_div_fixup_f32 v5, v14, v13, v5
	v_fma_f32 v5, v5, v5, 1.0
	v_mul_f32_e32 v14, 0x4f800000, v5
	v_cmp_gt_f32_e32 vcc_lo, 0xf800000, v5
	v_cndmask_b32_e32 v5, v5, v14, vcc_lo
	v_sqrt_f32_e32 v14, v5
	v_add_nc_u32_e32 v15, -1, v14
	v_add_nc_u32_e32 v16, 1, v14
	v_fma_f32 v37, -v15, v14, v5
	v_fma_f32 v38, -v16, v14, v5
	v_cmp_ge_f32_e64 s13, 0, v37
	v_cndmask_b32_e64 v14, v14, v15, s13
	v_cmp_lt_f32_e64 s13, 0, v38
	v_cndmask_b32_e64 v14, v14, v16, s13
	v_mul_f32_e32 v15, 0x37800000, v14
	v_cndmask_b32_e32 v14, v14, v15, vcc_lo
	v_cmp_class_f32_e64 vcc_lo, v5, 0x260
	v_cndmask_b32_e32 v5, v14, v5, vcc_lo
	v_mul_f32_e32 v14, v13, v5
.LBB38_119:                             ;   in Loop: Header=BB38_14 Depth=3
	s_or_b32 exec_lo, exec_lo, s79
                                        ; implicit-def: $vgpr5
                                        ; implicit-def: $vgpr13
	s_andn2_saveexec_b32 s78, s78
	s_cbranch_execz .LBB38_59
.LBB38_120:                             ;   in Loop: Header=BB38_14 Depth=3
	v_div_scale_f32 v14, null, v5, v5, v13
	v_div_scale_f32 v37, vcc_lo, v13, v5, v13
	v_rcp_f32_e32 v15, v14
	v_fma_f32 v16, -v14, v15, 1.0
	v_fmac_f32_e32 v15, v16, v15
	v_mul_f32_e32 v16, v37, v15
	v_fma_f32 v38, -v14, v16, v37
	v_fmac_f32_e32 v16, v38, v15
	v_fma_f32 v14, -v14, v16, v37
	v_div_fmas_f32 v14, v14, v15, v16
	v_div_fixup_f32 v13, v14, v5, v13
	v_fma_f32 v13, v13, v13, 1.0
	v_mul_f32_e32 v14, 0x4f800000, v13
	v_cmp_gt_f32_e32 vcc_lo, 0xf800000, v13
	v_cndmask_b32_e32 v13, v13, v14, vcc_lo
	v_sqrt_f32_e32 v14, v13
	v_add_nc_u32_e32 v15, -1, v14
	v_add_nc_u32_e32 v16, 1, v14
	v_fma_f32 v37, -v15, v14, v13
	v_fma_f32 v38, -v16, v14, v13
	v_cmp_ge_f32_e64 s13, 0, v37
	v_cndmask_b32_e64 v14, v14, v15, s13
	v_cmp_lt_f32_e64 s13, 0, v38
	v_cndmask_b32_e64 v14, v14, v16, s13
	v_mul_f32_e32 v15, 0x37800000, v14
	v_cndmask_b32_e32 v14, v14, v15, vcc_lo
	v_cmp_class_f32_e64 vcc_lo, v13, 0x260
	v_cndmask_b32_e32 v13, v14, v13, vcc_lo
	v_mul_f32_e32 v14, v5, v13
	s_or_b32 exec_lo, exec_lo, s78
	v_cmp_class_f32_e64 s78, v14, 0x1f8
	s_and_saveexec_b32 s13, s78
	s_cbranch_execnz .LBB38_60
	s_branch .LBB38_61
.LBB38_121:                             ;   in Loop: Header=BB38_5 Depth=1
	v_xor_b32_e32 v4, 4, v21
	v_xor_b32_e32 v3, 2, v21
	;; [unrolled: 1-line block ×3, first 2 shown]
	s_and_b32 vcc_lo, exec_lo, s58
	s_cbranch_vccnz .LBB38_124
; %bb.122:                              ;   in Loop: Header=BB38_5 Depth=1
	s_andn2_b32 vcc_lo, exec_lo, s33
	s_cbranch_vccz .LBB38_141
.LBB38_123:                             ;   in Loop: Header=BB38_5 Depth=1
	s_and_saveexec_b32 s13, s9
	s_cbranch_execnz .LBB38_158
	s_branch .LBB38_169
.LBB38_124:                             ;   in Loop: Header=BB38_5 Depth=1
	v_cmp_gt_i32_e32 vcc_lo, 32, v4
	v_cndmask_b32_e32 v5, v21, v4, vcc_lo
	v_cmp_gt_i32_e32 vcc_lo, 32, v3
	v_lshlrev_b32_e32 v5, 2, v5
	v_cndmask_b32_e32 v6, v21, v3, vcc_lo
	ds_bpermute_b32 v5, v5, v22
	v_lshlrev_b32_e32 v6, 2, v6
	s_waitcnt lgkmcnt(0)
	v_cmp_lt_f32_e32 vcc_lo, v22, v5
	v_cndmask_b32_e32 v5, v22, v5, vcc_lo
	v_cmp_gt_i32_e32 vcc_lo, 32, v1
	ds_bpermute_b32 v6, v6, v5
	v_cndmask_b32_e32 v7, v21, v1, vcc_lo
	s_waitcnt lgkmcnt(0)
	v_cmp_lt_f32_e32 vcc_lo, v5, v6
	v_cndmask_b32_e32 v5, v5, v6, vcc_lo
	v_lshlrev_b32_e32 v6, 2, v7
	ds_bpermute_b32 v6, v6, v5
	s_and_saveexec_b32 s12, s0
	s_cbranch_execz .LBB38_126
; %bb.125:                              ;   in Loop: Header=BB38_5 Depth=1
	s_waitcnt lgkmcnt(0)
	v_cmp_lt_f32_e32 vcc_lo, v5, v6
	v_cndmask_b32_e32 v5, v5, v6, vcc_lo
	ds_write_b32 v24, v5
.LBB38_126:                             ;   in Loop: Header=BB38_5 Depth=1
	s_or_b32 exec_lo, exec_lo, s12
	s_waitcnt lgkmcnt(0)
	s_waitcnt_vscnt null, 0x0
	s_barrier
	buffer_gl0_inv
	s_and_saveexec_b32 s12, s1
	s_cbranch_execz .LBB38_128
; %bb.127:                              ;   in Loop: Header=BB38_5 Depth=1
	ds_read2st64_b32 v[5:6], v17 offset1:1
	s_waitcnt lgkmcnt(0)
	v_cmp_lt_f32_e32 vcc_lo, v5, v6
	v_cndmask_b32_e32 v5, v5, v6, vcc_lo
	ds_write_b32 v17, v5
.LBB38_128:                             ;   in Loop: Header=BB38_5 Depth=1
	s_or_b32 exec_lo, exec_lo, s12
	s_waitcnt lgkmcnt(0)
	s_barrier
	buffer_gl0_inv
	s_and_saveexec_b32 s12, s2
	s_cbranch_execz .LBB38_130
; %bb.129:                              ;   in Loop: Header=BB38_5 Depth=1
	ds_read2_b32 v[5:6], v17 offset1:32
	s_waitcnt lgkmcnt(0)
	v_cmp_lt_f32_e32 vcc_lo, v5, v6
	v_cndmask_b32_e32 v5, v5, v6, vcc_lo
	ds_write_b32 v17, v5
.LBB38_130:                             ;   in Loop: Header=BB38_5 Depth=1
	s_or_b32 exec_lo, exec_lo, s12
	s_waitcnt lgkmcnt(0)
	s_barrier
	buffer_gl0_inv
	s_and_saveexec_b32 s12, s3
	s_cbranch_execz .LBB38_132
; %bb.131:                              ;   in Loop: Header=BB38_5 Depth=1
	ds_read2_b32 v[5:6], v17 offset1:16
	s_waitcnt lgkmcnt(0)
	v_cmp_lt_f32_e32 vcc_lo, v5, v6
	v_cndmask_b32_e32 v5, v5, v6, vcc_lo
	ds_write_b32 v17, v5
.LBB38_132:                             ;   in Loop: Header=BB38_5 Depth=1
	;; [unrolled: 13-line block ×5, first 2 shown]
	s_or_b32 exec_lo, exec_lo, s12
	s_waitcnt lgkmcnt(0)
	s_barrier
	buffer_gl0_inv
	s_and_saveexec_b32 s12, s10
	s_cbranch_execz .LBB38_140
; %bb.139:                              ;   in Loop: Header=BB38_5 Depth=1
	ds_read_b64 v[5:6], v2
	s_waitcnt lgkmcnt(0)
	v_cmp_lt_f32_e32 vcc_lo, v5, v6
	v_cndmask_b32_e32 v5, v5, v6, vcc_lo
	ds_write_b32 v2, v5
.LBB38_140:                             ;   in Loop: Header=BB38_5 Depth=1
	s_or_b32 exec_lo, exec_lo, s12
	s_waitcnt lgkmcnt(0)
	s_barrier
	buffer_gl0_inv
	ds_read_b32 v5, v2
	s_load_dword s12, s[56:57], 0x0
	s_waitcnt lgkmcnt(0)
	v_div_scale_f32 v6, null, s12, s12, v5
	v_rcp_f32_e32 v7, v6
	v_fma_f32 v8, -v6, v7, 1.0
	v_fmac_f32_e32 v7, v8, v7
	v_div_scale_f32 v8, vcc_lo, v5, s12, v5
	v_mul_f32_e32 v9, v8, v7
	v_fma_f32 v10, -v6, v9, v8
	v_fmac_f32_e32 v9, v10, v7
	v_fma_f32 v6, -v6, v9, v8
	v_div_fmas_f32 v6, v6, v7, v9
	v_div_fixup_f32 v22, v6, s12, v5
	s_andn2_b32 vcc_lo, exec_lo, s33
	s_cbranch_vccnz .LBB38_123
.LBB38_141:                             ;   in Loop: Header=BB38_5 Depth=1
	v_cmp_gt_i32_e32 vcc_lo, 32, v4
	v_cndmask_b32_e32 v4, v21, v4, vcc_lo
	v_cmp_gt_i32_e32 vcc_lo, 32, v3
	v_lshlrev_b32_e32 v4, 2, v4
	v_cndmask_b32_e32 v3, v21, v3, vcc_lo
	ds_bpermute_b32 v4, v4, v18
	v_lshlrev_b32_e32 v3, 2, v3
	s_waitcnt lgkmcnt(0)
	v_cmp_lt_f32_e32 vcc_lo, v18, v4
	v_cndmask_b32_e32 v4, v18, v4, vcc_lo
	v_cmp_gt_i32_e32 vcc_lo, 32, v1
	ds_bpermute_b32 v3, v3, v4
	v_cndmask_b32_e32 v5, v21, v1, vcc_lo
	s_waitcnt lgkmcnt(0)
	v_cmp_lt_f32_e32 vcc_lo, v4, v3
	v_cndmask_b32_e32 v1, v4, v3, vcc_lo
	v_lshlrev_b32_e32 v3, 2, v5
	ds_bpermute_b32 v3, v3, v1
	s_and_saveexec_b32 s12, s0
	s_cbranch_execz .LBB38_143
; %bb.142:                              ;   in Loop: Header=BB38_5 Depth=1
	s_waitcnt lgkmcnt(0)
	v_cmp_lt_f32_e32 vcc_lo, v1, v3
	v_cndmask_b32_e32 v1, v1, v3, vcc_lo
	ds_write_b32 v24, v1
.LBB38_143:                             ;   in Loop: Header=BB38_5 Depth=1
	s_or_b32 exec_lo, exec_lo, s12
	s_waitcnt lgkmcnt(0)
	s_waitcnt_vscnt null, 0x0
	s_barrier
	buffer_gl0_inv
	s_and_saveexec_b32 s12, s1
	s_cbranch_execz .LBB38_145
; %bb.144:                              ;   in Loop: Header=BB38_5 Depth=1
	ds_read2st64_b32 v[3:4], v17 offset1:1
	s_waitcnt lgkmcnt(0)
	v_cmp_lt_f32_e32 vcc_lo, v3, v4
	v_cndmask_b32_e32 v1, v3, v4, vcc_lo
	ds_write_b32 v17, v1
.LBB38_145:                             ;   in Loop: Header=BB38_5 Depth=1
	s_or_b32 exec_lo, exec_lo, s12
	s_waitcnt lgkmcnt(0)
	s_barrier
	buffer_gl0_inv
	s_and_saveexec_b32 s12, s2
	s_cbranch_execz .LBB38_147
; %bb.146:                              ;   in Loop: Header=BB38_5 Depth=1
	ds_read2_b32 v[3:4], v17 offset1:32
	s_waitcnt lgkmcnt(0)
	v_cmp_lt_f32_e32 vcc_lo, v3, v4
	v_cndmask_b32_e32 v1, v3, v4, vcc_lo
	ds_write_b32 v17, v1
.LBB38_147:                             ;   in Loop: Header=BB38_5 Depth=1
	s_or_b32 exec_lo, exec_lo, s12
	s_waitcnt lgkmcnt(0)
	s_barrier
	buffer_gl0_inv
	s_and_saveexec_b32 s12, s3
	s_cbranch_execz .LBB38_149
; %bb.148:                              ;   in Loop: Header=BB38_5 Depth=1
	ds_read2_b32 v[3:4], v17 offset1:16
	s_waitcnt lgkmcnt(0)
	v_cmp_lt_f32_e32 vcc_lo, v3, v4
	v_cndmask_b32_e32 v1, v3, v4, vcc_lo
	ds_write_b32 v17, v1
.LBB38_149:                             ;   in Loop: Header=BB38_5 Depth=1
	;; [unrolled: 13-line block ×5, first 2 shown]
	s_or_b32 exec_lo, exec_lo, s12
	s_waitcnt lgkmcnt(0)
	s_barrier
	buffer_gl0_inv
	s_and_saveexec_b32 s12, s10
	s_cbranch_execz .LBB38_157
; %bb.156:                              ;   in Loop: Header=BB38_5 Depth=1
	ds_read_b64 v[3:4], v2
	s_waitcnt lgkmcnt(0)
	v_cmp_lt_f32_e32 vcc_lo, v3, v4
	v_cndmask_b32_e32 v1, v3, v4, vcc_lo
	ds_write_b32 v2, v1
.LBB38_157:                             ;   in Loop: Header=BB38_5 Depth=1
	s_or_b32 exec_lo, exec_lo, s12
	s_waitcnt lgkmcnt(0)
	s_barrier
	buffer_gl0_inv
	ds_read_b32 v1, v2
	s_load_dword s12, s[56:57], 0x0
	s_waitcnt lgkmcnt(0)
	v_div_scale_f32 v3, null, s12, s12, v1
	v_rcp_f32_e32 v4, v3
	v_fma_f32 v5, -v3, v4, 1.0
	v_fmac_f32_e32 v4, v5, v4
	v_div_scale_f32 v5, vcc_lo, v1, s12, v1
	v_mul_f32_e32 v6, v5, v4
	v_fma_f32 v7, -v3, v6, v5
	v_fmac_f32_e32 v6, v7, v4
	v_fma_f32 v3, -v3, v6, v5
	v_div_fmas_f32 v3, v3, v4, v6
	v_div_fixup_f32 v18, v3, s12, v1
	s_and_saveexec_b32 s13, s9
	s_cbranch_execz .LBB38_169
.LBB38_158:                             ;   in Loop: Header=BB38_5 Depth=1
	v_mov_b32_e32 v3, v23
	s_mov_b32 s14, 0
	s_branch .LBB38_160
.LBB38_159:                             ;   in Loop: Header=BB38_160 Depth=2
	s_or_b32 exec_lo, exec_lo, s69
	v_add_nc_u32_e32 v3, 0x80, v3
	v_cmp_le_u32_e32 vcc_lo, s65, v3
	s_or_b32 s14, vcc_lo, s14
	s_andn2_b32 exec_lo, exec_lo, s14
	s_cbranch_execz .LBB38_169
.LBB38_160:                             ;   Parent Loop BB38_5 Depth=1
                                        ; =>  This Loop Header: Depth=2
                                        ;       Child Loop BB38_163 Depth 3
                                        ;       Child Loop BB38_166 Depth 3
	s_mov_b32 s69, exec_lo
	v_cmpx_gt_i32_e64 s35, v3
	s_cbranch_execz .LBB38_159
; %bb.161:                              ;   in Loop: Header=BB38_160 Depth=2
	v_ashrrev_i32_e32 v4, 31, v3
	s_mov_b32 s70, exec_lo
	v_lshlrev_b64 v[5:6], 2, v[3:4]
	v_add_co_u32 v7, vcc_lo, s24, v5
	v_add_co_ci_u32_e64 v8, null, s25, v6, vcc_lo
	v_add_co_u32 v9, vcc_lo, s26, v5
	v_add_co_ci_u32_e64 v10, null, s27, v6, vcc_lo
	global_load_dword v1, v[7:8], off
	global_load_dword v8, v[9:10], off
	s_waitcnt vmcnt(1)
	v_add_nc_u32_e32 v7, v26, v1
	s_waitcnt vmcnt(0)
	v_subrev_nc_u32_e32 v1, s63, v8
	v_cmpx_lt_i32_e64 v7, v1
	s_cbranch_execz .LBB38_164
; %bb.162:                              ;   in Loop: Header=BB38_160 Depth=2
	v_ashrrev_i32_e32 v8, 31, v7
	s_mov_b32 s71, 0
	v_lshlrev_b64 v[10:11], 3, v[7:8]
	v_add_co_u32 v8, vcc_lo, s54, v10
	v_add_co_ci_u32_e64 v9, null, s55, v11, vcc_lo
	v_add_co_u32 v10, vcc_lo, s30, v10
	v_add_co_ci_u32_e64 v11, null, s31, v11, vcc_lo
	.p2align	6
.LBB38_163:                             ;   Parent Loop BB38_5 Depth=1
                                        ;     Parent Loop BB38_160 Depth=2
                                        ; =>    This Inner Loop Header: Depth=3
	global_load_dwordx2 v[12:13], v[8:9], off
	v_add_nc_u32_e32 v7, 8, v7
	v_add_co_u32 v8, vcc_lo, v8, 64
	v_add_co_ci_u32_e64 v9, null, 0, v9, vcc_lo
	v_cmp_ge_i32_e32 vcc_lo, v7, v1
	s_or_b32 s71, vcc_lo, s71
	s_waitcnt vmcnt(0)
	global_store_dwordx2 v[10:11], v[12:13], off
	v_add_co_u32 v10, s12, v10, 64
	v_add_co_ci_u32_e64 v11, null, 0, v11, s12
	s_andn2_b32 exec_lo, exec_lo, s71
	s_cbranch_execnz .LBB38_163
.LBB38_164:                             ;   in Loop: Header=BB38_160 Depth=2
	s_or_b32 exec_lo, exec_lo, s70
	v_add_co_u32 v7, vcc_lo, s16, v5
	v_add_co_ci_u32_e64 v8, null, s17, v6, vcc_lo
	v_add_co_u32 v5, vcc_lo, s18, v5
	v_add_co_ci_u32_e64 v6, null, s19, v6, vcc_lo
	global_load_dword v1, v[7:8], off
	global_load_dword v6, v[5:6], off
	s_mov_b32 s70, exec_lo
	s_waitcnt vmcnt(1)
	v_add_nc_u32_e32 v5, v27, v1
	s_waitcnt vmcnt(0)
	v_subrev_nc_u32_e32 v1, s64, v6
	v_cmpx_lt_i32_e64 v5, v1
	s_cbranch_execz .LBB38_167
; %bb.165:                              ;   in Loop: Header=BB38_160 Depth=2
	v_ashrrev_i32_e32 v6, 31, v5
	s_mov_b32 s71, 0
	v_lshlrev_b64 v[8:9], 3, v[5:6]
	v_add_co_u32 v6, vcc_lo, s52, v8
	v_add_co_ci_u32_e64 v7, null, s53, v9, vcc_lo
	v_add_co_u32 v8, vcc_lo, s22, v8
	v_add_co_ci_u32_e64 v9, null, s23, v9, vcc_lo
	.p2align	6
.LBB38_166:                             ;   Parent Loop BB38_5 Depth=1
                                        ;     Parent Loop BB38_160 Depth=2
                                        ; =>    This Inner Loop Header: Depth=3
	global_load_dwordx2 v[10:11], v[6:7], off
	v_add_nc_u32_e32 v5, 8, v5
	v_add_co_u32 v6, vcc_lo, v6, 64
	v_add_co_ci_u32_e64 v7, null, 0, v7, vcc_lo
	v_cmp_ge_i32_e32 vcc_lo, v5, v1
	s_or_b32 s71, vcc_lo, s71
	s_waitcnt vmcnt(0)
	global_store_dwordx2 v[8:9], v[10:11], off
	v_add_co_u32 v8, s12, v8, 64
	v_add_co_ci_u32_e64 v9, null, 0, v9, s12
	s_andn2_b32 exec_lo, exec_lo, s71
	s_cbranch_execnz .LBB38_166
.LBB38_167:                             ;   in Loop: Header=BB38_160 Depth=2
	s_or_b32 exec_lo, exec_lo, s70
	s_and_b32 exec_lo, exec_lo, s11
	s_cbranch_execz .LBB38_159
; %bb.168:                              ;   in Loop: Header=BB38_160 Depth=2
	v_lshlrev_b64 v[4:5], 3, v[3:4]
	v_add_co_u32 v6, vcc_lo, s50, v4
	v_add_co_ci_u32_e64 v7, null, s51, v5, vcc_lo
	v_add_co_u32 v4, vcc_lo, s48, v4
	v_add_co_ci_u32_e64 v5, null, s49, v5, vcc_lo
	global_load_dwordx2 v[6:7], v[6:7], off
	s_waitcnt vmcnt(0)
	global_store_dwordx2 v[4:5], v[6:7], off
	s_branch .LBB38_159
.LBB38_169:                             ;   in Loop: Header=BB38_5 Depth=1
	s_or_b32 exec_lo, exec_lo, s13
	s_mov_b32 s13, -1
	s_and_b32 vcc_lo, exec_lo, s59
	s_mov_b32 s14, -1
	s_cbranch_vccz .LBB38_179
; %bb.170:                              ;   in Loop: Header=BB38_5 Depth=1
	s_and_b32 vcc_lo, exec_lo, s67
	s_mov_b32 s12, -1
                                        ; implicit-def: $sgpr14
	s_cbranch_vccz .LBB38_176
; %bb.171:                              ;   in Loop: Header=BB38_5 Depth=1
	s_and_b32 vcc_lo, exec_lo, s66
                                        ; implicit-def: $sgpr14
	s_cbranch_vccz .LBB38_173
; %bb.172:                              ;   in Loop: Header=BB38_5 Depth=1
	v_cmp_ge_f32_e64 s14, s34, v18
	s_mov_b32 s12, 0
.LBB38_173:                             ;   in Loop: Header=BB38_5 Depth=1
	s_andn2_b32 vcc_lo, exec_lo, s12
	s_cbranch_vccnz .LBB38_175
; %bb.174:                              ;   in Loop: Header=BB38_5 Depth=1
	v_cmp_ge_f32_e32 vcc_lo, s34, v22
	s_andn2_b32 s12, s14, exec_lo
	s_and_b32 s14, vcc_lo, exec_lo
	s_or_b32 s14, s12, s14
.LBB38_175:                             ;   in Loop: Header=BB38_5 Depth=1
	s_mov_b32 s12, 0
.LBB38_176:                             ;   in Loop: Header=BB38_5 Depth=1
	s_andn2_b32 vcc_lo, exec_lo, s12
	s_cbranch_vccnz .LBB38_178
; %bb.177:                              ;   in Loop: Header=BB38_5 Depth=1
	v_cmp_ge_f32_e32 vcc_lo, s34, v22
	v_cmp_ge_f32_e64 s12, s34, v18
	s_andn2_b32 s14, s14, exec_lo
	s_and_b32 s12, vcc_lo, s12
	s_and_b32 s12, s12, exec_lo
	s_or_b32 s14, s14, s12
.LBB38_178:                             ;   in Loop: Header=BB38_5 Depth=1
	s_xor_b32 s14, s14, -1
.LBB38_179:                             ;   in Loop: Header=BB38_5 Depth=1
	v_mov_b32_e32 v1, s68
	s_and_saveexec_b32 s12, s14
	s_cbranch_execz .LBB38_4
; %bb.180:                              ;   in Loop: Header=BB38_5 Depth=1
	s_add_i32 s68, s68, 1
	v_mov_b32_e32 v1, s15
	s_cmp_eq_u32 s68, s15
	s_cselect_b32 s13, -1, 0
	s_orn2_b32 s13, s13, exec_lo
	s_branch .LBB38_4
.LBB38_181:
	s_or_b32 exec_lo, exec_lo, s60
	s_or_b32 exec_lo, exec_lo, s61
	s_andn2_b32 vcc_lo, exec_lo, s59
	s_cbranch_vccnz .LBB38_2
.LBB38_182:
	v_xor_b32_e32 v2, 4, v21
	v_xor_b32_e32 v3, 2, v21
	s_mov_b32 s0, exec_lo
	v_cmp_gt_i32_e32 vcc_lo, 32, v2
	v_cndmask_b32_e32 v2, v21, v2, vcc_lo
	v_cmp_gt_i32_e32 vcc_lo, 32, v3
	v_lshlrev_b32_e32 v2, 2, v2
	v_cndmask_b32_e32 v3, v21, v3, vcc_lo
	ds_bpermute_b32 v2, v2, v1
	v_lshlrev_b32_e32 v3, 2, v3
	s_waitcnt lgkmcnt(0)
	v_max_i32_e32 v1, v1, v2
	ds_bpermute_b32 v2, v3, v1
	v_xor_b32_e32 v3, 1, v21
	v_cmp_gt_i32_e32 vcc_lo, 32, v3
	v_cndmask_b32_e32 v3, v21, v3, vcc_lo
	s_waitcnt lgkmcnt(0)
	v_max_i32_e32 v1, v1, v2
	v_lshlrev_b32_e32 v2, 2, v3
	ds_bpermute_b32 v2, v2, v1
	v_cmpx_eq_u32_e32 7, v20
	s_cbranch_execz .LBB38_184
; %bb.183:
	v_lshlrev_b32_e32 v3, 2, v19
	s_waitcnt lgkmcnt(0)
	v_max_i32_e32 v1, v1, v2
	ds_write_b32 v3, v1 offset:512
.LBB38_184:
	s_or_b32 exec_lo, exec_lo, s0
	s_mov_b32 s0, exec_lo
	s_waitcnt lgkmcnt(0)
	s_waitcnt_vscnt null, 0x0
	s_barrier
	buffer_gl0_inv
	v_cmpx_gt_u32_e32 64, v0
	s_cbranch_execz .LBB38_186
; %bb.185:
	ds_read2st64_b32 v[1:2], v17 offset0:2 offset1:3
	s_waitcnt lgkmcnt(0)
	v_max_i32_e32 v1, v1, v2
	ds_write_b32 v17, v1 offset:512
.LBB38_186:
	s_or_b32 exec_lo, exec_lo, s0
	s_mov_b32 s0, exec_lo
	s_waitcnt lgkmcnt(0)
	s_barrier
	buffer_gl0_inv
	v_cmpx_gt_u32_e32 32, v0
	s_cbranch_execz .LBB38_188
; %bb.187:
	ds_read2_b32 v[1:2], v17 offset0:128 offset1:160
	s_waitcnt lgkmcnt(0)
	v_max_i32_e32 v1, v1, v2
	ds_write_b32 v17, v1 offset:512
.LBB38_188:
	s_or_b32 exec_lo, exec_lo, s0
	s_mov_b32 s0, exec_lo
	s_waitcnt lgkmcnt(0)
	s_barrier
	buffer_gl0_inv
	v_cmpx_gt_u32_e32 16, v0
	s_cbranch_execz .LBB38_190
; %bb.189:
	ds_read2_b32 v[1:2], v17 offset0:128 offset1:144
	s_waitcnt lgkmcnt(0)
	v_max_i32_e32 v1, v1, v2
	ds_write_b32 v17, v1 offset:512
.LBB38_190:
	;; [unrolled: 13-line block ×5, first 2 shown]
	s_or_b32 exec_lo, exec_lo, s0
	v_cmp_eq_u32_e32 vcc_lo, 0, v0
	s_waitcnt lgkmcnt(0)
	s_barrier
	buffer_gl0_inv
	s_and_saveexec_b32 s0, vcc_lo
	s_cbranch_execz .LBB38_198
; %bb.197:
	v_mov_b32_e32 v3, 0
	ds_read_b64 v[1:2], v3 offset:512
	s_waitcnt lgkmcnt(0)
	v_max_i32_e32 v1, v1, v2
	ds_write_b32 v3, v1 offset:512
.LBB38_198:
	s_or_b32 exec_lo, exec_lo, s0
	s_waitcnt lgkmcnt(0)
	s_barrier
	buffer_gl0_inv
	s_and_saveexec_b32 s0, vcc_lo
	s_cbranch_execz .LBB38_201
; %bb.199:
	v_mbcnt_lo_u32_b32 v1, exec_lo, 0
	v_cmp_eq_u32_e32 vcc_lo, 0, v1
	s_and_b32 exec_lo, exec_lo, vcc_lo
	s_cbranch_execz .LBB38_201
; %bb.200:
	v_mov_b32_e32 v1, 0
	s_load_dwordx2 s[2:3], s[4:5], 0x8
	ds_read_b32 v2, v1 offset:512
	s_waitcnt lgkmcnt(0)
	v_add_nc_u32_e32 v2, 1, v2
	global_atomic_smax v1, v2, s[2:3]
.LBB38_201:
	s_or_b32 exec_lo, exec_lo, s0
	v_cmp_eq_u32_e32 vcc_lo, 0, v0
	s_and_b32 s0, vcc_lo, s58
	s_and_saveexec_b32 s1, s0
	s_cbranch_execz .LBB38_208
.LBB38_202:
	v_mov_b32_e32 v0, 0x7fc00000
	s_mov_b32 s0, exec_lo
.LBB38_203:                             ; =>This Inner Loop Header: Depth=1
	s_ff1_i32_b32 s2, s0
	v_max_f32_e32 v0, v0, v0
	v_readlane_b32 s3, v22, s2
	s_lshl_b32 s2, 1, s2
	s_andn2_b32 s0, s0, s2
	s_cmp_lg_u32 s0, 0
	v_max_f32_e64 v1, s3, s3
	v_max_f32_e32 v0, v0, v1
	s_cbranch_scc1 .LBB38_203
; %bb.204:
	v_mbcnt_lo_u32_b32 v1, exec_lo, 0
	s_mov_b32 s2, 0
	s_mov_b32 s3, exec_lo
	v_cmpx_eq_u32_e32 0, v1
	s_xor_b32 s3, exec_lo, s3
	s_cbranch_execz .LBB38_208
; %bb.205:
	v_mov_b32_e32 v2, 0
	v_max_f32_e32 v3, v0, v0
	global_load_dword v1, v2, s[44:45]
.LBB38_206:                             ; =>This Inner Loop Header: Depth=1
	s_waitcnt vmcnt(0)
	v_max_f32_e32 v0, v1, v1
	v_max_f32_e32 v0, v0, v3
	global_atomic_cmpswap v0, v2, v[0:1], s[44:45] glc
	s_waitcnt vmcnt(0)
	v_cmp_eq_u32_e64 s0, v0, v1
	v_mov_b32_e32 v1, v0
	s_or_b32 s2, s0, s2
	s_andn2_b32 exec_lo, exec_lo, s2
	s_cbranch_execnz .LBB38_206
; %bb.207:
	s_or_b32 exec_lo, exec_lo, s2
.LBB38_208:
	s_or_b32 exec_lo, exec_lo, s1
	s_and_b32 s0, vcc_lo, s33
	s_and_saveexec_b32 s1, s0
	s_cbranch_execz .LBB38_214
; %bb.209:
	v_mov_b32_e32 v0, 0x7fc00000
	s_mov_b32 s0, exec_lo
.LBB38_210:                             ; =>This Inner Loop Header: Depth=1
	s_ff1_i32_b32 s1, s0
	v_max_f32_e32 v0, v0, v0
	v_readlane_b32 s2, v18, s1
	s_lshl_b32 s1, 1, s1
	s_andn2_b32 s0, s0, s1
	s_cmp_lg_u32 s0, 0
	v_max_f32_e64 v1, s2, s2
	v_max_f32_e32 v0, v0, v1
	s_cbranch_scc1 .LBB38_210
; %bb.211:
	v_mbcnt_lo_u32_b32 v1, exec_lo, 0
	s_mov_b32 s0, 0
	s_mov_b32 s1, exec_lo
	v_cmpx_eq_u32_e32 0, v1
	s_xor_b32 s1, exec_lo, s1
	s_cbranch_execz .LBB38_214
; %bb.212:
	v_mov_b32_e32 v2, 0
	v_max_f32_e32 v3, v0, v0
	global_load_dword v1, v2, s[46:47]
.LBB38_213:                             ; =>This Inner Loop Header: Depth=1
	s_waitcnt vmcnt(0)
	v_max_f32_e32 v0, v1, v1
	v_max_f32_e32 v0, v0, v3
	global_atomic_cmpswap v0, v2, v[0:1], s[46:47] glc
	s_waitcnt vmcnt(0)
	v_cmp_eq_u32_e32 vcc_lo, v0, v1
	v_mov_b32_e32 v1, v0
	s_or_b32 s0, vcc_lo, s0
	s_andn2_b32 exec_lo, exec_lo, s0
	s_cbranch_execnz .LBB38_213
.LBB38_214:
	s_endpgm
	.section	.rodata,"a",@progbits
	.p2align	6, 0x0
	.amdhsa_kernel _ZN9rocsparseL6kernelILi1024ELi8E21rocsparse_complex_numIfEiiEEvbbbT3_PS3_NS_15floating_traitsIT1_E6data_tES3_T2_PKS9_SB_PKS3_PKS6_21rocsparse_index_base_SB_SB_SD_PS6_SH_SG_SB_SB_SD_SH_SH_SG_SH_SH_PS8_SI_PKS8_
		.amdhsa_group_segment_fixed_size 1024
		.amdhsa_private_segment_fixed_size 0
		.amdhsa_kernarg_size 208
		.amdhsa_user_sgpr_count 6
		.amdhsa_user_sgpr_private_segment_buffer 1
		.amdhsa_user_sgpr_dispatch_ptr 0
		.amdhsa_user_sgpr_queue_ptr 0
		.amdhsa_user_sgpr_kernarg_segment_ptr 1
		.amdhsa_user_sgpr_dispatch_id 0
		.amdhsa_user_sgpr_flat_scratch_init 0
		.amdhsa_user_sgpr_private_segment_size 0
		.amdhsa_wavefront_size32 1
		.amdhsa_uses_dynamic_stack 0
		.amdhsa_system_sgpr_private_segment_wavefront_offset 0
		.amdhsa_system_sgpr_workgroup_id_x 1
		.amdhsa_system_sgpr_workgroup_id_y 0
		.amdhsa_system_sgpr_workgroup_id_z 0
		.amdhsa_system_sgpr_workgroup_info 0
		.amdhsa_system_vgpr_workitem_id 0
		.amdhsa_next_free_vgpr 43
		.amdhsa_next_free_sgpr 82
		.amdhsa_reserve_vcc 1
		.amdhsa_reserve_flat_scratch 0
		.amdhsa_float_round_mode_32 0
		.amdhsa_float_round_mode_16_64 0
		.amdhsa_float_denorm_mode_32 3
		.amdhsa_float_denorm_mode_16_64 3
		.amdhsa_dx10_clamp 1
		.amdhsa_ieee_mode 1
		.amdhsa_fp16_overflow 0
		.amdhsa_workgroup_processor_mode 1
		.amdhsa_memory_ordered 1
		.amdhsa_forward_progress 1
		.amdhsa_shared_vgpr_count 0
		.amdhsa_exception_fp_ieee_invalid_op 0
		.amdhsa_exception_fp_denorm_src 0
		.amdhsa_exception_fp_ieee_div_zero 0
		.amdhsa_exception_fp_ieee_overflow 0
		.amdhsa_exception_fp_ieee_underflow 0
		.amdhsa_exception_fp_ieee_inexact 0
		.amdhsa_exception_int_div_zero 0
	.end_amdhsa_kernel
	.section	.text._ZN9rocsparseL6kernelILi1024ELi8E21rocsparse_complex_numIfEiiEEvbbbT3_PS3_NS_15floating_traitsIT1_E6data_tES3_T2_PKS9_SB_PKS3_PKS6_21rocsparse_index_base_SB_SB_SD_PS6_SH_SG_SB_SB_SD_SH_SH_SG_SH_SH_PS8_SI_PKS8_,"axG",@progbits,_ZN9rocsparseL6kernelILi1024ELi8E21rocsparse_complex_numIfEiiEEvbbbT3_PS3_NS_15floating_traitsIT1_E6data_tES3_T2_PKS9_SB_PKS3_PKS6_21rocsparse_index_base_SB_SB_SD_PS6_SH_SG_SB_SB_SD_SH_SH_SG_SH_SH_PS8_SI_PKS8_,comdat
.Lfunc_end38:
	.size	_ZN9rocsparseL6kernelILi1024ELi8E21rocsparse_complex_numIfEiiEEvbbbT3_PS3_NS_15floating_traitsIT1_E6data_tES3_T2_PKS9_SB_PKS3_PKS6_21rocsparse_index_base_SB_SB_SD_PS6_SH_SG_SB_SB_SD_SH_SH_SG_SH_SH_PS8_SI_PKS8_, .Lfunc_end38-_ZN9rocsparseL6kernelILi1024ELi8E21rocsparse_complex_numIfEiiEEvbbbT3_PS3_NS_15floating_traitsIT1_E6data_tES3_T2_PKS9_SB_PKS3_PKS6_21rocsparse_index_base_SB_SB_SD_PS6_SH_SG_SB_SB_SD_SH_SH_SG_SH_SH_PS8_SI_PKS8_
                                        ; -- End function
	.set _ZN9rocsparseL6kernelILi1024ELi8E21rocsparse_complex_numIfEiiEEvbbbT3_PS3_NS_15floating_traitsIT1_E6data_tES3_T2_PKS9_SB_PKS3_PKS6_21rocsparse_index_base_SB_SB_SD_PS6_SH_SG_SB_SB_SD_SH_SH_SG_SH_SH_PS8_SI_PKS8_.num_vgpr, 43
	.set _ZN9rocsparseL6kernelILi1024ELi8E21rocsparse_complex_numIfEiiEEvbbbT3_PS3_NS_15floating_traitsIT1_E6data_tES3_T2_PKS9_SB_PKS3_PKS6_21rocsparse_index_base_SB_SB_SD_PS6_SH_SG_SB_SB_SD_SH_SH_SG_SH_SH_PS8_SI_PKS8_.num_agpr, 0
	.set _ZN9rocsparseL6kernelILi1024ELi8E21rocsparse_complex_numIfEiiEEvbbbT3_PS3_NS_15floating_traitsIT1_E6data_tES3_T2_PKS9_SB_PKS3_PKS6_21rocsparse_index_base_SB_SB_SD_PS6_SH_SG_SB_SB_SD_SH_SH_SG_SH_SH_PS8_SI_PKS8_.numbered_sgpr, 82
	.set _ZN9rocsparseL6kernelILi1024ELi8E21rocsparse_complex_numIfEiiEEvbbbT3_PS3_NS_15floating_traitsIT1_E6data_tES3_T2_PKS9_SB_PKS3_PKS6_21rocsparse_index_base_SB_SB_SD_PS6_SH_SG_SB_SB_SD_SH_SH_SG_SH_SH_PS8_SI_PKS8_.num_named_barrier, 0
	.set _ZN9rocsparseL6kernelILi1024ELi8E21rocsparse_complex_numIfEiiEEvbbbT3_PS3_NS_15floating_traitsIT1_E6data_tES3_T2_PKS9_SB_PKS3_PKS6_21rocsparse_index_base_SB_SB_SD_PS6_SH_SG_SB_SB_SD_SH_SH_SG_SH_SH_PS8_SI_PKS8_.private_seg_size, 0
	.set _ZN9rocsparseL6kernelILi1024ELi8E21rocsparse_complex_numIfEiiEEvbbbT3_PS3_NS_15floating_traitsIT1_E6data_tES3_T2_PKS9_SB_PKS3_PKS6_21rocsparse_index_base_SB_SB_SD_PS6_SH_SG_SB_SB_SD_SH_SH_SG_SH_SH_PS8_SI_PKS8_.uses_vcc, 1
	.set _ZN9rocsparseL6kernelILi1024ELi8E21rocsparse_complex_numIfEiiEEvbbbT3_PS3_NS_15floating_traitsIT1_E6data_tES3_T2_PKS9_SB_PKS3_PKS6_21rocsparse_index_base_SB_SB_SD_PS6_SH_SG_SB_SB_SD_SH_SH_SG_SH_SH_PS8_SI_PKS8_.uses_flat_scratch, 0
	.set _ZN9rocsparseL6kernelILi1024ELi8E21rocsparse_complex_numIfEiiEEvbbbT3_PS3_NS_15floating_traitsIT1_E6data_tES3_T2_PKS9_SB_PKS3_PKS6_21rocsparse_index_base_SB_SB_SD_PS6_SH_SG_SB_SB_SD_SH_SH_SG_SH_SH_PS8_SI_PKS8_.has_dyn_sized_stack, 0
	.set _ZN9rocsparseL6kernelILi1024ELi8E21rocsparse_complex_numIfEiiEEvbbbT3_PS3_NS_15floating_traitsIT1_E6data_tES3_T2_PKS9_SB_PKS3_PKS6_21rocsparse_index_base_SB_SB_SD_PS6_SH_SG_SB_SB_SD_SH_SH_SG_SH_SH_PS8_SI_PKS8_.has_recursion, 0
	.set _ZN9rocsparseL6kernelILi1024ELi8E21rocsparse_complex_numIfEiiEEvbbbT3_PS3_NS_15floating_traitsIT1_E6data_tES3_T2_PKS9_SB_PKS3_PKS6_21rocsparse_index_base_SB_SB_SD_PS6_SH_SG_SB_SB_SD_SH_SH_SG_SH_SH_PS8_SI_PKS8_.has_indirect_call, 0
	.section	.AMDGPU.csdata,"",@progbits
; Kernel info:
; codeLenInByte = 9068
; TotalNumSgprs: 84
; NumVgprs: 43
; ScratchSize: 0
; MemoryBound: 0
; FloatMode: 240
; IeeeMode: 1
; LDSByteSize: 1024 bytes/workgroup (compile time only)
; SGPRBlocks: 0
; VGPRBlocks: 5
; NumSGPRsForWavesPerEU: 84
; NumVGPRsForWavesPerEU: 43
; Occupancy: 16
; WaveLimiterHint : 1
; COMPUTE_PGM_RSRC2:SCRATCH_EN: 0
; COMPUTE_PGM_RSRC2:USER_SGPR: 6
; COMPUTE_PGM_RSRC2:TRAP_HANDLER: 0
; COMPUTE_PGM_RSRC2:TGID_X_EN: 1
; COMPUTE_PGM_RSRC2:TGID_Y_EN: 0
; COMPUTE_PGM_RSRC2:TGID_Z_EN: 0
; COMPUTE_PGM_RSRC2:TIDIG_COMP_CNT: 0
	.section	.text._ZN9rocsparseL6kernelILi1024ELi16E21rocsparse_complex_numIfEiiEEvbbbT3_PS3_NS_15floating_traitsIT1_E6data_tES3_T2_PKS9_SB_PKS3_PKS6_21rocsparse_index_base_SB_SB_SD_PS6_SH_SG_SB_SB_SD_SH_SH_SG_SH_SH_PS8_SI_PKS8_,"axG",@progbits,_ZN9rocsparseL6kernelILi1024ELi16E21rocsparse_complex_numIfEiiEEvbbbT3_PS3_NS_15floating_traitsIT1_E6data_tES3_T2_PKS9_SB_PKS3_PKS6_21rocsparse_index_base_SB_SB_SD_PS6_SH_SG_SB_SB_SD_SH_SH_SG_SH_SH_PS8_SI_PKS8_,comdat
	.globl	_ZN9rocsparseL6kernelILi1024ELi16E21rocsparse_complex_numIfEiiEEvbbbT3_PS3_NS_15floating_traitsIT1_E6data_tES3_T2_PKS9_SB_PKS3_PKS6_21rocsparse_index_base_SB_SB_SD_PS6_SH_SG_SB_SB_SD_SH_SH_SG_SH_SH_PS8_SI_PKS8_ ; -- Begin function _ZN9rocsparseL6kernelILi1024ELi16E21rocsparse_complex_numIfEiiEEvbbbT3_PS3_NS_15floating_traitsIT1_E6data_tES3_T2_PKS9_SB_PKS3_PKS6_21rocsparse_index_base_SB_SB_SD_PS6_SH_SG_SB_SB_SD_SH_SH_SG_SH_SH_PS8_SI_PKS8_
	.p2align	8
	.type	_ZN9rocsparseL6kernelILi1024ELi16E21rocsparse_complex_numIfEiiEEvbbbT3_PS3_NS_15floating_traitsIT1_E6data_tES3_T2_PKS9_SB_PKS3_PKS6_21rocsparse_index_base_SB_SB_SD_PS6_SH_SG_SB_SB_SD_SH_SH_SG_SH_SH_PS8_SI_PKS8_,@function
_ZN9rocsparseL6kernelILi1024ELi16E21rocsparse_complex_numIfEiiEEvbbbT3_PS3_NS_15floating_traitsIT1_E6data_tES3_T2_PKS9_SB_PKS3_PKS6_21rocsparse_index_base_SB_SB_SD_PS6_SH_SG_SB_SB_SD_SH_SH_SG_SH_SH_PS8_SI_PKS8_: ; @_ZN9rocsparseL6kernelILi1024ELi16E21rocsparse_complex_numIfEiiEEvbbbT3_PS3_NS_15floating_traitsIT1_E6data_tES3_T2_PKS9_SB_PKS3_PKS6_21rocsparse_index_base_SB_SB_SD_PS6_SH_SG_SB_SB_SD_SH_SH_SG_SH_SH_PS8_SI_PKS8_
; %bb.0:
	s_clause 0x3
	s_load_dword s0, s[4:5], 0x0
	s_load_dwordx2 s[14:15], s[4:5], 0x0
	s_load_dwordx2 s[34:35], s[4:5], 0x10
	s_load_dwordx4 s[44:47], s[4:5], 0xb8
	v_lshrrev_b32_e32 v19, 4, v0
	v_mov_b32_e32 v1, 0
	v_lshlrev_b32_e32 v17, 2, v0
	v_and_b32_e32 v20, 15, v0
	v_mbcnt_lo_u32_b32 v21, -1, 0
	v_mov_b32_e32 v22, 0
	v_mov_b32_e32 v18, 0
	s_mov_b32 s59, 0
	ds_write_b32 v17, v1
	s_waitcnt lgkmcnt(0)
	s_barrier
	buffer_gl0_inv
	s_bitcmp1_b32 s0, 0
	s_cselect_b32 s58, -1, 0
	s_bitcmp1_b32 s0, 8
	s_cselect_b32 s33, -1, 0
	;; [unrolled: 2-line block ×3, first 2 shown]
	s_lshl_b32 s64, s6, 10
	s_cmp_gt_i32 s15, 0
	v_or_b32_e32 v23, s64, v19
	s_cselect_b32 s0, -1, 0
	v_cmp_gt_i32_e32 vcc_lo, s35, v23
	s_and_b32 s0, s0, vcc_lo
	s_and_saveexec_b32 s60, s0
	s_cbranch_execnz .LBB39_3
; %bb.1:
	s_or_b32 exec_lo, exec_lo, s60
	s_andn2_b32 vcc_lo, exec_lo, s58
	s_cbranch_vccz .LBB39_178
.LBB39_2:
	v_cmp_eq_u32_e32 vcc_lo, 0, v0
	s_and_b32 s0, vcc_lo, s33
	s_and_saveexec_b32 s1, s0
	s_cbranch_execnz .LBB39_196
	s_branch .LBB39_202
.LBB39_3:
	s_clause 0x9
	s_load_dword s61, s[4:5], 0x40
	s_load_dword s62, s[4:5], 0x70
	;; [unrolled: 1-line block ×3, first 2 shown]
	s_load_dwordx2 s[52:53], s[4:5], 0x98
	s_load_dwordx2 s[54:55], s[4:5], 0x68
	;; [unrolled: 1-line block ×3, first 2 shown]
	s_load_dwordx4 s[48:51], s[4:5], 0xa8
	s_load_dwordx8 s[16:23], s[4:5], 0x78
	s_load_dwordx8 s[24:31], s[4:5], 0x48
	s_load_dwordx8 s[36:43], s[4:5], 0x20
	s_addk_i32 s64, 0x400
	v_cmp_eq_u32_e64 s0, 15, v20
	v_lshlrev_b32_e32 v24, 2, v19
	v_cmp_gt_u32_e64 s1, 32, v0
	v_cmp_gt_u32_e64 s2, 16, v0
	v_cmp_gt_u32_e64 s3, 8, v0
	v_cmp_gt_u32_e64 s6, 4, v0
	v_cmp_gt_u32_e64 s7, 2, v0
	v_cmp_eq_u32_e64 s8, 0, v0
	v_cmp_gt_u32_e64 s9, s64, v23
	s_waitcnt lgkmcnt(0)
	v_subrev_nc_u32_e32 v25, s61, v20
	v_subrev_nc_u32_e32 v26, s62, v20
	;; [unrolled: 1-line block ×3, first 2 shown]
	v_cmp_eq_u32_e64 s10, 0, v20
	v_mov_b32_e32 v2, 0
	v_mov_b32_e32 v18, 0
	v_mov_b32_e32 v22, 0
	s_and_b32 s11, s33, s14
	s_xor_b32 s65, s33, -1
	s_xor_b32 s66, s11, -1
	s_mov_b32 s67, 0
	s_branch .LBB39_5
.LBB39_4:                               ;   in Loop: Header=BB39_5 Depth=1
	s_or_b32 exec_lo, exec_lo, s11
	s_and_b32 s11, exec_lo, s12
	s_or_b32 s59, s11, s59
	s_andn2_b32 exec_lo, exec_lo, s59
	s_cbranch_execz .LBB39_177
.LBB39_5:                               ; =>This Loop Header: Depth=1
                                        ;     Child Loop BB39_9 Depth 2
                                        ;       Child Loop BB39_14 Depth 3
                                        ;         Child Loop BB39_18 Depth 4
                                        ;         Child Loop BB39_53 Depth 4
	;; [unrolled: 1-line block ×5, first 2 shown]
                                        ;     Child Loop BB39_156 Depth 2
                                        ;       Child Loop BB39_159 Depth 3
                                        ;       Child Loop BB39_162 Depth 3
	v_cndmask_b32_e64 v22, v22, 0, s33
	v_cndmask_b32_e64 v18, v18, 0, s14
	s_mov_b32 s68, 0
	s_branch .LBB39_9
.LBB39_6:                               ;   in Loop: Header=BB39_9 Depth=2
	s_or_b32 exec_lo, exec_lo, s71
.LBB39_7:                               ;   in Loop: Header=BB39_9 Depth=2
	s_or_b32 exec_lo, exec_lo, s70
.LBB39_8:                               ;   in Loop: Header=BB39_9 Depth=2
	s_or_b32 exec_lo, exec_lo, s69
	s_add_i32 s68, s68, 1
	s_cmp_eq_u32 s68, 16
	s_cbranch_scc1 .LBB39_121
.LBB39_9:                               ;   Parent Loop BB39_5 Depth=1
                                        ; =>  This Loop Header: Depth=2
                                        ;       Child Loop BB39_14 Depth 3
                                        ;         Child Loop BB39_18 Depth 4
                                        ;         Child Loop BB39_53 Depth 4
	;; [unrolled: 1-line block ×5, first 2 shown]
	v_lshl_add_u32 v3, s68, 6, v23
	s_mov_b32 s69, exec_lo
	v_cmpx_gt_i32_e64 s35, v3
	s_cbranch_execz .LBB39_8
; %bb.10:                               ;   in Loop: Header=BB39_9 Depth=2
	v_ashrrev_i32_e32 v4, 31, v3
	s_mov_b32 s70, exec_lo
	v_lshlrev_b64 v[5:6], 2, v[3:4]
	v_add_co_u32 v7, vcc_lo, s36, v5
	v_add_co_ci_u32_e64 v8, null, s37, v6, vcc_lo
	v_add_co_u32 v9, vcc_lo, s38, v5
	v_add_co_ci_u32_e64 v10, null, s39, v6, vcc_lo
	global_load_dword v1, v[7:8], off
	global_load_dword v7, v[9:10], off
	s_waitcnt vmcnt(1)
	v_add_nc_u32_e32 v4, v25, v1
	s_waitcnt vmcnt(0)
	v_subrev_nc_u32_e32 v28, s61, v7
	v_cmpx_lt_i32_e64 v4, v28
	s_cbranch_execz .LBB39_7
; %bb.11:                               ;   in Loop: Header=BB39_9 Depth=2
	v_add_co_u32 v7, vcc_lo, s24, v5
	v_add_co_ci_u32_e64 v8, null, s25, v6, vcc_lo
	v_add_co_u32 v5, vcc_lo, s26, v5
	v_add_co_ci_u32_e64 v6, null, s27, v6, vcc_lo
	global_load_dword v1, v[7:8], off
	s_mov_b32 s71, 0
	global_load_dword v5, v[5:6], off
	s_waitcnt vmcnt(1)
	v_subrev_nc_u32_e32 v6, s62, v1
	s_waitcnt vmcnt(0)
	v_sub_nc_u32_e32 v29, v5, v1
	v_ashrrev_i32_e32 v7, 31, v6
	v_cmp_lt_i32_e64 s11, 0, v29
	v_lshlrev_b64 v[8:9], 2, v[6:7]
	v_lshlrev_b64 v[10:11], 3, v[6:7]
	v_add_co_u32 v30, vcc_lo, s28, v8
	v_add_co_ci_u32_e64 v31, null, s29, v9, vcc_lo
	v_add_co_u32 v32, vcc_lo, s30, v10
	v_add_co_ci_u32_e64 v33, null, s31, v11, vcc_lo
	s_branch .LBB39_14
.LBB39_12:                              ;   in Loop: Header=BB39_14 Depth=3
	s_or_b32 exec_lo, exec_lo, s12
.LBB39_13:                              ;   in Loop: Header=BB39_14 Depth=3
	s_or_b32 exec_lo, exec_lo, s13
	v_add_nc_u32_e32 v4, 16, v4
	v_cmp_ge_i32_e32 vcc_lo, v4, v28
	s_or_b32 s71, vcc_lo, s71
	s_andn2_b32 exec_lo, exec_lo, s71
	s_cbranch_execz .LBB39_6
.LBB39_14:                              ;   Parent Loop BB39_5 Depth=1
                                        ;     Parent Loop BB39_9 Depth=2
                                        ; =>    This Loop Header: Depth=3
                                        ;         Child Loop BB39_18 Depth 4
                                        ;         Child Loop BB39_53 Depth 4
                                        ;         Child Loop BB39_69 Depth 4
                                        ;         Child Loop BB39_91 Depth 4
                                        ;         Child Loop BB39_104 Depth 4
	v_ashrrev_i32_e32 v5, 31, v4
	v_mov_b32_e32 v34, 0
	v_mov_b32_e32 v35, 0
	v_lshlrev_b64 v[7:8], 2, v[4:5]
	v_add_co_u32 v7, vcc_lo, s40, v7
	v_add_co_ci_u32_e64 v8, null, s41, v8, vcc_lo
	global_load_dword v1, v[7:8], off
	s_waitcnt vmcnt(0)
	v_subrev_nc_u32_e32 v7, s61, v1
	v_mov_b32_e32 v1, 0
	v_ashrrev_i32_e32 v8, 31, v7
	v_lshlrev_b64 v[9:10], 2, v[7:8]
	v_add_co_u32 v11, vcc_lo, s16, v9
	v_add_co_ci_u32_e64 v12, null, s17, v10, vcc_lo
	v_add_co_u32 v9, vcc_lo, s18, v9
	v_add_co_ci_u32_e64 v10, null, s19, v10, vcc_lo
	global_load_dword v12, v[11:12], off
	global_load_dword v9, v[9:10], off
	s_waitcnt vmcnt(1)
	v_subrev_nc_u32_e32 v11, s63, v12
	s_waitcnt vmcnt(0)
	v_sub_nc_u32_e32 v36, v9, v12
	v_mov_b32_e32 v12, v1
	s_and_saveexec_b32 s13, s11
	s_cbranch_execz .LBB39_22
; %bb.15:                               ;   in Loop: Header=BB39_14 Depth=3
	v_ashrrev_i32_e32 v12, 31, v11
	v_mov_b32_e32 v34, 0
	v_mov_b32_e32 v1, 0
	;; [unrolled: 1-line block ×3, first 2 shown]
	s_mov_b32 s72, 0
	v_lshlrev_b64 v[9:10], 2, v[11:12]
	v_lshlrev_b64 v[12:13], 3, v[11:12]
                                        ; implicit-def: $sgpr73
	v_add_co_u32 v9, vcc_lo, s20, v9
	v_add_co_ci_u32_e64 v10, null, s21, v10, vcc_lo
	v_add_co_u32 v14, vcc_lo, s22, v12
	v_add_co_ci_u32_e64 v15, null, s23, v13, vcc_lo
	v_mov_b32_e32 v12, 0
	s_branch .LBB39_18
.LBB39_16:                              ;   in Loop: Header=BB39_18 Depth=4
	s_or_b32 exec_lo, exec_lo, s12
	v_cmp_le_i32_e32 vcc_lo, v16, v37
	v_cmp_ge_i32_e64 s12, v16, v37
	v_add_co_ci_u32_e64 v1, null, 0, v1, vcc_lo
	v_add_co_ci_u32_e64 v12, null, 0, v12, s12
	s_andn2_b32 s12, s73, exec_lo
	v_cmp_ge_i32_e32 vcc_lo, v1, v29
	s_and_b32 s73, vcc_lo, exec_lo
	s_or_b32 s73, s12, s73
.LBB39_17:                              ;   in Loop: Header=BB39_18 Depth=4
	s_or_b32 exec_lo, exec_lo, s74
	s_and_b32 s12, exec_lo, s73
	s_or_b32 s72, s12, s72
	s_andn2_b32 exec_lo, exec_lo, s72
	s_cbranch_execz .LBB39_21
.LBB39_18:                              ;   Parent Loop BB39_5 Depth=1
                                        ;     Parent Loop BB39_9 Depth=2
                                        ;       Parent Loop BB39_14 Depth=3
                                        ; =>      This Inner Loop Header: Depth=4
	s_or_b32 s73, s73, exec_lo
	s_mov_b32 s74, exec_lo
	v_cmpx_lt_i32_e64 v12, v36
	s_cbranch_execz .LBB39_17
; %bb.19:                               ;   in Loop: Header=BB39_18 Depth=4
	v_mov_b32_e32 v13, v2
	v_lshlrev_b64 v[37:38], 2, v[1:2]
	s_mov_b32 s12, exec_lo
	v_lshlrev_b64 v[39:40], 2, v[12:13]
	v_add_co_u32 v37, vcc_lo, v30, v37
	v_add_co_ci_u32_e64 v38, null, v31, v38, vcc_lo
	v_add_co_u32 v39, vcc_lo, v9, v39
	v_add_co_ci_u32_e64 v40, null, v10, v40, vcc_lo
	global_load_dword v16, v[37:38], off
	global_load_dword v37, v[39:40], off
	s_waitcnt vmcnt(1)
	v_subrev_nc_u32_e32 v16, s62, v16
	s_waitcnt vmcnt(0)
	v_subrev_nc_u32_e32 v37, s63, v37
	v_cmpx_eq_u32_e64 v16, v37
	s_cbranch_execz .LBB39_16
; %bb.20:                               ;   in Loop: Header=BB39_18 Depth=4
	v_lshlrev_b64 v[38:39], 3, v[1:2]
	v_lshlrev_b64 v[40:41], 3, v[12:13]
	v_add_co_u32 v38, vcc_lo, v32, v38
	v_add_co_ci_u32_e64 v39, null, v33, v39, vcc_lo
	v_add_co_u32 v40, vcc_lo, v14, v40
	v_add_co_ci_u32_e64 v41, null, v15, v41, vcc_lo
	global_load_dwordx2 v[38:39], v[38:39], off
	global_load_dwordx2 v[40:41], v[40:41], off
	s_waitcnt vmcnt(0)
	v_fmac_f32_e32 v34, v38, v40
	v_fmac_f32_e32 v35, v39, v40
	v_fma_f32 v34, -v39, v41, v34
	v_fmac_f32_e32 v35, v38, v41
	s_branch .LBB39_16
.LBB39_21:                              ;   in Loop: Header=BB39_14 Depth=3
	s_or_b32 exec_lo, exec_lo, s72
.LBB39_22:                              ;   in Loop: Header=BB39_14 Depth=3
	s_or_b32 exec_lo, exec_lo, s13
	v_lshlrev_b64 v[9:10], 3, v[4:5]
	v_cmp_le_i32_e64 s12, v3, v7
	s_mov_b32 s72, exec_lo
	v_add_co_u32 v9, vcc_lo, s42, v9
	v_add_co_ci_u32_e64 v10, null, s43, v10, vcc_lo
	global_load_dwordx2 v[9:10], v[9:10], off
	s_waitcnt vmcnt(0)
	v_sub_f32_e32 v13, v9, v34
	v_sub_f32_e32 v14, v10, v35
	v_cmpx_gt_i32_e64 v3, v7
	s_cbranch_execz .LBB39_32
; %bb.23:                               ;   in Loop: Header=BB39_14 Depth=3
	v_lshlrev_b64 v[15:16], 3, v[7:8]
                                        ; implicit-def: $vgpr38
	s_mov_b32 s13, exec_lo
	v_add_co_u32 v15, vcc_lo, s48, v15
	v_add_co_ci_u32_e64 v16, null, s49, v16, vcc_lo
	global_load_dwordx2 v[15:16], v[15:16], off
	s_waitcnt vmcnt(0)
	v_cmp_gt_f32_e32 vcc_lo, 0, v15
	v_cndmask_b32_e64 v5, v15, -v15, vcc_lo
	v_cmp_gt_f32_e32 vcc_lo, 0, v16
	v_cndmask_b32_e64 v37, v16, -v16, vcc_lo
	v_cmpx_ngt_f32_e32 v5, v37
	s_xor_b32 s73, exec_lo, s13
	s_cbranch_execz .LBB39_27
; %bb.24:                               ;   in Loop: Header=BB39_14 Depth=3
	v_mov_b32_e32 v38, 0
	s_mov_b32 s74, exec_lo
	v_cmpx_neq_f32_e32 0, v16
	s_cbranch_execz .LBB39_26
; %bb.25:                               ;   in Loop: Header=BB39_14 Depth=3
	v_div_scale_f32 v38, null, v37, v37, v5
	v_div_scale_f32 v41, vcc_lo, v5, v37, v5
	v_rcp_f32_e32 v39, v38
	v_fma_f32 v40, -v38, v39, 1.0
	v_fmac_f32_e32 v39, v40, v39
	v_mul_f32_e32 v40, v41, v39
	v_fma_f32 v42, -v38, v40, v41
	v_fmac_f32_e32 v40, v42, v39
	v_fma_f32 v38, -v38, v40, v41
	v_div_fmas_f32 v38, v38, v39, v40
	v_div_fixup_f32 v5, v38, v37, v5
	v_fma_f32 v5, v5, v5, 1.0
	v_mul_f32_e32 v38, 0x4f800000, v5
	v_cmp_gt_f32_e32 vcc_lo, 0xf800000, v5
	v_cndmask_b32_e32 v5, v5, v38, vcc_lo
	v_sqrt_f32_e32 v38, v5
	v_add_nc_u32_e32 v39, -1, v38
	v_add_nc_u32_e32 v40, 1, v38
	v_fma_f32 v41, -v39, v38, v5
	v_fma_f32 v42, -v40, v38, v5
	v_cmp_ge_f32_e64 s13, 0, v41
	v_cndmask_b32_e64 v38, v38, v39, s13
	v_cmp_lt_f32_e64 s13, 0, v42
	v_cndmask_b32_e64 v38, v38, v40, s13
	v_mul_f32_e32 v39, 0x37800000, v38
	v_cndmask_b32_e32 v38, v38, v39, vcc_lo
	v_cmp_class_f32_e64 vcc_lo, v5, 0x260
	v_cndmask_b32_e32 v5, v38, v5, vcc_lo
	v_mul_f32_e32 v38, v37, v5
.LBB39_26:                              ;   in Loop: Header=BB39_14 Depth=3
	s_or_b32 exec_lo, exec_lo, s74
                                        ; implicit-def: $vgpr5
                                        ; implicit-def: $vgpr37
.LBB39_27:                              ;   in Loop: Header=BB39_14 Depth=3
	s_andn2_saveexec_b32 s73, s73
	s_cbranch_execz .LBB39_29
; %bb.28:                               ;   in Loop: Header=BB39_14 Depth=3
	v_div_scale_f32 v38, null, v5, v5, v37
	v_div_scale_f32 v41, vcc_lo, v37, v5, v37
	v_rcp_f32_e32 v39, v38
	v_fma_f32 v40, -v38, v39, 1.0
	v_fmac_f32_e32 v39, v40, v39
	v_mul_f32_e32 v40, v41, v39
	v_fma_f32 v42, -v38, v40, v41
	v_fmac_f32_e32 v40, v42, v39
	v_fma_f32 v38, -v38, v40, v41
	v_div_fmas_f32 v38, v38, v39, v40
	v_div_fixup_f32 v37, v38, v5, v37
	v_fma_f32 v37, v37, v37, 1.0
	v_mul_f32_e32 v38, 0x4f800000, v37
	v_cmp_gt_f32_e32 vcc_lo, 0xf800000, v37
	v_cndmask_b32_e32 v37, v37, v38, vcc_lo
	v_sqrt_f32_e32 v38, v37
	v_add_nc_u32_e32 v39, -1, v38
	v_add_nc_u32_e32 v40, 1, v38
	v_fma_f32 v41, -v39, v38, v37
	v_fma_f32 v42, -v40, v38, v37
	v_cmp_ge_f32_e64 s13, 0, v41
	v_cndmask_b32_e64 v38, v38, v39, s13
	v_cmp_lt_f32_e64 s13, 0, v42
	v_cndmask_b32_e64 v38, v38, v40, s13
	v_mul_f32_e32 v39, 0x37800000, v38
	v_cndmask_b32_e32 v38, v38, v39, vcc_lo
	v_cmp_class_f32_e64 vcc_lo, v37, 0x260
	v_cndmask_b32_e32 v37, v38, v37, vcc_lo
	v_mul_f32_e32 v38, v5, v37
.LBB39_29:                              ;   in Loop: Header=BB39_14 Depth=3
	s_or_b32 exec_lo, exec_lo, s73
	v_mov_b32_e32 v5, 0
	v_mov_b32_e32 v37, 0
	s_mov_b32 s13, exec_lo
	v_cmpx_lt_f32_e32 0, v38
	s_cbranch_execz .LBB39_31
; %bb.30:                               ;   in Loop: Header=BB39_14 Depth=3
	v_mul_f32_e32 v5, v16, v16
	v_fmac_f32_e32 v5, v15, v15
	v_div_scale_f32 v37, null, v5, v5, 1.0
	v_div_scale_f32 v40, vcc_lo, 1.0, v5, 1.0
	v_rcp_f32_e32 v38, v37
	v_fma_f32 v39, -v37, v38, 1.0
	v_fmac_f32_e32 v38, v39, v38
	v_mul_f32_e32 v39, v40, v38
	v_fma_f32 v41, -v37, v39, v40
	v_fmac_f32_e32 v39, v41, v38
	v_fma_f32 v37, -v37, v39, v40
	v_mul_f32_e32 v40, v14, v16
	v_mul_f32_e64 v16, v16, -v13
	v_div_fmas_f32 v37, v37, v38, v39
	v_fmac_f32_e32 v40, v13, v15
	v_fmac_f32_e32 v16, v14, v15
	v_div_fixup_f32 v5, v37, v5, 1.0
	v_mul_f32_e32 v37, v40, v5
	v_mul_f32_e32 v5, v16, v5
.LBB39_31:                              ;   in Loop: Header=BB39_14 Depth=3
	s_or_b32 exec_lo, exec_lo, s13
	v_mov_b32_e32 v14, v5
	v_mov_b32_e32 v13, v37
.LBB39_32:                              ;   in Loop: Header=BB39_14 Depth=3
	s_or_b32 exec_lo, exec_lo, s72
	v_cmp_gt_f32_e32 vcc_lo, 0, v13
                                        ; implicit-def: $vgpr16
	s_mov_b32 s13, exec_lo
	v_cndmask_b32_e64 v5, v13, -v13, vcc_lo
	v_cmp_gt_f32_e32 vcc_lo, 0, v14
	v_cndmask_b32_e64 v15, v14, -v14, vcc_lo
	v_cmpx_ngt_f32_e32 v5, v15
	s_xor_b32 s72, exec_lo, s13
	s_cbranch_execnz .LBB39_36
; %bb.33:                               ;   in Loop: Header=BB39_14 Depth=3
	s_andn2_saveexec_b32 s72, s72
	s_cbranch_execnz .LBB39_39
.LBB39_34:                              ;   in Loop: Header=BB39_14 Depth=3
	s_or_b32 exec_lo, exec_lo, s72
	v_cmp_class_f32_e64 s13, v16, 0x1f8
	s_and_saveexec_b32 s72, s13
	s_cbranch_execnz .LBB39_40
.LBB39_35:                              ;   in Loop: Header=BB39_14 Depth=3
	s_or_b32 exec_lo, exec_lo, s72
	s_and_b32 s12, s14, s13
	s_and_saveexec_b32 s13, s12
	s_cbranch_execz .LBB39_13
	s_branch .LBB39_81
.LBB39_36:                              ;   in Loop: Header=BB39_14 Depth=3
	v_mov_b32_e32 v16, 0
	s_mov_b32 s73, exec_lo
	v_cmpx_neq_f32_e32 0, v14
	s_cbranch_execz .LBB39_38
; %bb.37:                               ;   in Loop: Header=BB39_14 Depth=3
	v_div_scale_f32 v16, null, v15, v15, v5
	v_div_scale_f32 v39, vcc_lo, v5, v15, v5
	v_rcp_f32_e32 v37, v16
	v_fma_f32 v38, -v16, v37, 1.0
	v_fmac_f32_e32 v37, v38, v37
	v_mul_f32_e32 v38, v39, v37
	v_fma_f32 v40, -v16, v38, v39
	v_fmac_f32_e32 v38, v40, v37
	v_fma_f32 v16, -v16, v38, v39
	v_div_fmas_f32 v16, v16, v37, v38
	v_div_fixup_f32 v5, v16, v15, v5
	v_fma_f32 v5, v5, v5, 1.0
	v_mul_f32_e32 v16, 0x4f800000, v5
	v_cmp_gt_f32_e32 vcc_lo, 0xf800000, v5
	v_cndmask_b32_e32 v5, v5, v16, vcc_lo
	v_sqrt_f32_e32 v16, v5
	v_add_nc_u32_e32 v37, -1, v16
	v_add_nc_u32_e32 v38, 1, v16
	v_fma_f32 v39, -v37, v16, v5
	v_fma_f32 v40, -v38, v16, v5
	v_cmp_ge_f32_e64 s13, 0, v39
	v_cndmask_b32_e64 v16, v16, v37, s13
	v_cmp_lt_f32_e64 s13, 0, v40
	v_cndmask_b32_e64 v16, v16, v38, s13
	v_mul_f32_e32 v37, 0x37800000, v16
	v_cndmask_b32_e32 v16, v16, v37, vcc_lo
	v_cmp_class_f32_e64 vcc_lo, v5, 0x260
	v_cndmask_b32_e32 v5, v16, v5, vcc_lo
	v_mul_f32_e32 v16, v15, v5
.LBB39_38:                              ;   in Loop: Header=BB39_14 Depth=3
	s_or_b32 exec_lo, exec_lo, s73
                                        ; implicit-def: $vgpr5
                                        ; implicit-def: $vgpr15
	s_andn2_saveexec_b32 s72, s72
	s_cbranch_execz .LBB39_34
.LBB39_39:                              ;   in Loop: Header=BB39_14 Depth=3
	v_div_scale_f32 v16, null, v5, v5, v15
	v_div_scale_f32 v39, vcc_lo, v15, v5, v15
	v_rcp_f32_e32 v37, v16
	v_fma_f32 v38, -v16, v37, 1.0
	v_fmac_f32_e32 v37, v38, v37
	v_mul_f32_e32 v38, v39, v37
	v_fma_f32 v40, -v16, v38, v39
	v_fmac_f32_e32 v38, v40, v37
	v_fma_f32 v16, -v16, v38, v39
	v_div_fmas_f32 v16, v16, v37, v38
	v_div_fixup_f32 v15, v16, v5, v15
	v_fma_f32 v15, v15, v15, 1.0
	v_mul_f32_e32 v16, 0x4f800000, v15
	v_cmp_gt_f32_e32 vcc_lo, 0xf800000, v15
	v_cndmask_b32_e32 v15, v15, v16, vcc_lo
	v_sqrt_f32_e32 v16, v15
	v_add_nc_u32_e32 v37, -1, v16
	v_add_nc_u32_e32 v38, 1, v16
	v_fma_f32 v39, -v37, v16, v15
	v_fma_f32 v40, -v38, v16, v15
	v_cmp_ge_f32_e64 s13, 0, v39
	v_cndmask_b32_e64 v16, v16, v37, s13
	v_cmp_lt_f32_e64 s13, 0, v40
	v_cndmask_b32_e64 v16, v16, v38, s13
	v_mul_f32_e32 v37, 0x37800000, v16
	v_cndmask_b32_e32 v16, v16, v37, vcc_lo
	v_cmp_class_f32_e64 vcc_lo, v15, 0x260
	v_cndmask_b32_e32 v15, v16, v15, vcc_lo
	v_mul_f32_e32 v16, v5, v15
	s_or_b32 exec_lo, exec_lo, s72
	v_cmp_class_f32_e64 s13, v16, 0x1f8
	s_and_saveexec_b32 s72, s13
	s_cbranch_execz .LBB39_35
.LBB39_40:                              ;   in Loop: Header=BB39_14 Depth=3
	s_and_saveexec_b32 s73, s12
	s_xor_b32 s73, exec_lo, s73
	s_cbranch_execz .LBB39_65
; %bb.41:                               ;   in Loop: Header=BB39_14 Depth=3
	s_mov_b32 s12, exec_lo
	v_cmpx_ge_i32_e64 v3, v7
	s_xor_b32 s74, exec_lo, s12
	s_cbranch_execz .LBB39_49
; %bb.42:                               ;   in Loop: Header=BB39_14 Depth=3
	v_lshlrev_b64 v[15:16], 3, v[7:8]
	v_add_co_u32 v37, vcc_lo, s50, v15
	v_add_co_ci_u32_e64 v38, null, s51, v16, vcc_lo
	s_andn2_b32 vcc_lo, exec_lo, s33
	global_store_dwordx2 v[37:38], v[13:14], off
	s_cbranch_vccnz .LBB39_48
; %bb.43:                               ;   in Loop: Header=BB39_14 Depth=3
	v_add_co_u32 v15, vcc_lo, s48, v15
	v_add_co_ci_u32_e64 v16, null, s49, v16, vcc_lo
	s_mov_b32 s12, exec_lo
	global_load_dwordx2 v[15:16], v[15:16], off
	s_waitcnt vmcnt(0)
	v_sub_f32_e32 v5, v15, v13
	v_sub_f32_e32 v15, v16, v14
                                        ; implicit-def: $vgpr14
	v_cmp_gt_f32_e32 vcc_lo, 0, v5
	v_cndmask_b32_e64 v5, v5, -v5, vcc_lo
	v_cmp_gt_f32_e32 vcc_lo, 0, v15
	v_cndmask_b32_e64 v13, v15, -v15, vcc_lo
	v_cmpx_ngt_f32_e32 v5, v13
	s_xor_b32 s75, exec_lo, s12
	s_cbranch_execnz .LBB39_109
; %bb.44:                               ;   in Loop: Header=BB39_14 Depth=3
	s_andn2_saveexec_b32 s75, s75
	s_cbranch_execnz .LBB39_112
.LBB39_45:                              ;   in Loop: Header=BB39_14 Depth=3
	s_or_b32 exec_lo, exec_lo, s75
	v_cmp_class_f32_e64 s75, v14, 0x1f8
	s_and_saveexec_b32 s12, s75
.LBB39_46:                              ;   in Loop: Header=BB39_14 Depth=3
	v_cmp_lt_f32_e32 vcc_lo, v22, v14
	v_cndmask_b32_e32 v22, v22, v14, vcc_lo
.LBB39_47:                              ;   in Loop: Header=BB39_14 Depth=3
	s_or_b32 exec_lo, exec_lo, s12
.LBB39_48:                              ;   in Loop: Header=BB39_14 Depth=3
                                        ; implicit-def: $vgpr13
.LBB39_49:                              ;   in Loop: Header=BB39_14 Depth=3
	s_andn2_saveexec_b32 s74, s74
	s_cbranch_execz .LBB39_64
; %bb.50:                               ;   in Loop: Header=BB39_14 Depth=3
	s_mov_b32 s75, exec_lo
	v_cmpx_lt_i32_e64 v12, v36
	s_cbranch_execz .LBB39_63
; %bb.51:                               ;   in Loop: Header=BB39_14 Depth=3
	v_mov_b32_e32 v5, v12
	s_mov_b32 s12, 0
                                        ; implicit-def: $sgpr76
                                        ; implicit-def: $sgpr78
                                        ; implicit-def: $sgpr77
	s_inst_prefetch 0x1
	s_branch .LBB39_53
	.p2align	6
.LBB39_52:                              ;   in Loop: Header=BB39_53 Depth=4
	s_or_b32 exec_lo, exec_lo, s79
	s_and_b32 s79, exec_lo, s78
	s_or_b32 s12, s79, s12
	s_andn2_b32 s76, s76, exec_lo
	s_and_b32 s79, s77, exec_lo
	s_or_b32 s76, s76, s79
	s_andn2_b32 exec_lo, exec_lo, s12
	s_cbranch_execz .LBB39_55
.LBB39_53:                              ;   Parent Loop BB39_5 Depth=1
                                        ;     Parent Loop BB39_9 Depth=2
                                        ;       Parent Loop BB39_14 Depth=3
                                        ; =>      This Inner Loop Header: Depth=4
	v_add_nc_u32_e32 v15, v11, v5
	s_or_b32 s77, s77, exec_lo
	s_or_b32 s78, s78, exec_lo
	s_mov_b32 s79, exec_lo
	v_ashrrev_i32_e32 v16, 31, v15
	v_lshlrev_b64 v[37:38], 2, v[15:16]
	v_add_co_u32 v37, vcc_lo, s20, v37
	v_add_co_ci_u32_e64 v38, null, s21, v38, vcc_lo
	global_load_dword v37, v[37:38], off
	s_waitcnt vmcnt(0)
	v_subrev_nc_u32_e32 v37, s63, v37
	v_cmpx_ne_u32_e64 v37, v3
	s_cbranch_execz .LBB39_52
; %bb.54:                               ;   in Loop: Header=BB39_53 Depth=4
	v_add_nc_u32_e32 v5, 1, v5
	s_andn2_b32 s78, s78, exec_lo
	s_andn2_b32 s77, s77, exec_lo
	v_cmp_ge_i32_e32 vcc_lo, v5, v36
	s_and_b32 s80, vcc_lo, exec_lo
	s_or_b32 s78, s78, s80
	s_branch .LBB39_52
.LBB39_55:                              ;   in Loop: Header=BB39_14 Depth=3
	s_inst_prefetch 0x2
	s_or_b32 exec_lo, exec_lo, s12
	s_and_saveexec_b32 s12, s76
	s_xor_b32 s76, exec_lo, s12
	s_cbranch_execz .LBB39_62
; %bb.56:                               ;   in Loop: Header=BB39_14 Depth=3
	v_lshlrev_b64 v[15:16], 3, v[15:16]
	v_add_co_u32 v37, vcc_lo, s52, v15
	v_add_co_ci_u32_e64 v38, null, s53, v16, vcc_lo
	s_andn2_b32 vcc_lo, exec_lo, s33
	global_store_dwordx2 v[37:38], v[13:14], off
	s_cbranch_vccnz .LBB39_62
; %bb.57:                               ;   in Loop: Header=BB39_14 Depth=3
	v_add_co_u32 v15, vcc_lo, s22, v15
	v_add_co_ci_u32_e64 v16, null, s23, v16, vcc_lo
	s_mov_b32 s12, exec_lo
	global_load_dwordx2 v[15:16], v[15:16], off
	s_waitcnt vmcnt(0)
	v_sub_f32_e32 v5, v15, v13
	v_sub_f32_e32 v15, v16, v14
                                        ; implicit-def: $vgpr14
	v_cmp_gt_f32_e32 vcc_lo, 0, v5
	v_cndmask_b32_e64 v5, v5, -v5, vcc_lo
	v_cmp_gt_f32_e32 vcc_lo, 0, v15
	v_cndmask_b32_e64 v13, v15, -v15, vcc_lo
	v_cmpx_ngt_f32_e32 v5, v13
	s_xor_b32 s77, exec_lo, s12
	s_cbranch_execnz .LBB39_117
; %bb.58:                               ;   in Loop: Header=BB39_14 Depth=3
	s_andn2_saveexec_b32 s77, s77
	s_cbranch_execnz .LBB39_120
.LBB39_59:                              ;   in Loop: Header=BB39_14 Depth=3
	s_or_b32 exec_lo, exec_lo, s77
	v_cmp_class_f32_e64 s77, v14, 0x1f8
	s_and_saveexec_b32 s12, s77
.LBB39_60:                              ;   in Loop: Header=BB39_14 Depth=3
	v_cmp_lt_f32_e32 vcc_lo, v22, v14
	v_cndmask_b32_e32 v22, v22, v14, vcc_lo
.LBB39_61:                              ;   in Loop: Header=BB39_14 Depth=3
	s_or_b32 exec_lo, exec_lo, s12
.LBB39_62:                              ;   in Loop: Header=BB39_14 Depth=3
	s_or_b32 exec_lo, exec_lo, s76
.LBB39_63:                              ;   in Loop: Header=BB39_14 Depth=3
	s_or_b32 exec_lo, exec_lo, s75
.LBB39_64:                              ;   in Loop: Header=BB39_14 Depth=3
	s_or_b32 exec_lo, exec_lo, s74
                                        ; implicit-def: $vgpr13
.LBB39_65:                              ;   in Loop: Header=BB39_14 Depth=3
	s_andn2_saveexec_b32 s73, s73
	s_cbranch_execz .LBB39_80
; %bb.66:                               ;   in Loop: Header=BB39_14 Depth=3
	s_mov_b32 s74, exec_lo
	v_cmpx_lt_i32_e64 v1, v29
	s_cbranch_execz .LBB39_79
; %bb.67:                               ;   in Loop: Header=BB39_14 Depth=3
	v_mov_b32_e32 v5, v1
	s_mov_b32 s12, 0
                                        ; implicit-def: $sgpr75
                                        ; implicit-def: $sgpr77
                                        ; implicit-def: $sgpr76
	s_inst_prefetch 0x1
	s_branch .LBB39_69
	.p2align	6
.LBB39_68:                              ;   in Loop: Header=BB39_69 Depth=4
	s_or_b32 exec_lo, exec_lo, s78
	s_and_b32 s78, exec_lo, s77
	s_or_b32 s12, s78, s12
	s_andn2_b32 s75, s75, exec_lo
	s_and_b32 s78, s76, exec_lo
	s_or_b32 s75, s75, s78
	s_andn2_b32 exec_lo, exec_lo, s12
	s_cbranch_execz .LBB39_71
.LBB39_69:                              ;   Parent Loop BB39_5 Depth=1
                                        ;     Parent Loop BB39_9 Depth=2
                                        ;       Parent Loop BB39_14 Depth=3
                                        ; =>      This Inner Loop Header: Depth=4
	v_add_nc_u32_e32 v15, v6, v5
	s_or_b32 s76, s76, exec_lo
	s_or_b32 s77, s77, exec_lo
	s_mov_b32 s78, exec_lo
	v_ashrrev_i32_e32 v16, 31, v15
	v_lshlrev_b64 v[37:38], 2, v[15:16]
	v_add_co_u32 v37, vcc_lo, s28, v37
	v_add_co_ci_u32_e64 v38, null, s29, v38, vcc_lo
	global_load_dword v37, v[37:38], off
	s_waitcnt vmcnt(0)
	v_subrev_nc_u32_e32 v37, s62, v37
	v_cmpx_ne_u32_e64 v37, v7
	s_cbranch_execz .LBB39_68
; %bb.70:                               ;   in Loop: Header=BB39_69 Depth=4
	v_add_nc_u32_e32 v5, 1, v5
	s_andn2_b32 s77, s77, exec_lo
	s_andn2_b32 s76, s76, exec_lo
	v_cmp_ge_i32_e32 vcc_lo, v5, v29
	s_and_b32 s79, vcc_lo, exec_lo
	s_or_b32 s77, s77, s79
	s_branch .LBB39_68
.LBB39_71:                              ;   in Loop: Header=BB39_14 Depth=3
	s_inst_prefetch 0x2
	s_or_b32 exec_lo, exec_lo, s12
	s_and_saveexec_b32 s12, s75
	s_xor_b32 s75, exec_lo, s12
	s_cbranch_execz .LBB39_78
; %bb.72:                               ;   in Loop: Header=BB39_14 Depth=3
	v_lshlrev_b64 v[15:16], 3, v[15:16]
	v_add_co_u32 v37, vcc_lo, s54, v15
	v_add_co_ci_u32_e64 v38, null, s55, v16, vcc_lo
	s_andn2_b32 vcc_lo, exec_lo, s33
	global_store_dwordx2 v[37:38], v[13:14], off
	s_cbranch_vccnz .LBB39_78
; %bb.73:                               ;   in Loop: Header=BB39_14 Depth=3
	v_add_co_u32 v15, vcc_lo, s30, v15
	v_add_co_ci_u32_e64 v16, null, s31, v16, vcc_lo
	s_mov_b32 s12, exec_lo
	global_load_dwordx2 v[15:16], v[15:16], off
	s_waitcnt vmcnt(0)
	v_sub_f32_e32 v5, v15, v13
	v_sub_f32_e32 v15, v16, v14
                                        ; implicit-def: $vgpr14
	v_cmp_gt_f32_e32 vcc_lo, 0, v5
	v_cndmask_b32_e64 v5, v5, -v5, vcc_lo
	v_cmp_gt_f32_e32 vcc_lo, 0, v15
	v_cndmask_b32_e64 v13, v15, -v15, vcc_lo
	v_cmpx_ngt_f32_e32 v5, v13
	s_xor_b32 s76, exec_lo, s12
	s_cbranch_execnz .LBB39_113
; %bb.74:                               ;   in Loop: Header=BB39_14 Depth=3
	s_andn2_saveexec_b32 s76, s76
	s_cbranch_execnz .LBB39_116
.LBB39_75:                              ;   in Loop: Header=BB39_14 Depth=3
	s_or_b32 exec_lo, exec_lo, s76
	v_cmp_class_f32_e64 s76, v14, 0x1f8
	s_and_saveexec_b32 s12, s76
.LBB39_76:                              ;   in Loop: Header=BB39_14 Depth=3
	v_cmp_lt_f32_e32 vcc_lo, v22, v14
	v_cndmask_b32_e32 v22, v22, v14, vcc_lo
.LBB39_77:                              ;   in Loop: Header=BB39_14 Depth=3
	s_or_b32 exec_lo, exec_lo, s12
.LBB39_78:                              ;   in Loop: Header=BB39_14 Depth=3
	s_or_b32 exec_lo, exec_lo, s75
.LBB39_79:                              ;   in Loop: Header=BB39_14 Depth=3
	s_or_b32 exec_lo, exec_lo, s74
.LBB39_80:                              ;   in Loop: Header=BB39_14 Depth=3
	s_or_b32 exec_lo, exec_lo, s73
	s_or_b32 exec_lo, exec_lo, s72
	s_and_b32 s12, s14, s13
	s_and_saveexec_b32 s13, s12
	s_cbranch_execz .LBB39_13
.LBB39_81:                              ;   in Loop: Header=BB39_14 Depth=3
	s_mov_b32 s12, exec_lo
	v_cmpx_ge_i32_e64 v12, v36
	s_xor_b32 s12, exec_lo, s12
	s_cbranch_execnz .LBB39_88
; %bb.82:                               ;   in Loop: Header=BB39_14 Depth=3
	s_andn2_saveexec_b32 s12, s12
	s_cbranch_execnz .LBB39_102
.LBB39_83:                              ;   in Loop: Header=BB39_14 Depth=3
	s_or_b32 exec_lo, exec_lo, s12
	s_mov_b32 s12, exec_lo
	v_cmpx_eq_u32_e64 v3, v7
	s_cbranch_execz .LBB39_85
.LBB39_84:                              ;   in Loop: Header=BB39_14 Depth=3
	v_lshlrev_b64 v[7:8], 3, v[7:8]
	v_add_co_u32 v7, vcc_lo, s48, v7
	v_add_co_ci_u32_e64 v8, null, s49, v8, vcc_lo
	global_load_dwordx2 v[7:8], v[7:8], off
	s_waitcnt vmcnt(0)
	v_add_f32_e32 v34, v34, v7
	v_add_f32_e32 v35, v35, v8
.LBB39_85:                              ;   in Loop: Header=BB39_14 Depth=3
	s_or_b32 exec_lo, exec_lo, s12
	v_sub_f32_e32 v1, v9, v34
	v_sub_f32_e32 v8, v10, v35
                                        ; implicit-def: $vgpr7
	s_mov_b32 s12, exec_lo
	v_cmp_gt_f32_e32 vcc_lo, 0, v1
	v_cndmask_b32_e64 v1, v1, -v1, vcc_lo
	v_cmp_gt_f32_e32 vcc_lo, 0, v8
	v_cndmask_b32_e64 v5, v8, -v8, vcc_lo
	v_cmpx_ngt_f32_e32 v1, v5
	s_xor_b32 s72, exec_lo, s12
	s_cbranch_execnz .LBB39_93
; %bb.86:                               ;   in Loop: Header=BB39_14 Depth=3
	s_andn2_saveexec_b32 s72, s72
	s_cbranch_execnz .LBB39_96
.LBB39_87:                              ;   in Loop: Header=BB39_14 Depth=3
	s_or_b32 exec_lo, exec_lo, s72
	v_cmp_class_f32_e64 s72, v7, 0x1f8
	s_and_saveexec_b32 s12, s72
	s_cbranch_execz .LBB39_12
	s_branch .LBB39_97
.LBB39_88:                              ;   in Loop: Header=BB39_14 Depth=3
	s_mov_b32 s72, exec_lo
	v_cmpx_lt_i32_e64 v1, v29
	s_cbranch_execz .LBB39_101
; %bb.89:                               ;   in Loop: Header=BB39_14 Depth=3
	s_mov_b32 s74, 0
                                        ; implicit-def: $sgpr73
                                        ; implicit-def: $sgpr76
                                        ; implicit-def: $sgpr75
	s_inst_prefetch 0x1
	s_branch .LBB39_91
	.p2align	6
.LBB39_90:                              ;   in Loop: Header=BB39_91 Depth=4
	s_or_b32 exec_lo, exec_lo, s77
	s_and_b32 s77, exec_lo, s76
	s_or_b32 s74, s77, s74
	s_andn2_b32 s73, s73, exec_lo
	s_and_b32 s77, s75, exec_lo
	s_or_b32 s73, s73, s77
	s_andn2_b32 exec_lo, exec_lo, s74
	s_cbranch_execz .LBB39_98
.LBB39_91:                              ;   Parent Loop BB39_5 Depth=1
                                        ;     Parent Loop BB39_9 Depth=2
                                        ;       Parent Loop BB39_14 Depth=3
                                        ; =>      This Inner Loop Header: Depth=4
	v_add_nc_u32_e32 v11, v6, v1
	s_or_b32 s75, s75, exec_lo
	s_or_b32 s76, s76, exec_lo
	s_mov_b32 s77, exec_lo
	v_ashrrev_i32_e32 v12, 31, v11
	v_lshlrev_b64 v[13:14], 2, v[11:12]
	v_add_co_u32 v13, vcc_lo, s28, v13
	v_add_co_ci_u32_e64 v14, null, s29, v14, vcc_lo
	global_load_dword v5, v[13:14], off
	s_waitcnt vmcnt(0)
	v_subrev_nc_u32_e32 v5, s62, v5
	v_cmpx_ne_u32_e64 v5, v7
	s_cbranch_execz .LBB39_90
; %bb.92:                               ;   in Loop: Header=BB39_91 Depth=4
	v_add_nc_u32_e32 v1, 1, v1
	s_andn2_b32 s76, s76, exec_lo
	s_andn2_b32 s75, s75, exec_lo
	v_cmp_ge_i32_e32 vcc_lo, v1, v29
	s_and_b32 s78, vcc_lo, exec_lo
	s_or_b32 s76, s76, s78
	s_branch .LBB39_90
.LBB39_93:                              ;   in Loop: Header=BB39_14 Depth=3
	v_mov_b32_e32 v7, 0
	s_mov_b32 s73, exec_lo
	v_cmpx_neq_f32_e32 0, v8
	s_cbranch_execz .LBB39_95
; %bb.94:                               ;   in Loop: Header=BB39_14 Depth=3
	v_div_scale_f32 v7, null, v5, v5, v1
	v_div_scale_f32 v10, vcc_lo, v1, v5, v1
	v_rcp_f32_e32 v8, v7
	v_fma_f32 v9, -v7, v8, 1.0
	v_fmac_f32_e32 v8, v9, v8
	v_mul_f32_e32 v9, v10, v8
	v_fma_f32 v11, -v7, v9, v10
	v_fmac_f32_e32 v9, v11, v8
	v_fma_f32 v7, -v7, v9, v10
	v_div_fmas_f32 v7, v7, v8, v9
	v_div_fixup_f32 v1, v7, v5, v1
	v_fma_f32 v1, v1, v1, 1.0
	v_mul_f32_e32 v7, 0x4f800000, v1
	v_cmp_gt_f32_e32 vcc_lo, 0xf800000, v1
	v_cndmask_b32_e32 v1, v1, v7, vcc_lo
	v_sqrt_f32_e32 v7, v1
	v_add_nc_u32_e32 v8, -1, v7
	v_add_nc_u32_e32 v9, 1, v7
	v_fma_f32 v10, -v8, v7, v1
	v_fma_f32 v11, -v9, v7, v1
	v_cmp_ge_f32_e64 s12, 0, v10
	v_cndmask_b32_e64 v7, v7, v8, s12
	v_cmp_lt_f32_e64 s12, 0, v11
	v_cndmask_b32_e64 v7, v7, v9, s12
	v_mul_f32_e32 v8, 0x37800000, v7
	v_cndmask_b32_e32 v7, v7, v8, vcc_lo
	v_cmp_class_f32_e64 vcc_lo, v1, 0x260
	v_cndmask_b32_e32 v1, v7, v1, vcc_lo
	v_mul_f32_e32 v7, v5, v1
.LBB39_95:                              ;   in Loop: Header=BB39_14 Depth=3
	s_or_b32 exec_lo, exec_lo, s73
                                        ; implicit-def: $vgpr1
                                        ; implicit-def: $vgpr5
	s_andn2_saveexec_b32 s72, s72
	s_cbranch_execz .LBB39_87
.LBB39_96:                              ;   in Loop: Header=BB39_14 Depth=3
	v_div_scale_f32 v7, null, v1, v1, v5
	v_div_scale_f32 v10, vcc_lo, v5, v1, v5
	v_rcp_f32_e32 v8, v7
	v_fma_f32 v9, -v7, v8, 1.0
	v_fmac_f32_e32 v8, v9, v8
	v_mul_f32_e32 v9, v10, v8
	v_fma_f32 v11, -v7, v9, v10
	v_fmac_f32_e32 v9, v11, v8
	v_fma_f32 v7, -v7, v9, v10
	v_div_fmas_f32 v7, v7, v8, v9
	v_div_fixup_f32 v5, v7, v1, v5
	v_fma_f32 v5, v5, v5, 1.0
	v_mul_f32_e32 v7, 0x4f800000, v5
	v_cmp_gt_f32_e32 vcc_lo, 0xf800000, v5
	v_cndmask_b32_e32 v5, v5, v7, vcc_lo
	v_sqrt_f32_e32 v7, v5
	v_add_nc_u32_e32 v8, -1, v7
	v_add_nc_u32_e32 v9, 1, v7
	v_fma_f32 v10, -v8, v7, v5
	v_fma_f32 v11, -v9, v7, v5
	v_cmp_ge_f32_e64 s12, 0, v10
	v_cndmask_b32_e64 v7, v7, v8, s12
	v_cmp_lt_f32_e64 s12, 0, v11
	v_cndmask_b32_e64 v7, v7, v9, s12
	v_mul_f32_e32 v8, 0x37800000, v7
	v_cndmask_b32_e32 v7, v7, v8, vcc_lo
	v_cmp_class_f32_e64 vcc_lo, v5, 0x260
	v_cndmask_b32_e32 v5, v7, v5, vcc_lo
	v_mul_f32_e32 v7, v1, v5
	s_or_b32 exec_lo, exec_lo, s72
	v_cmp_class_f32_e64 s72, v7, 0x1f8
	s_and_saveexec_b32 s12, s72
	s_cbranch_execz .LBB39_12
.LBB39_97:                              ;   in Loop: Header=BB39_14 Depth=3
	v_cmp_lt_f32_e32 vcc_lo, v18, v7
	v_cndmask_b32_e32 v18, v18, v7, vcc_lo
	s_branch .LBB39_12
.LBB39_98:                              ;   in Loop: Header=BB39_14 Depth=3
	s_inst_prefetch 0x2
	s_or_b32 exec_lo, exec_lo, s74
	s_and_saveexec_b32 s74, s73
	s_xor_b32 s73, exec_lo, s74
	s_cbranch_execz .LBB39_100
; %bb.99:                               ;   in Loop: Header=BB39_14 Depth=3
	v_lshlrev_b64 v[11:12], 3, v[11:12]
	v_lshlrev_b64 v[13:14], 3, v[7:8]
	v_add_co_u32 v11, vcc_lo, s30, v11
	v_add_co_ci_u32_e64 v12, null, s31, v12, vcc_lo
	v_add_co_u32 v13, vcc_lo, s48, v13
	v_add_co_ci_u32_e64 v14, null, s49, v14, vcc_lo
	global_load_dwordx2 v[11:12], v[11:12], off
	global_load_dwordx2 v[13:14], v[13:14], off
	s_waitcnt vmcnt(0)
	v_mul_f32_e64 v1, v14, -v12
	v_mul_f32_e32 v5, v14, v11
	v_fmac_f32_e32 v1, v11, v13
	v_fmac_f32_e32 v5, v12, v13
	v_add_f32_e32 v34, v34, v1
	v_add_f32_e32 v35, v35, v5
.LBB39_100:                             ;   in Loop: Header=BB39_14 Depth=3
	s_or_b32 exec_lo, exec_lo, s73
.LBB39_101:                             ;   in Loop: Header=BB39_14 Depth=3
	s_or_b32 exec_lo, exec_lo, s72
                                        ; implicit-def: $vgpr12
                                        ; implicit-def: $vgpr11
                                        ; implicit-def: $vgpr36
	s_andn2_saveexec_b32 s12, s12
	s_cbranch_execz .LBB39_83
.LBB39_102:                             ;   in Loop: Header=BB39_14 Depth=3
	s_mov_b32 s73, 0
                                        ; implicit-def: $sgpr72
                                        ; implicit-def: $sgpr75
                                        ; implicit-def: $sgpr74
	s_inst_prefetch 0x1
	s_branch .LBB39_104
	.p2align	6
.LBB39_103:                             ;   in Loop: Header=BB39_104 Depth=4
	s_or_b32 exec_lo, exec_lo, s76
	s_and_b32 s76, exec_lo, s75
	s_or_b32 s73, s76, s73
	s_andn2_b32 s72, s72, exec_lo
	s_and_b32 s76, s74, exec_lo
	s_or_b32 s72, s72, s76
	s_andn2_b32 exec_lo, exec_lo, s73
	s_cbranch_execz .LBB39_106
.LBB39_104:                             ;   Parent Loop BB39_5 Depth=1
                                        ;     Parent Loop BB39_9 Depth=2
                                        ;       Parent Loop BB39_14 Depth=3
                                        ; =>      This Inner Loop Header: Depth=4
	v_add_nc_u32_e32 v13, v11, v12
	s_or_b32 s74, s74, exec_lo
	s_or_b32 s75, s75, exec_lo
	s_mov_b32 s76, exec_lo
	v_ashrrev_i32_e32 v14, 31, v13
	v_lshlrev_b64 v[15:16], 2, v[13:14]
	v_add_co_u32 v15, vcc_lo, s20, v15
	v_add_co_ci_u32_e64 v16, null, s21, v16, vcc_lo
	global_load_dword v1, v[15:16], off
	s_waitcnt vmcnt(0)
	v_subrev_nc_u32_e32 v1, s63, v1
	v_cmpx_ne_u32_e64 v1, v3
	s_cbranch_execz .LBB39_103
; %bb.105:                              ;   in Loop: Header=BB39_104 Depth=4
	v_add_nc_u32_e32 v12, 1, v12
	s_andn2_b32 s75, s75, exec_lo
	s_andn2_b32 s74, s74, exec_lo
	v_cmp_ge_i32_e32 vcc_lo, v12, v36
	s_and_b32 s77, vcc_lo, exec_lo
	s_or_b32 s75, s75, s77
	s_branch .LBB39_103
.LBB39_106:                             ;   in Loop: Header=BB39_14 Depth=3
	s_inst_prefetch 0x2
	s_or_b32 exec_lo, exec_lo, s73
	s_and_saveexec_b32 s73, s72
	s_xor_b32 s72, exec_lo, s73
	s_cbranch_execz .LBB39_108
; %bb.107:                              ;   in Loop: Header=BB39_14 Depth=3
	v_lshlrev_b64 v[11:12], 3, v[13:14]
	v_add_co_u32 v11, vcc_lo, s22, v11
	v_add_co_ci_u32_e64 v12, null, s23, v12, vcc_lo
	global_load_dwordx2 v[11:12], v[11:12], off
	s_waitcnt vmcnt(0)
	v_add_f32_e32 v34, v34, v11
	v_add_f32_e32 v35, v35, v12
.LBB39_108:                             ;   in Loop: Header=BB39_14 Depth=3
	s_or_b32 exec_lo, exec_lo, s72
	s_or_b32 exec_lo, exec_lo, s12
	s_mov_b32 s12, exec_lo
	v_cmpx_eq_u32_e64 v3, v7
	s_cbranch_execnz .LBB39_84
	s_branch .LBB39_85
.LBB39_109:                             ;   in Loop: Header=BB39_14 Depth=3
	v_mov_b32_e32 v14, 0
	s_mov_b32 s76, exec_lo
	v_cmpx_neq_f32_e32 0, v15
	s_cbranch_execz .LBB39_111
; %bb.110:                              ;   in Loop: Header=BB39_14 Depth=3
	v_div_scale_f32 v14, null, v13, v13, v5
	v_div_scale_f32 v37, vcc_lo, v5, v13, v5
	v_rcp_f32_e32 v15, v14
	v_fma_f32 v16, -v14, v15, 1.0
	v_fmac_f32_e32 v15, v16, v15
	v_mul_f32_e32 v16, v37, v15
	v_fma_f32 v38, -v14, v16, v37
	v_fmac_f32_e32 v16, v38, v15
	v_fma_f32 v14, -v14, v16, v37
	v_div_fmas_f32 v14, v14, v15, v16
	v_div_fixup_f32 v5, v14, v13, v5
	v_fma_f32 v5, v5, v5, 1.0
	v_mul_f32_e32 v14, 0x4f800000, v5
	v_cmp_gt_f32_e32 vcc_lo, 0xf800000, v5
	v_cndmask_b32_e32 v5, v5, v14, vcc_lo
	v_sqrt_f32_e32 v14, v5
	v_add_nc_u32_e32 v15, -1, v14
	v_add_nc_u32_e32 v16, 1, v14
	v_fma_f32 v37, -v15, v14, v5
	v_fma_f32 v38, -v16, v14, v5
	v_cmp_ge_f32_e64 s12, 0, v37
	v_cndmask_b32_e64 v14, v14, v15, s12
	v_cmp_lt_f32_e64 s12, 0, v38
	v_cndmask_b32_e64 v14, v14, v16, s12
	v_mul_f32_e32 v15, 0x37800000, v14
	v_cndmask_b32_e32 v14, v14, v15, vcc_lo
	v_cmp_class_f32_e64 vcc_lo, v5, 0x260
	v_cndmask_b32_e32 v5, v14, v5, vcc_lo
	v_mul_f32_e32 v14, v13, v5
.LBB39_111:                             ;   in Loop: Header=BB39_14 Depth=3
	s_or_b32 exec_lo, exec_lo, s76
                                        ; implicit-def: $vgpr5
                                        ; implicit-def: $vgpr13
	s_andn2_saveexec_b32 s75, s75
	s_cbranch_execz .LBB39_45
.LBB39_112:                             ;   in Loop: Header=BB39_14 Depth=3
	v_div_scale_f32 v14, null, v5, v5, v13
	v_div_scale_f32 v37, vcc_lo, v13, v5, v13
	v_rcp_f32_e32 v15, v14
	v_fma_f32 v16, -v14, v15, 1.0
	v_fmac_f32_e32 v15, v16, v15
	v_mul_f32_e32 v16, v37, v15
	v_fma_f32 v38, -v14, v16, v37
	v_fmac_f32_e32 v16, v38, v15
	v_fma_f32 v14, -v14, v16, v37
	v_div_fmas_f32 v14, v14, v15, v16
	v_div_fixup_f32 v13, v14, v5, v13
	v_fma_f32 v13, v13, v13, 1.0
	v_mul_f32_e32 v14, 0x4f800000, v13
	v_cmp_gt_f32_e32 vcc_lo, 0xf800000, v13
	v_cndmask_b32_e32 v13, v13, v14, vcc_lo
	v_sqrt_f32_e32 v14, v13
	v_add_nc_u32_e32 v15, -1, v14
	v_add_nc_u32_e32 v16, 1, v14
	v_fma_f32 v37, -v15, v14, v13
	v_fma_f32 v38, -v16, v14, v13
	v_cmp_ge_f32_e64 s12, 0, v37
	v_cndmask_b32_e64 v14, v14, v15, s12
	v_cmp_lt_f32_e64 s12, 0, v38
	v_cndmask_b32_e64 v14, v14, v16, s12
	v_mul_f32_e32 v15, 0x37800000, v14
	v_cndmask_b32_e32 v14, v14, v15, vcc_lo
	v_cmp_class_f32_e64 vcc_lo, v13, 0x260
	v_cndmask_b32_e32 v13, v14, v13, vcc_lo
	v_mul_f32_e32 v14, v5, v13
	s_or_b32 exec_lo, exec_lo, s75
	v_cmp_class_f32_e64 s75, v14, 0x1f8
	s_and_saveexec_b32 s12, s75
	s_cbranch_execnz .LBB39_46
	s_branch .LBB39_47
.LBB39_113:                             ;   in Loop: Header=BB39_14 Depth=3
	v_mov_b32_e32 v14, 0
	s_mov_b32 s77, exec_lo
	v_cmpx_neq_f32_e32 0, v15
	s_cbranch_execz .LBB39_115
; %bb.114:                              ;   in Loop: Header=BB39_14 Depth=3
	v_div_scale_f32 v14, null, v13, v13, v5
	v_div_scale_f32 v37, vcc_lo, v5, v13, v5
	v_rcp_f32_e32 v15, v14
	v_fma_f32 v16, -v14, v15, 1.0
	v_fmac_f32_e32 v15, v16, v15
	v_mul_f32_e32 v16, v37, v15
	v_fma_f32 v38, -v14, v16, v37
	v_fmac_f32_e32 v16, v38, v15
	v_fma_f32 v14, -v14, v16, v37
	v_div_fmas_f32 v14, v14, v15, v16
	v_div_fixup_f32 v5, v14, v13, v5
	v_fma_f32 v5, v5, v5, 1.0
	v_mul_f32_e32 v14, 0x4f800000, v5
	v_cmp_gt_f32_e32 vcc_lo, 0xf800000, v5
	v_cndmask_b32_e32 v5, v5, v14, vcc_lo
	v_sqrt_f32_e32 v14, v5
	v_add_nc_u32_e32 v15, -1, v14
	v_add_nc_u32_e32 v16, 1, v14
	v_fma_f32 v37, -v15, v14, v5
	v_fma_f32 v38, -v16, v14, v5
	v_cmp_ge_f32_e64 s12, 0, v37
	v_cndmask_b32_e64 v14, v14, v15, s12
	v_cmp_lt_f32_e64 s12, 0, v38
	v_cndmask_b32_e64 v14, v14, v16, s12
	v_mul_f32_e32 v15, 0x37800000, v14
	v_cndmask_b32_e32 v14, v14, v15, vcc_lo
	v_cmp_class_f32_e64 vcc_lo, v5, 0x260
	v_cndmask_b32_e32 v5, v14, v5, vcc_lo
	v_mul_f32_e32 v14, v13, v5
.LBB39_115:                             ;   in Loop: Header=BB39_14 Depth=3
	s_or_b32 exec_lo, exec_lo, s77
                                        ; implicit-def: $vgpr5
                                        ; implicit-def: $vgpr13
	s_andn2_saveexec_b32 s76, s76
	s_cbranch_execz .LBB39_75
.LBB39_116:                             ;   in Loop: Header=BB39_14 Depth=3
	v_div_scale_f32 v14, null, v5, v5, v13
	v_div_scale_f32 v37, vcc_lo, v13, v5, v13
	v_rcp_f32_e32 v15, v14
	v_fma_f32 v16, -v14, v15, 1.0
	v_fmac_f32_e32 v15, v16, v15
	v_mul_f32_e32 v16, v37, v15
	v_fma_f32 v38, -v14, v16, v37
	v_fmac_f32_e32 v16, v38, v15
	v_fma_f32 v14, -v14, v16, v37
	v_div_fmas_f32 v14, v14, v15, v16
	v_div_fixup_f32 v13, v14, v5, v13
	v_fma_f32 v13, v13, v13, 1.0
	v_mul_f32_e32 v14, 0x4f800000, v13
	v_cmp_gt_f32_e32 vcc_lo, 0xf800000, v13
	v_cndmask_b32_e32 v13, v13, v14, vcc_lo
	v_sqrt_f32_e32 v14, v13
	v_add_nc_u32_e32 v15, -1, v14
	v_add_nc_u32_e32 v16, 1, v14
	v_fma_f32 v37, -v15, v14, v13
	v_fma_f32 v38, -v16, v14, v13
	v_cmp_ge_f32_e64 s12, 0, v37
	v_cndmask_b32_e64 v14, v14, v15, s12
	v_cmp_lt_f32_e64 s12, 0, v38
	v_cndmask_b32_e64 v14, v14, v16, s12
	v_mul_f32_e32 v15, 0x37800000, v14
	v_cndmask_b32_e32 v14, v14, v15, vcc_lo
	v_cmp_class_f32_e64 vcc_lo, v13, 0x260
	v_cndmask_b32_e32 v13, v14, v13, vcc_lo
	v_mul_f32_e32 v14, v5, v13
	s_or_b32 exec_lo, exec_lo, s76
	v_cmp_class_f32_e64 s76, v14, 0x1f8
	s_and_saveexec_b32 s12, s76
	s_cbranch_execnz .LBB39_76
	s_branch .LBB39_77
.LBB39_117:                             ;   in Loop: Header=BB39_14 Depth=3
	v_mov_b32_e32 v14, 0
	s_mov_b32 s78, exec_lo
	v_cmpx_neq_f32_e32 0, v15
	s_cbranch_execz .LBB39_119
; %bb.118:                              ;   in Loop: Header=BB39_14 Depth=3
	v_div_scale_f32 v14, null, v13, v13, v5
	v_div_scale_f32 v37, vcc_lo, v5, v13, v5
	v_rcp_f32_e32 v15, v14
	v_fma_f32 v16, -v14, v15, 1.0
	v_fmac_f32_e32 v15, v16, v15
	v_mul_f32_e32 v16, v37, v15
	v_fma_f32 v38, -v14, v16, v37
	v_fmac_f32_e32 v16, v38, v15
	v_fma_f32 v14, -v14, v16, v37
	v_div_fmas_f32 v14, v14, v15, v16
	v_div_fixup_f32 v5, v14, v13, v5
	v_fma_f32 v5, v5, v5, 1.0
	v_mul_f32_e32 v14, 0x4f800000, v5
	v_cmp_gt_f32_e32 vcc_lo, 0xf800000, v5
	v_cndmask_b32_e32 v5, v5, v14, vcc_lo
	v_sqrt_f32_e32 v14, v5
	v_add_nc_u32_e32 v15, -1, v14
	v_add_nc_u32_e32 v16, 1, v14
	v_fma_f32 v37, -v15, v14, v5
	v_fma_f32 v38, -v16, v14, v5
	v_cmp_ge_f32_e64 s12, 0, v37
	v_cndmask_b32_e64 v14, v14, v15, s12
	v_cmp_lt_f32_e64 s12, 0, v38
	v_cndmask_b32_e64 v14, v14, v16, s12
	v_mul_f32_e32 v15, 0x37800000, v14
	v_cndmask_b32_e32 v14, v14, v15, vcc_lo
	v_cmp_class_f32_e64 vcc_lo, v5, 0x260
	v_cndmask_b32_e32 v5, v14, v5, vcc_lo
	v_mul_f32_e32 v14, v13, v5
.LBB39_119:                             ;   in Loop: Header=BB39_14 Depth=3
	s_or_b32 exec_lo, exec_lo, s78
                                        ; implicit-def: $vgpr5
                                        ; implicit-def: $vgpr13
	s_andn2_saveexec_b32 s77, s77
	s_cbranch_execz .LBB39_59
.LBB39_120:                             ;   in Loop: Header=BB39_14 Depth=3
	v_div_scale_f32 v14, null, v5, v5, v13
	v_div_scale_f32 v37, vcc_lo, v13, v5, v13
	v_rcp_f32_e32 v15, v14
	v_fma_f32 v16, -v14, v15, 1.0
	v_fmac_f32_e32 v15, v16, v15
	v_mul_f32_e32 v16, v37, v15
	v_fma_f32 v38, -v14, v16, v37
	v_fmac_f32_e32 v16, v38, v15
	v_fma_f32 v14, -v14, v16, v37
	v_div_fmas_f32 v14, v14, v15, v16
	v_div_fixup_f32 v13, v14, v5, v13
	v_fma_f32 v13, v13, v13, 1.0
	v_mul_f32_e32 v14, 0x4f800000, v13
	v_cmp_gt_f32_e32 vcc_lo, 0xf800000, v13
	v_cndmask_b32_e32 v13, v13, v14, vcc_lo
	v_sqrt_f32_e32 v14, v13
	v_add_nc_u32_e32 v15, -1, v14
	v_add_nc_u32_e32 v16, 1, v14
	v_fma_f32 v37, -v15, v14, v13
	v_fma_f32 v38, -v16, v14, v13
	v_cmp_ge_f32_e64 s12, 0, v37
	v_cndmask_b32_e64 v14, v14, v15, s12
	v_cmp_lt_f32_e64 s12, 0, v38
	v_cndmask_b32_e64 v14, v14, v16, s12
	v_mul_f32_e32 v15, 0x37800000, v14
	v_cndmask_b32_e32 v14, v14, v15, vcc_lo
	v_cmp_class_f32_e64 vcc_lo, v13, 0x260
	v_cndmask_b32_e32 v13, v14, v13, vcc_lo
	v_mul_f32_e32 v14, v5, v13
	s_or_b32 exec_lo, exec_lo, s77
	v_cmp_class_f32_e64 s77, v14, 0x1f8
	s_and_saveexec_b32 s12, s77
	s_cbranch_execnz .LBB39_60
	s_branch .LBB39_61
.LBB39_121:                             ;   in Loop: Header=BB39_5 Depth=1
	v_xor_b32_e32 v5, 8, v21
	v_xor_b32_e32 v4, 4, v21
	;; [unrolled: 1-line block ×4, first 2 shown]
	s_and_b32 vcc_lo, exec_lo, s33
	s_cbranch_vccnz .LBB39_124
; %bb.122:                              ;   in Loop: Header=BB39_5 Depth=1
	s_andn2_b32 vcc_lo, exec_lo, s14
	s_cbranch_vccz .LBB39_139
.LBB39_123:                             ;   in Loop: Header=BB39_5 Depth=1
	s_and_saveexec_b32 s12, s9
	s_cbranch_execnz .LBB39_154
	s_branch .LBB39_165
.LBB39_124:                             ;   in Loop: Header=BB39_5 Depth=1
	v_cmp_gt_i32_e32 vcc_lo, 32, v5
	v_cndmask_b32_e32 v6, v21, v5, vcc_lo
	v_cmp_gt_i32_e32 vcc_lo, 32, v4
	v_lshlrev_b32_e32 v6, 2, v6
	v_cndmask_b32_e32 v7, v21, v4, vcc_lo
	ds_bpermute_b32 v6, v6, v22
	v_lshlrev_b32_e32 v7, 2, v7
	s_waitcnt lgkmcnt(0)
	v_cmp_lt_f32_e32 vcc_lo, v22, v6
	v_cndmask_b32_e32 v6, v22, v6, vcc_lo
	v_cmp_gt_i32_e32 vcc_lo, 32, v3
	ds_bpermute_b32 v7, v7, v6
	v_cndmask_b32_e32 v8, v21, v3, vcc_lo
	v_lshlrev_b32_e32 v8, 2, v8
	s_waitcnt lgkmcnt(0)
	v_cmp_lt_f32_e32 vcc_lo, v6, v7
	v_cndmask_b32_e32 v6, v6, v7, vcc_lo
	v_cmp_gt_i32_e32 vcc_lo, 32, v1
	ds_bpermute_b32 v7, v8, v6
	v_cndmask_b32_e32 v8, v21, v1, vcc_lo
	s_waitcnt lgkmcnt(0)
	v_cmp_lt_f32_e32 vcc_lo, v6, v7
	v_cndmask_b32_e32 v6, v6, v7, vcc_lo
	v_lshlrev_b32_e32 v7, 2, v8
	ds_bpermute_b32 v7, v7, v6
	s_and_saveexec_b32 s11, s0
	s_cbranch_execz .LBB39_126
; %bb.125:                              ;   in Loop: Header=BB39_5 Depth=1
	s_waitcnt lgkmcnt(0)
	v_cmp_lt_f32_e32 vcc_lo, v6, v7
	v_cndmask_b32_e32 v6, v6, v7, vcc_lo
	ds_write_b32 v24, v6
.LBB39_126:                             ;   in Loop: Header=BB39_5 Depth=1
	s_or_b32 exec_lo, exec_lo, s11
	s_waitcnt lgkmcnt(0)
	s_waitcnt_vscnt null, 0x0
	s_barrier
	buffer_gl0_inv
	s_and_saveexec_b32 s11, s1
	s_cbranch_execz .LBB39_128
; %bb.127:                              ;   in Loop: Header=BB39_5 Depth=1
	ds_read2_b32 v[6:7], v17 offset1:32
	s_waitcnt lgkmcnt(0)
	v_cmp_lt_f32_e32 vcc_lo, v6, v7
	v_cndmask_b32_e32 v6, v6, v7, vcc_lo
	ds_write_b32 v17, v6
.LBB39_128:                             ;   in Loop: Header=BB39_5 Depth=1
	s_or_b32 exec_lo, exec_lo, s11
	s_waitcnt lgkmcnt(0)
	s_barrier
	buffer_gl0_inv
	s_and_saveexec_b32 s11, s2
	s_cbranch_execz .LBB39_130
; %bb.129:                              ;   in Loop: Header=BB39_5 Depth=1
	ds_read2_b32 v[6:7], v17 offset1:16
	s_waitcnt lgkmcnt(0)
	v_cmp_lt_f32_e32 vcc_lo, v6, v7
	v_cndmask_b32_e32 v6, v6, v7, vcc_lo
	ds_write_b32 v17, v6
.LBB39_130:                             ;   in Loop: Header=BB39_5 Depth=1
	s_or_b32 exec_lo, exec_lo, s11
	s_waitcnt lgkmcnt(0)
	;; [unrolled: 13-line block ×5, first 2 shown]
	s_barrier
	buffer_gl0_inv
	s_and_saveexec_b32 s11, s8
	s_cbranch_execz .LBB39_138
; %bb.137:                              ;   in Loop: Header=BB39_5 Depth=1
	ds_read_b64 v[6:7], v2
	s_waitcnt lgkmcnt(0)
	v_cmp_lt_f32_e32 vcc_lo, v6, v7
	v_cndmask_b32_e32 v6, v6, v7, vcc_lo
	ds_write_b32 v2, v6
.LBB39_138:                             ;   in Loop: Header=BB39_5 Depth=1
	s_or_b32 exec_lo, exec_lo, s11
	s_waitcnt lgkmcnt(0)
	s_barrier
	buffer_gl0_inv
	ds_read_b32 v6, v2
	s_load_dword s11, s[56:57], 0x0
	s_waitcnt lgkmcnt(0)
	v_div_scale_f32 v7, null, s11, s11, v6
	v_rcp_f32_e32 v8, v7
	v_fma_f32 v9, -v7, v8, 1.0
	v_fmac_f32_e32 v8, v9, v8
	v_div_scale_f32 v9, vcc_lo, v6, s11, v6
	v_mul_f32_e32 v10, v9, v8
	v_fma_f32 v11, -v7, v10, v9
	v_fmac_f32_e32 v10, v11, v8
	v_fma_f32 v7, -v7, v10, v9
	v_div_fmas_f32 v7, v7, v8, v10
	v_div_fixup_f32 v22, v7, s11, v6
	s_andn2_b32 vcc_lo, exec_lo, s14
	s_cbranch_vccnz .LBB39_123
.LBB39_139:                             ;   in Loop: Header=BB39_5 Depth=1
	v_cmp_gt_i32_e32 vcc_lo, 32, v5
	v_cndmask_b32_e32 v5, v21, v5, vcc_lo
	v_cmp_gt_i32_e32 vcc_lo, 32, v4
	v_lshlrev_b32_e32 v5, 2, v5
	v_cndmask_b32_e32 v4, v21, v4, vcc_lo
	ds_bpermute_b32 v5, v5, v18
	v_lshlrev_b32_e32 v4, 2, v4
	s_waitcnt lgkmcnt(0)
	v_cmp_lt_f32_e32 vcc_lo, v18, v5
	v_cndmask_b32_e32 v5, v18, v5, vcc_lo
	v_cmp_gt_i32_e32 vcc_lo, 32, v3
	ds_bpermute_b32 v4, v4, v5
	v_cndmask_b32_e32 v3, v21, v3, vcc_lo
	v_lshlrev_b32_e32 v3, 2, v3
	s_waitcnt lgkmcnt(0)
	v_cmp_lt_f32_e32 vcc_lo, v5, v4
	v_cndmask_b32_e32 v4, v5, v4, vcc_lo
	v_cmp_gt_i32_e32 vcc_lo, 32, v1
	ds_bpermute_b32 v3, v3, v4
	v_cndmask_b32_e32 v5, v21, v1, vcc_lo
	s_waitcnt lgkmcnt(0)
	v_cmp_lt_f32_e32 vcc_lo, v4, v3
	v_cndmask_b32_e32 v1, v4, v3, vcc_lo
	v_lshlrev_b32_e32 v3, 2, v5
	ds_bpermute_b32 v3, v3, v1
	s_and_saveexec_b32 s11, s0
	s_cbranch_execz .LBB39_141
; %bb.140:                              ;   in Loop: Header=BB39_5 Depth=1
	s_waitcnt lgkmcnt(0)
	v_cmp_lt_f32_e32 vcc_lo, v1, v3
	v_cndmask_b32_e32 v1, v1, v3, vcc_lo
	ds_write_b32 v24, v1
.LBB39_141:                             ;   in Loop: Header=BB39_5 Depth=1
	s_or_b32 exec_lo, exec_lo, s11
	s_waitcnt lgkmcnt(0)
	s_waitcnt_vscnt null, 0x0
	s_barrier
	buffer_gl0_inv
	s_and_saveexec_b32 s11, s1
	s_cbranch_execz .LBB39_143
; %bb.142:                              ;   in Loop: Header=BB39_5 Depth=1
	ds_read2_b32 v[3:4], v17 offset1:32
	s_waitcnt lgkmcnt(0)
	v_cmp_lt_f32_e32 vcc_lo, v3, v4
	v_cndmask_b32_e32 v1, v3, v4, vcc_lo
	ds_write_b32 v17, v1
.LBB39_143:                             ;   in Loop: Header=BB39_5 Depth=1
	s_or_b32 exec_lo, exec_lo, s11
	s_waitcnt lgkmcnt(0)
	s_barrier
	buffer_gl0_inv
	s_and_saveexec_b32 s11, s2
	s_cbranch_execz .LBB39_145
; %bb.144:                              ;   in Loop: Header=BB39_5 Depth=1
	ds_read2_b32 v[3:4], v17 offset1:16
	s_waitcnt lgkmcnt(0)
	v_cmp_lt_f32_e32 vcc_lo, v3, v4
	v_cndmask_b32_e32 v1, v3, v4, vcc_lo
	ds_write_b32 v17, v1
.LBB39_145:                             ;   in Loop: Header=BB39_5 Depth=1
	s_or_b32 exec_lo, exec_lo, s11
	s_waitcnt lgkmcnt(0)
	;; [unrolled: 13-line block ×5, first 2 shown]
	s_barrier
	buffer_gl0_inv
	s_and_saveexec_b32 s11, s8
	s_cbranch_execz .LBB39_153
; %bb.152:                              ;   in Loop: Header=BB39_5 Depth=1
	ds_read_b64 v[3:4], v2
	s_waitcnt lgkmcnt(0)
	v_cmp_lt_f32_e32 vcc_lo, v3, v4
	v_cndmask_b32_e32 v1, v3, v4, vcc_lo
	ds_write_b32 v2, v1
.LBB39_153:                             ;   in Loop: Header=BB39_5 Depth=1
	s_or_b32 exec_lo, exec_lo, s11
	s_waitcnt lgkmcnt(0)
	s_barrier
	buffer_gl0_inv
	ds_read_b32 v1, v2
	s_load_dword s11, s[56:57], 0x0
	s_waitcnt lgkmcnt(0)
	v_div_scale_f32 v3, null, s11, s11, v1
	v_rcp_f32_e32 v4, v3
	v_fma_f32 v5, -v3, v4, 1.0
	v_fmac_f32_e32 v4, v5, v4
	v_div_scale_f32 v5, vcc_lo, v1, s11, v1
	v_mul_f32_e32 v6, v5, v4
	v_fma_f32 v7, -v3, v6, v5
	v_fmac_f32_e32 v6, v7, v4
	v_fma_f32 v3, -v3, v6, v5
	v_div_fmas_f32 v3, v3, v4, v6
	v_div_fixup_f32 v18, v3, s11, v1
	s_and_saveexec_b32 s12, s9
	s_cbranch_execz .LBB39_165
.LBB39_154:                             ;   in Loop: Header=BB39_5 Depth=1
	v_mov_b32_e32 v3, v23
	s_mov_b32 s13, 0
	s_branch .LBB39_156
.LBB39_155:                             ;   in Loop: Header=BB39_156 Depth=2
	s_or_b32 exec_lo, exec_lo, s68
	v_add_nc_u32_e32 v3, 64, v3
	v_cmp_le_u32_e32 vcc_lo, s64, v3
	s_or_b32 s13, vcc_lo, s13
	s_andn2_b32 exec_lo, exec_lo, s13
	s_cbranch_execz .LBB39_165
.LBB39_156:                             ;   Parent Loop BB39_5 Depth=1
                                        ; =>  This Loop Header: Depth=2
                                        ;       Child Loop BB39_159 Depth 3
                                        ;       Child Loop BB39_162 Depth 3
	s_mov_b32 s68, exec_lo
	v_cmpx_gt_i32_e64 s35, v3
	s_cbranch_execz .LBB39_155
; %bb.157:                              ;   in Loop: Header=BB39_156 Depth=2
	v_ashrrev_i32_e32 v4, 31, v3
	s_mov_b32 s69, exec_lo
	v_lshlrev_b64 v[5:6], 2, v[3:4]
	v_add_co_u32 v7, vcc_lo, s24, v5
	v_add_co_ci_u32_e64 v8, null, s25, v6, vcc_lo
	v_add_co_u32 v9, vcc_lo, s26, v5
	v_add_co_ci_u32_e64 v10, null, s27, v6, vcc_lo
	global_load_dword v1, v[7:8], off
	global_load_dword v8, v[9:10], off
	s_waitcnt vmcnt(1)
	v_add_nc_u32_e32 v7, v26, v1
	s_waitcnt vmcnt(0)
	v_subrev_nc_u32_e32 v1, s62, v8
	v_cmpx_lt_i32_e64 v7, v1
	s_cbranch_execz .LBB39_160
; %bb.158:                              ;   in Loop: Header=BB39_156 Depth=2
	v_ashrrev_i32_e32 v8, 31, v7
	s_mov_b32 s70, 0
	v_lshlrev_b64 v[10:11], 3, v[7:8]
	v_add_co_u32 v8, vcc_lo, s54, v10
	v_add_co_ci_u32_e64 v9, null, s55, v11, vcc_lo
	v_add_co_u32 v10, vcc_lo, s30, v10
	v_add_co_ci_u32_e64 v11, null, s31, v11, vcc_lo
	.p2align	6
.LBB39_159:                             ;   Parent Loop BB39_5 Depth=1
                                        ;     Parent Loop BB39_156 Depth=2
                                        ; =>    This Inner Loop Header: Depth=3
	global_load_dwordx2 v[12:13], v[8:9], off
	v_add_nc_u32_e32 v7, 16, v7
	v_add_co_u32 v8, vcc_lo, 0x80, v8
	v_add_co_ci_u32_e64 v9, null, 0, v9, vcc_lo
	v_cmp_ge_i32_e32 vcc_lo, v7, v1
	s_or_b32 s70, vcc_lo, s70
	s_waitcnt vmcnt(0)
	global_store_dwordx2 v[10:11], v[12:13], off
	v_add_co_u32 v10, s11, 0x80, v10
	v_add_co_ci_u32_e64 v11, null, 0, v11, s11
	s_andn2_b32 exec_lo, exec_lo, s70
	s_cbranch_execnz .LBB39_159
.LBB39_160:                             ;   in Loop: Header=BB39_156 Depth=2
	s_or_b32 exec_lo, exec_lo, s69
	v_add_co_u32 v7, vcc_lo, s16, v5
	v_add_co_ci_u32_e64 v8, null, s17, v6, vcc_lo
	v_add_co_u32 v5, vcc_lo, s18, v5
	v_add_co_ci_u32_e64 v6, null, s19, v6, vcc_lo
	global_load_dword v1, v[7:8], off
	global_load_dword v6, v[5:6], off
	s_mov_b32 s69, exec_lo
	s_waitcnt vmcnt(1)
	v_add_nc_u32_e32 v5, v27, v1
	s_waitcnt vmcnt(0)
	v_subrev_nc_u32_e32 v1, s63, v6
	v_cmpx_lt_i32_e64 v5, v1
	s_cbranch_execz .LBB39_163
; %bb.161:                              ;   in Loop: Header=BB39_156 Depth=2
	v_ashrrev_i32_e32 v6, 31, v5
	s_mov_b32 s70, 0
	v_lshlrev_b64 v[8:9], 3, v[5:6]
	v_add_co_u32 v6, vcc_lo, s52, v8
	v_add_co_ci_u32_e64 v7, null, s53, v9, vcc_lo
	v_add_co_u32 v8, vcc_lo, s22, v8
	v_add_co_ci_u32_e64 v9, null, s23, v9, vcc_lo
	.p2align	6
.LBB39_162:                             ;   Parent Loop BB39_5 Depth=1
                                        ;     Parent Loop BB39_156 Depth=2
                                        ; =>    This Inner Loop Header: Depth=3
	global_load_dwordx2 v[10:11], v[6:7], off
	v_add_nc_u32_e32 v5, 16, v5
	v_add_co_u32 v6, vcc_lo, 0x80, v6
	v_add_co_ci_u32_e64 v7, null, 0, v7, vcc_lo
	v_cmp_ge_i32_e32 vcc_lo, v5, v1
	s_or_b32 s70, vcc_lo, s70
	s_waitcnt vmcnt(0)
	global_store_dwordx2 v[8:9], v[10:11], off
	v_add_co_u32 v8, s11, 0x80, v8
	v_add_co_ci_u32_e64 v9, null, 0, v9, s11
	s_andn2_b32 exec_lo, exec_lo, s70
	s_cbranch_execnz .LBB39_162
.LBB39_163:                             ;   in Loop: Header=BB39_156 Depth=2
	s_or_b32 exec_lo, exec_lo, s69
	s_and_b32 exec_lo, exec_lo, s10
	s_cbranch_execz .LBB39_155
; %bb.164:                              ;   in Loop: Header=BB39_156 Depth=2
	v_lshlrev_b64 v[4:5], 3, v[3:4]
	v_add_co_u32 v6, vcc_lo, s50, v4
	v_add_co_ci_u32_e64 v7, null, s51, v5, vcc_lo
	v_add_co_u32 v4, vcc_lo, s48, v4
	v_add_co_ci_u32_e64 v5, null, s49, v5, vcc_lo
	global_load_dwordx2 v[6:7], v[6:7], off
	s_waitcnt vmcnt(0)
	global_store_dwordx2 v[4:5], v[6:7], off
	s_branch .LBB39_155
.LBB39_165:                             ;   in Loop: Header=BB39_5 Depth=1
	s_or_b32 exec_lo, exec_lo, s12
	s_mov_b32 s12, -1
	s_and_b32 vcc_lo, exec_lo, s58
	s_mov_b32 s13, -1
	s_cbranch_vccz .LBB39_175
; %bb.166:                              ;   in Loop: Header=BB39_5 Depth=1
	s_and_b32 vcc_lo, exec_lo, s66
	s_mov_b32 s11, -1
                                        ; implicit-def: $sgpr13
	s_cbranch_vccz .LBB39_172
; %bb.167:                              ;   in Loop: Header=BB39_5 Depth=1
	s_and_b32 vcc_lo, exec_lo, s65
                                        ; implicit-def: $sgpr13
	s_cbranch_vccz .LBB39_169
; %bb.168:                              ;   in Loop: Header=BB39_5 Depth=1
	v_cmp_ge_f32_e64 s13, s34, v18
	s_mov_b32 s11, 0
.LBB39_169:                             ;   in Loop: Header=BB39_5 Depth=1
	s_andn2_b32 vcc_lo, exec_lo, s11
	s_cbranch_vccnz .LBB39_171
; %bb.170:                              ;   in Loop: Header=BB39_5 Depth=1
	v_cmp_ge_f32_e32 vcc_lo, s34, v22
	s_andn2_b32 s11, s13, exec_lo
	s_and_b32 s13, vcc_lo, exec_lo
	s_or_b32 s13, s11, s13
.LBB39_171:                             ;   in Loop: Header=BB39_5 Depth=1
	s_mov_b32 s11, 0
.LBB39_172:                             ;   in Loop: Header=BB39_5 Depth=1
	s_andn2_b32 vcc_lo, exec_lo, s11
	s_cbranch_vccnz .LBB39_174
; %bb.173:                              ;   in Loop: Header=BB39_5 Depth=1
	v_cmp_ge_f32_e32 vcc_lo, s34, v22
	v_cmp_ge_f32_e64 s11, s34, v18
	s_andn2_b32 s13, s13, exec_lo
	s_and_b32 s11, vcc_lo, s11
	s_and_b32 s11, s11, exec_lo
	s_or_b32 s13, s13, s11
.LBB39_174:                             ;   in Loop: Header=BB39_5 Depth=1
	s_xor_b32 s13, s13, -1
.LBB39_175:                             ;   in Loop: Header=BB39_5 Depth=1
	v_mov_b32_e32 v1, s67
	s_and_saveexec_b32 s11, s13
	s_cbranch_execz .LBB39_4
; %bb.176:                              ;   in Loop: Header=BB39_5 Depth=1
	s_add_i32 s67, s67, 1
	v_mov_b32_e32 v1, s15
	s_cmp_eq_u32 s67, s15
	s_cselect_b32 s12, -1, 0
	s_orn2_b32 s12, s12, exec_lo
	s_branch .LBB39_4
.LBB39_177:
	s_or_b32 exec_lo, exec_lo, s59
	s_or_b32 exec_lo, exec_lo, s60
	s_andn2_b32 vcc_lo, exec_lo, s58
	s_cbranch_vccnz .LBB39_2
.LBB39_178:
	v_xor_b32_e32 v2, 8, v21
	v_xor_b32_e32 v3, 4, v21
	s_mov_b32 s0, exec_lo
	v_cmp_gt_i32_e32 vcc_lo, 32, v2
	v_cndmask_b32_e32 v2, v21, v2, vcc_lo
	v_cmp_gt_i32_e32 vcc_lo, 32, v3
	v_lshlrev_b32_e32 v2, 2, v2
	v_cndmask_b32_e32 v3, v21, v3, vcc_lo
	ds_bpermute_b32 v2, v2, v1
	v_lshlrev_b32_e32 v3, 2, v3
	s_waitcnt lgkmcnt(0)
	v_max_i32_e32 v1, v1, v2
	ds_bpermute_b32 v2, v3, v1
	v_xor_b32_e32 v3, 2, v21
	v_cmp_gt_i32_e32 vcc_lo, 32, v3
	v_cndmask_b32_e32 v3, v21, v3, vcc_lo
	v_lshlrev_b32_e32 v3, 2, v3
	s_waitcnt lgkmcnt(0)
	v_max_i32_e32 v1, v1, v2
	ds_bpermute_b32 v2, v3, v1
	v_xor_b32_e32 v3, 1, v21
	v_cmp_gt_i32_e32 vcc_lo, 32, v3
	v_cndmask_b32_e32 v3, v21, v3, vcc_lo
	s_waitcnt lgkmcnt(0)
	v_max_i32_e32 v1, v1, v2
	v_lshlrev_b32_e32 v2, 2, v3
	ds_bpermute_b32 v2, v2, v1
	v_cmpx_eq_u32_e32 15, v20
	s_cbranch_execz .LBB39_180
; %bb.179:
	v_lshlrev_b32_e32 v3, 2, v19
	s_waitcnt lgkmcnt(0)
	v_max_i32_e32 v1, v1, v2
	ds_write_b32 v3, v1 offset:256
.LBB39_180:
	s_or_b32 exec_lo, exec_lo, s0
	s_mov_b32 s0, exec_lo
	s_waitcnt lgkmcnt(0)
	s_waitcnt_vscnt null, 0x0
	s_barrier
	buffer_gl0_inv
	v_cmpx_gt_u32_e32 32, v0
	s_cbranch_execz .LBB39_182
; %bb.181:
	ds_read2_b32 v[1:2], v17 offset0:64 offset1:96
	s_waitcnt lgkmcnt(0)
	v_max_i32_e32 v1, v1, v2
	ds_write_b32 v17, v1 offset:256
.LBB39_182:
	s_or_b32 exec_lo, exec_lo, s0
	s_mov_b32 s0, exec_lo
	s_waitcnt lgkmcnt(0)
	s_barrier
	buffer_gl0_inv
	v_cmpx_gt_u32_e32 16, v0
	s_cbranch_execz .LBB39_184
; %bb.183:
	ds_read2_b32 v[1:2], v17 offset0:64 offset1:80
	s_waitcnt lgkmcnt(0)
	v_max_i32_e32 v1, v1, v2
	ds_write_b32 v17, v1 offset:256
.LBB39_184:
	s_or_b32 exec_lo, exec_lo, s0
	s_mov_b32 s0, exec_lo
	s_waitcnt lgkmcnt(0)
	;; [unrolled: 13-line block ×4, first 2 shown]
	s_barrier
	buffer_gl0_inv
	v_cmpx_gt_u32_e32 2, v0
	s_cbranch_execz .LBB39_190
; %bb.189:
	ds_read2_b32 v[1:2], v17 offset0:64 offset1:66
	s_waitcnt lgkmcnt(0)
	v_max_i32_e32 v1, v1, v2
	ds_write_b32 v17, v1 offset:256
.LBB39_190:
	s_or_b32 exec_lo, exec_lo, s0
	v_cmp_eq_u32_e32 vcc_lo, 0, v0
	s_waitcnt lgkmcnt(0)
	s_barrier
	buffer_gl0_inv
	s_and_saveexec_b32 s0, vcc_lo
	s_cbranch_execz .LBB39_192
; %bb.191:
	v_mov_b32_e32 v3, 0
	ds_read_b64 v[1:2], v3 offset:256
	s_waitcnt lgkmcnt(0)
	v_max_i32_e32 v1, v1, v2
	ds_write_b32 v3, v1 offset:256
.LBB39_192:
	s_or_b32 exec_lo, exec_lo, s0
	s_waitcnt lgkmcnt(0)
	s_barrier
	buffer_gl0_inv
	s_and_saveexec_b32 s0, vcc_lo
	s_cbranch_execz .LBB39_195
; %bb.193:
	v_mbcnt_lo_u32_b32 v1, exec_lo, 0
	v_cmp_eq_u32_e32 vcc_lo, 0, v1
	s_and_b32 exec_lo, exec_lo, vcc_lo
	s_cbranch_execz .LBB39_195
; %bb.194:
	v_mov_b32_e32 v1, 0
	s_load_dwordx2 s[2:3], s[4:5], 0x8
	ds_read_b32 v2, v1 offset:256
	s_waitcnt lgkmcnt(0)
	v_add_nc_u32_e32 v2, 1, v2
	global_atomic_smax v1, v2, s[2:3]
.LBB39_195:
	s_or_b32 exec_lo, exec_lo, s0
	v_cmp_eq_u32_e32 vcc_lo, 0, v0
	s_and_b32 s0, vcc_lo, s33
	s_and_saveexec_b32 s1, s0
	s_cbranch_execz .LBB39_202
.LBB39_196:
	v_mov_b32_e32 v0, 0x7fc00000
	s_mov_b32 s0, exec_lo
.LBB39_197:                             ; =>This Inner Loop Header: Depth=1
	s_ff1_i32_b32 s2, s0
	v_max_f32_e32 v0, v0, v0
	v_readlane_b32 s3, v22, s2
	s_lshl_b32 s2, 1, s2
	s_andn2_b32 s0, s0, s2
	s_cmp_lg_u32 s0, 0
	v_max_f32_e64 v1, s3, s3
	v_max_f32_e32 v0, v0, v1
	s_cbranch_scc1 .LBB39_197
; %bb.198:
	v_mbcnt_lo_u32_b32 v1, exec_lo, 0
	s_mov_b32 s2, 0
	s_mov_b32 s3, exec_lo
	v_cmpx_eq_u32_e32 0, v1
	s_xor_b32 s3, exec_lo, s3
	s_cbranch_execz .LBB39_202
; %bb.199:
	v_mov_b32_e32 v2, 0
	v_max_f32_e32 v3, v0, v0
	global_load_dword v1, v2, s[44:45]
.LBB39_200:                             ; =>This Inner Loop Header: Depth=1
	s_waitcnt vmcnt(0)
	v_max_f32_e32 v0, v1, v1
	v_max_f32_e32 v0, v0, v3
	global_atomic_cmpswap v0, v2, v[0:1], s[44:45] glc
	s_waitcnt vmcnt(0)
	v_cmp_eq_u32_e64 s0, v0, v1
	v_mov_b32_e32 v1, v0
	s_or_b32 s2, s0, s2
	s_andn2_b32 exec_lo, exec_lo, s2
	s_cbranch_execnz .LBB39_200
; %bb.201:
	s_or_b32 exec_lo, exec_lo, s2
.LBB39_202:
	s_or_b32 exec_lo, exec_lo, s1
	s_and_b32 s0, vcc_lo, s14
	s_and_saveexec_b32 s1, s0
	s_cbranch_execz .LBB39_208
; %bb.203:
	v_mov_b32_e32 v0, 0x7fc00000
	s_mov_b32 s0, exec_lo
.LBB39_204:                             ; =>This Inner Loop Header: Depth=1
	s_ff1_i32_b32 s1, s0
	v_max_f32_e32 v0, v0, v0
	v_readlane_b32 s2, v18, s1
	s_lshl_b32 s1, 1, s1
	s_andn2_b32 s0, s0, s1
	s_cmp_lg_u32 s0, 0
	v_max_f32_e64 v1, s2, s2
	v_max_f32_e32 v0, v0, v1
	s_cbranch_scc1 .LBB39_204
; %bb.205:
	v_mbcnt_lo_u32_b32 v1, exec_lo, 0
	s_mov_b32 s0, 0
	s_mov_b32 s1, exec_lo
	v_cmpx_eq_u32_e32 0, v1
	s_xor_b32 s1, exec_lo, s1
	s_cbranch_execz .LBB39_208
; %bb.206:
	v_mov_b32_e32 v2, 0
	v_max_f32_e32 v3, v0, v0
	global_load_dword v1, v2, s[46:47]
.LBB39_207:                             ; =>This Inner Loop Header: Depth=1
	s_waitcnt vmcnt(0)
	v_max_f32_e32 v0, v1, v1
	v_max_f32_e32 v0, v0, v3
	global_atomic_cmpswap v0, v2, v[0:1], s[46:47] glc
	s_waitcnt vmcnt(0)
	v_cmp_eq_u32_e32 vcc_lo, v0, v1
	v_mov_b32_e32 v1, v0
	s_or_b32 s0, vcc_lo, s0
	s_andn2_b32 exec_lo, exec_lo, s0
	s_cbranch_execnz .LBB39_207
.LBB39_208:
	s_endpgm
	.section	.rodata,"a",@progbits
	.p2align	6, 0x0
	.amdhsa_kernel _ZN9rocsparseL6kernelILi1024ELi16E21rocsparse_complex_numIfEiiEEvbbbT3_PS3_NS_15floating_traitsIT1_E6data_tES3_T2_PKS9_SB_PKS3_PKS6_21rocsparse_index_base_SB_SB_SD_PS6_SH_SG_SB_SB_SD_SH_SH_SG_SH_SH_PS8_SI_PKS8_
		.amdhsa_group_segment_fixed_size 512
		.amdhsa_private_segment_fixed_size 0
		.amdhsa_kernarg_size 208
		.amdhsa_user_sgpr_count 6
		.amdhsa_user_sgpr_private_segment_buffer 1
		.amdhsa_user_sgpr_dispatch_ptr 0
		.amdhsa_user_sgpr_queue_ptr 0
		.amdhsa_user_sgpr_kernarg_segment_ptr 1
		.amdhsa_user_sgpr_dispatch_id 0
		.amdhsa_user_sgpr_flat_scratch_init 0
		.amdhsa_user_sgpr_private_segment_size 0
		.amdhsa_wavefront_size32 1
		.amdhsa_uses_dynamic_stack 0
		.amdhsa_system_sgpr_private_segment_wavefront_offset 0
		.amdhsa_system_sgpr_workgroup_id_x 1
		.amdhsa_system_sgpr_workgroup_id_y 0
		.amdhsa_system_sgpr_workgroup_id_z 0
		.amdhsa_system_sgpr_workgroup_info 0
		.amdhsa_system_vgpr_workitem_id 0
		.amdhsa_next_free_vgpr 43
		.amdhsa_next_free_sgpr 81
		.amdhsa_reserve_vcc 1
		.amdhsa_reserve_flat_scratch 0
		.amdhsa_float_round_mode_32 0
		.amdhsa_float_round_mode_16_64 0
		.amdhsa_float_denorm_mode_32 3
		.amdhsa_float_denorm_mode_16_64 3
		.amdhsa_dx10_clamp 1
		.amdhsa_ieee_mode 1
		.amdhsa_fp16_overflow 0
		.amdhsa_workgroup_processor_mode 1
		.amdhsa_memory_ordered 1
		.amdhsa_forward_progress 1
		.amdhsa_shared_vgpr_count 0
		.amdhsa_exception_fp_ieee_invalid_op 0
		.amdhsa_exception_fp_denorm_src 0
		.amdhsa_exception_fp_ieee_div_zero 0
		.amdhsa_exception_fp_ieee_overflow 0
		.amdhsa_exception_fp_ieee_underflow 0
		.amdhsa_exception_fp_ieee_inexact 0
		.amdhsa_exception_int_div_zero 0
	.end_amdhsa_kernel
	.section	.text._ZN9rocsparseL6kernelILi1024ELi16E21rocsparse_complex_numIfEiiEEvbbbT3_PS3_NS_15floating_traitsIT1_E6data_tES3_T2_PKS9_SB_PKS3_PKS6_21rocsparse_index_base_SB_SB_SD_PS6_SH_SG_SB_SB_SD_SH_SH_SG_SH_SH_PS8_SI_PKS8_,"axG",@progbits,_ZN9rocsparseL6kernelILi1024ELi16E21rocsparse_complex_numIfEiiEEvbbbT3_PS3_NS_15floating_traitsIT1_E6data_tES3_T2_PKS9_SB_PKS3_PKS6_21rocsparse_index_base_SB_SB_SD_PS6_SH_SG_SB_SB_SD_SH_SH_SG_SH_SH_PS8_SI_PKS8_,comdat
.Lfunc_end39:
	.size	_ZN9rocsparseL6kernelILi1024ELi16E21rocsparse_complex_numIfEiiEEvbbbT3_PS3_NS_15floating_traitsIT1_E6data_tES3_T2_PKS9_SB_PKS3_PKS6_21rocsparse_index_base_SB_SB_SD_PS6_SH_SG_SB_SB_SD_SH_SH_SG_SH_SH_PS8_SI_PKS8_, .Lfunc_end39-_ZN9rocsparseL6kernelILi1024ELi16E21rocsparse_complex_numIfEiiEEvbbbT3_PS3_NS_15floating_traitsIT1_E6data_tES3_T2_PKS9_SB_PKS3_PKS6_21rocsparse_index_base_SB_SB_SD_PS6_SH_SG_SB_SB_SD_SH_SH_SG_SH_SH_PS8_SI_PKS8_
                                        ; -- End function
	.set _ZN9rocsparseL6kernelILi1024ELi16E21rocsparse_complex_numIfEiiEEvbbbT3_PS3_NS_15floating_traitsIT1_E6data_tES3_T2_PKS9_SB_PKS3_PKS6_21rocsparse_index_base_SB_SB_SD_PS6_SH_SG_SB_SB_SD_SH_SH_SG_SH_SH_PS8_SI_PKS8_.num_vgpr, 43
	.set _ZN9rocsparseL6kernelILi1024ELi16E21rocsparse_complex_numIfEiiEEvbbbT3_PS3_NS_15floating_traitsIT1_E6data_tES3_T2_PKS9_SB_PKS3_PKS6_21rocsparse_index_base_SB_SB_SD_PS6_SH_SG_SB_SB_SD_SH_SH_SG_SH_SH_PS8_SI_PKS8_.num_agpr, 0
	.set _ZN9rocsparseL6kernelILi1024ELi16E21rocsparse_complex_numIfEiiEEvbbbT3_PS3_NS_15floating_traitsIT1_E6data_tES3_T2_PKS9_SB_PKS3_PKS6_21rocsparse_index_base_SB_SB_SD_PS6_SH_SG_SB_SB_SD_SH_SH_SG_SH_SH_PS8_SI_PKS8_.numbered_sgpr, 81
	.set _ZN9rocsparseL6kernelILi1024ELi16E21rocsparse_complex_numIfEiiEEvbbbT3_PS3_NS_15floating_traitsIT1_E6data_tES3_T2_PKS9_SB_PKS3_PKS6_21rocsparse_index_base_SB_SB_SD_PS6_SH_SG_SB_SB_SD_SH_SH_SG_SH_SH_PS8_SI_PKS8_.num_named_barrier, 0
	.set _ZN9rocsparseL6kernelILi1024ELi16E21rocsparse_complex_numIfEiiEEvbbbT3_PS3_NS_15floating_traitsIT1_E6data_tES3_T2_PKS9_SB_PKS3_PKS6_21rocsparse_index_base_SB_SB_SD_PS6_SH_SG_SB_SB_SD_SH_SH_SG_SH_SH_PS8_SI_PKS8_.private_seg_size, 0
	.set _ZN9rocsparseL6kernelILi1024ELi16E21rocsparse_complex_numIfEiiEEvbbbT3_PS3_NS_15floating_traitsIT1_E6data_tES3_T2_PKS9_SB_PKS3_PKS6_21rocsparse_index_base_SB_SB_SD_PS6_SH_SG_SB_SB_SD_SH_SH_SG_SH_SH_PS8_SI_PKS8_.uses_vcc, 1
	.set _ZN9rocsparseL6kernelILi1024ELi16E21rocsparse_complex_numIfEiiEEvbbbT3_PS3_NS_15floating_traitsIT1_E6data_tES3_T2_PKS9_SB_PKS3_PKS6_21rocsparse_index_base_SB_SB_SD_PS6_SH_SG_SB_SB_SD_SH_SH_SG_SH_SH_PS8_SI_PKS8_.uses_flat_scratch, 0
	.set _ZN9rocsparseL6kernelILi1024ELi16E21rocsparse_complex_numIfEiiEEvbbbT3_PS3_NS_15floating_traitsIT1_E6data_tES3_T2_PKS9_SB_PKS3_PKS6_21rocsparse_index_base_SB_SB_SD_PS6_SH_SG_SB_SB_SD_SH_SH_SG_SH_SH_PS8_SI_PKS8_.has_dyn_sized_stack, 0
	.set _ZN9rocsparseL6kernelILi1024ELi16E21rocsparse_complex_numIfEiiEEvbbbT3_PS3_NS_15floating_traitsIT1_E6data_tES3_T2_PKS9_SB_PKS3_PKS6_21rocsparse_index_base_SB_SB_SD_PS6_SH_SG_SB_SB_SD_SH_SH_SG_SH_SH_PS8_SI_PKS8_.has_recursion, 0
	.set _ZN9rocsparseL6kernelILi1024ELi16E21rocsparse_complex_numIfEiiEEvbbbT3_PS3_NS_15floating_traitsIT1_E6data_tES3_T2_PKS9_SB_PKS3_PKS6_21rocsparse_index_base_SB_SB_SD_PS6_SH_SG_SB_SB_SD_SH_SH_SG_SH_SH_PS8_SI_PKS8_.has_indirect_call, 0
	.section	.AMDGPU.csdata,"",@progbits
; Kernel info:
; codeLenInByte = 8988
; TotalNumSgprs: 83
; NumVgprs: 43
; ScratchSize: 0
; MemoryBound: 0
; FloatMode: 240
; IeeeMode: 1
; LDSByteSize: 512 bytes/workgroup (compile time only)
; SGPRBlocks: 0
; VGPRBlocks: 5
; NumSGPRsForWavesPerEU: 83
; NumVGPRsForWavesPerEU: 43
; Occupancy: 16
; WaveLimiterHint : 1
; COMPUTE_PGM_RSRC2:SCRATCH_EN: 0
; COMPUTE_PGM_RSRC2:USER_SGPR: 6
; COMPUTE_PGM_RSRC2:TRAP_HANDLER: 0
; COMPUTE_PGM_RSRC2:TGID_X_EN: 1
; COMPUTE_PGM_RSRC2:TGID_Y_EN: 0
; COMPUTE_PGM_RSRC2:TGID_Z_EN: 0
; COMPUTE_PGM_RSRC2:TIDIG_COMP_CNT: 0
	.section	.text._ZN9rocsparseL6kernelILi1024ELi32E21rocsparse_complex_numIfEiiEEvbbbT3_PS3_NS_15floating_traitsIT1_E6data_tES3_T2_PKS9_SB_PKS3_PKS6_21rocsparse_index_base_SB_SB_SD_PS6_SH_SG_SB_SB_SD_SH_SH_SG_SH_SH_PS8_SI_PKS8_,"axG",@progbits,_ZN9rocsparseL6kernelILi1024ELi32E21rocsparse_complex_numIfEiiEEvbbbT3_PS3_NS_15floating_traitsIT1_E6data_tES3_T2_PKS9_SB_PKS3_PKS6_21rocsparse_index_base_SB_SB_SD_PS6_SH_SG_SB_SB_SD_SH_SH_SG_SH_SH_PS8_SI_PKS8_,comdat
	.globl	_ZN9rocsparseL6kernelILi1024ELi32E21rocsparse_complex_numIfEiiEEvbbbT3_PS3_NS_15floating_traitsIT1_E6data_tES3_T2_PKS9_SB_PKS3_PKS6_21rocsparse_index_base_SB_SB_SD_PS6_SH_SG_SB_SB_SD_SH_SH_SG_SH_SH_PS8_SI_PKS8_ ; -- Begin function _ZN9rocsparseL6kernelILi1024ELi32E21rocsparse_complex_numIfEiiEEvbbbT3_PS3_NS_15floating_traitsIT1_E6data_tES3_T2_PKS9_SB_PKS3_PKS6_21rocsparse_index_base_SB_SB_SD_PS6_SH_SG_SB_SB_SD_SH_SH_SG_SH_SH_PS8_SI_PKS8_
	.p2align	8
	.type	_ZN9rocsparseL6kernelILi1024ELi32E21rocsparse_complex_numIfEiiEEvbbbT3_PS3_NS_15floating_traitsIT1_E6data_tES3_T2_PKS9_SB_PKS3_PKS6_21rocsparse_index_base_SB_SB_SD_PS6_SH_SG_SB_SB_SD_SH_SH_SG_SH_SH_PS8_SI_PKS8_,@function
_ZN9rocsparseL6kernelILi1024ELi32E21rocsparse_complex_numIfEiiEEvbbbT3_PS3_NS_15floating_traitsIT1_E6data_tES3_T2_PKS9_SB_PKS3_PKS6_21rocsparse_index_base_SB_SB_SD_PS6_SH_SG_SB_SB_SD_SH_SH_SG_SH_SH_PS8_SI_PKS8_: ; @_ZN9rocsparseL6kernelILi1024ELi32E21rocsparse_complex_numIfEiiEEvbbbT3_PS3_NS_15floating_traitsIT1_E6data_tES3_T2_PKS9_SB_PKS3_PKS6_21rocsparse_index_base_SB_SB_SD_PS6_SH_SG_SB_SB_SD_SH_SH_SG_SH_SH_PS8_SI_PKS8_
; %bb.0:
	s_clause 0x3
	s_load_dword s0, s[4:5], 0x0
	s_load_dwordx2 s[12:13], s[4:5], 0x0
	s_load_dwordx2 s[14:15], s[4:5], 0x10
	s_load_dwordx4 s[44:47], s[4:5], 0xb8
	v_lshrrev_b32_e32 v19, 5, v0
	v_mov_b32_e32 v1, 0
	v_lshlrev_b32_e32 v17, 2, v0
	v_and_b32_e32 v20, 31, v0
	v_mbcnt_lo_u32_b32 v21, -1, 0
	v_mov_b32_e32 v22, 0
	v_mov_b32_e32 v18, 0
	s_mov_b32 s58, 0
	ds_write_b32 v17, v1
	s_waitcnt lgkmcnt(0)
	s_barrier
	buffer_gl0_inv
	s_bitcmp1_b32 s0, 0
	s_cselect_b32 s57, -1, 0
	s_bitcmp1_b32 s0, 8
	s_cselect_b32 s56, -1, 0
	s_bitcmp1_b32 s12, 16
	s_cselect_b32 s33, -1, 0
	s_lshl_b32 s63, s6, 10
	s_cmp_gt_i32 s13, 0
	v_or_b32_e32 v23, s63, v19
	s_cselect_b32 s0, -1, 0
	v_cmp_gt_i32_e32 vcc_lo, s15, v23
	s_and_b32 s0, s0, vcc_lo
	s_and_saveexec_b32 s59, s0
	s_cbranch_execnz .LBB40_3
; %bb.1:
	s_or_b32 exec_lo, exec_lo, s59
	s_andn2_b32 vcc_lo, exec_lo, s57
	s_cbranch_vccz .LBB40_174
.LBB40_2:
	v_cmp_eq_u32_e32 vcc_lo, 0, v0
	s_and_b32 s0, vcc_lo, s56
	s_and_saveexec_b32 s1, s0
	s_cbranch_execnz .LBB40_190
	s_branch .LBB40_196
.LBB40_3:
	s_clause 0x9
	s_load_dword s60, s[4:5], 0x40
	s_load_dword s61, s[4:5], 0x70
	;; [unrolled: 1-line block ×3, first 2 shown]
	s_load_dwordx2 s[34:35], s[4:5], 0x98
	s_load_dwordx2 s[52:53], s[4:5], 0x68
	;; [unrolled: 1-line block ×3, first 2 shown]
	s_load_dwordx4 s[48:51], s[4:5], 0xa8
	s_load_dwordx8 s[16:23], s[4:5], 0x78
	s_load_dwordx8 s[24:31], s[4:5], 0x48
	;; [unrolled: 1-line block ×3, first 2 shown]
	s_addk_i32 s63, 0x400
	v_cmp_eq_u32_e64 s0, 31, v20
	v_lshlrev_b32_e32 v24, 2, v19
	v_cmp_gt_u32_e64 s1, 16, v0
	v_cmp_gt_u32_e64 s2, 8, v0
	;; [unrolled: 1-line block ×4, first 2 shown]
	v_cmp_eq_u32_e64 s7, 0, v0
	v_cmp_gt_u32_e64 s8, s63, v23
	v_cmp_eq_u32_e64 s9, 0, v20
	s_waitcnt lgkmcnt(0)
	v_subrev_nc_u32_e32 v25, s60, v20
	v_subrev_nc_u32_e32 v26, s61, v20
	;; [unrolled: 1-line block ×3, first 2 shown]
	v_mov_b32_e32 v2, 0
	v_mov_b32_e32 v18, 0
	;; [unrolled: 1-line block ×3, first 2 shown]
	s_and_b32 s10, s56, s33
	s_xor_b32 s64, s56, -1
	s_xor_b32 s65, s10, -1
	s_mov_b32 s66, 0
	s_branch .LBB40_5
.LBB40_4:                               ;   in Loop: Header=BB40_5 Depth=1
	s_or_b32 exec_lo, exec_lo, s10
	s_and_b32 s10, exec_lo, s11
	s_or_b32 s58, s10, s58
	s_andn2_b32 exec_lo, exec_lo, s58
	s_cbranch_execz .LBB40_173
.LBB40_5:                               ; =>This Loop Header: Depth=1
                                        ;     Child Loop BB40_9 Depth 2
                                        ;       Child Loop BB40_14 Depth 3
                                        ;         Child Loop BB40_18 Depth 4
                                        ;         Child Loop BB40_53 Depth 4
	;; [unrolled: 1-line block ×5, first 2 shown]
                                        ;     Child Loop BB40_152 Depth 2
                                        ;       Child Loop BB40_155 Depth 3
                                        ;       Child Loop BB40_158 Depth 3
	v_cndmask_b32_e64 v22, v22, 0, s56
	v_cndmask_b32_e64 v18, v18, 0, s33
	s_mov_b32 s67, 0
	s_branch .LBB40_9
.LBB40_6:                               ;   in Loop: Header=BB40_9 Depth=2
	s_or_b32 exec_lo, exec_lo, s70
.LBB40_7:                               ;   in Loop: Header=BB40_9 Depth=2
	s_or_b32 exec_lo, exec_lo, s69
.LBB40_8:                               ;   in Loop: Header=BB40_9 Depth=2
	s_or_b32 exec_lo, exec_lo, s68
	s_add_i32 s67, s67, 1
	s_cmp_eq_u32 s67, 32
	s_cbranch_scc1 .LBB40_121
.LBB40_9:                               ;   Parent Loop BB40_5 Depth=1
                                        ; =>  This Loop Header: Depth=2
                                        ;       Child Loop BB40_14 Depth 3
                                        ;         Child Loop BB40_18 Depth 4
                                        ;         Child Loop BB40_53 Depth 4
                                        ;         Child Loop BB40_69 Depth 4
                                        ;         Child Loop BB40_91 Depth 4
                                        ;         Child Loop BB40_104 Depth 4
	v_lshl_add_u32 v3, s67, 5, v23
	s_mov_b32 s68, exec_lo
	v_cmpx_gt_i32_e64 s15, v3
	s_cbranch_execz .LBB40_8
; %bb.10:                               ;   in Loop: Header=BB40_9 Depth=2
	v_ashrrev_i32_e32 v4, 31, v3
	s_mov_b32 s69, exec_lo
	v_lshlrev_b64 v[5:6], 2, v[3:4]
	v_add_co_u32 v7, vcc_lo, s36, v5
	v_add_co_ci_u32_e64 v8, null, s37, v6, vcc_lo
	v_add_co_u32 v9, vcc_lo, s38, v5
	v_add_co_ci_u32_e64 v10, null, s39, v6, vcc_lo
	global_load_dword v1, v[7:8], off
	global_load_dword v7, v[9:10], off
	s_waitcnt vmcnt(1)
	v_add_nc_u32_e32 v4, v25, v1
	s_waitcnt vmcnt(0)
	v_subrev_nc_u32_e32 v28, s60, v7
	v_cmpx_lt_i32_e64 v4, v28
	s_cbranch_execz .LBB40_7
; %bb.11:                               ;   in Loop: Header=BB40_9 Depth=2
	v_add_co_u32 v7, vcc_lo, s24, v5
	v_add_co_ci_u32_e64 v8, null, s25, v6, vcc_lo
	v_add_co_u32 v5, vcc_lo, s26, v5
	v_add_co_ci_u32_e64 v6, null, s27, v6, vcc_lo
	global_load_dword v1, v[7:8], off
	s_mov_b32 s70, 0
	global_load_dword v5, v[5:6], off
	s_waitcnt vmcnt(1)
	v_subrev_nc_u32_e32 v6, s61, v1
	s_waitcnt vmcnt(0)
	v_sub_nc_u32_e32 v29, v5, v1
	v_ashrrev_i32_e32 v7, 31, v6
	v_cmp_lt_i32_e64 s10, 0, v29
	v_lshlrev_b64 v[8:9], 2, v[6:7]
	v_lshlrev_b64 v[10:11], 3, v[6:7]
	v_add_co_u32 v30, vcc_lo, s28, v8
	v_add_co_ci_u32_e64 v31, null, s29, v9, vcc_lo
	v_add_co_u32 v32, vcc_lo, s30, v10
	v_add_co_ci_u32_e64 v33, null, s31, v11, vcc_lo
	s_branch .LBB40_14
.LBB40_12:                              ;   in Loop: Header=BB40_14 Depth=3
	s_or_b32 exec_lo, exec_lo, s11
.LBB40_13:                              ;   in Loop: Header=BB40_14 Depth=3
	s_or_b32 exec_lo, exec_lo, s12
	v_add_nc_u32_e32 v4, 32, v4
	v_cmp_ge_i32_e32 vcc_lo, v4, v28
	s_or_b32 s70, vcc_lo, s70
	s_andn2_b32 exec_lo, exec_lo, s70
	s_cbranch_execz .LBB40_6
.LBB40_14:                              ;   Parent Loop BB40_5 Depth=1
                                        ;     Parent Loop BB40_9 Depth=2
                                        ; =>    This Loop Header: Depth=3
                                        ;         Child Loop BB40_18 Depth 4
                                        ;         Child Loop BB40_53 Depth 4
	;; [unrolled: 1-line block ×5, first 2 shown]
	v_ashrrev_i32_e32 v5, 31, v4
	v_mov_b32_e32 v34, 0
	v_mov_b32_e32 v35, 0
	v_lshlrev_b64 v[7:8], 2, v[4:5]
	v_add_co_u32 v7, vcc_lo, s40, v7
	v_add_co_ci_u32_e64 v8, null, s41, v8, vcc_lo
	global_load_dword v1, v[7:8], off
	s_waitcnt vmcnt(0)
	v_subrev_nc_u32_e32 v7, s60, v1
	v_mov_b32_e32 v1, 0
	v_ashrrev_i32_e32 v8, 31, v7
	v_lshlrev_b64 v[9:10], 2, v[7:8]
	v_add_co_u32 v11, vcc_lo, s16, v9
	v_add_co_ci_u32_e64 v12, null, s17, v10, vcc_lo
	v_add_co_u32 v9, vcc_lo, s18, v9
	v_add_co_ci_u32_e64 v10, null, s19, v10, vcc_lo
	global_load_dword v12, v[11:12], off
	global_load_dword v9, v[9:10], off
	s_waitcnt vmcnt(1)
	v_subrev_nc_u32_e32 v11, s62, v12
	s_waitcnt vmcnt(0)
	v_sub_nc_u32_e32 v36, v9, v12
	v_mov_b32_e32 v12, v1
	s_and_saveexec_b32 s12, s10
	s_cbranch_execz .LBB40_22
; %bb.15:                               ;   in Loop: Header=BB40_14 Depth=3
	v_ashrrev_i32_e32 v12, 31, v11
	v_mov_b32_e32 v34, 0
	v_mov_b32_e32 v1, 0
	v_mov_b32_e32 v35, 0
	s_mov_b32 s71, 0
	v_lshlrev_b64 v[9:10], 2, v[11:12]
	v_lshlrev_b64 v[12:13], 3, v[11:12]
                                        ; implicit-def: $sgpr72
	v_add_co_u32 v9, vcc_lo, s20, v9
	v_add_co_ci_u32_e64 v10, null, s21, v10, vcc_lo
	v_add_co_u32 v14, vcc_lo, s22, v12
	v_add_co_ci_u32_e64 v15, null, s23, v13, vcc_lo
	v_mov_b32_e32 v12, 0
	s_branch .LBB40_18
.LBB40_16:                              ;   in Loop: Header=BB40_18 Depth=4
	s_or_b32 exec_lo, exec_lo, s11
	v_cmp_le_i32_e32 vcc_lo, v16, v37
	v_cmp_ge_i32_e64 s11, v16, v37
	v_add_co_ci_u32_e64 v1, null, 0, v1, vcc_lo
	v_add_co_ci_u32_e64 v12, null, 0, v12, s11
	s_andn2_b32 s11, s72, exec_lo
	v_cmp_ge_i32_e32 vcc_lo, v1, v29
	s_and_b32 s72, vcc_lo, exec_lo
	s_or_b32 s72, s11, s72
.LBB40_17:                              ;   in Loop: Header=BB40_18 Depth=4
	s_or_b32 exec_lo, exec_lo, s73
	s_and_b32 s11, exec_lo, s72
	s_or_b32 s71, s11, s71
	s_andn2_b32 exec_lo, exec_lo, s71
	s_cbranch_execz .LBB40_21
.LBB40_18:                              ;   Parent Loop BB40_5 Depth=1
                                        ;     Parent Loop BB40_9 Depth=2
                                        ;       Parent Loop BB40_14 Depth=3
                                        ; =>      This Inner Loop Header: Depth=4
	s_or_b32 s72, s72, exec_lo
	s_mov_b32 s73, exec_lo
	v_cmpx_lt_i32_e64 v12, v36
	s_cbranch_execz .LBB40_17
; %bb.19:                               ;   in Loop: Header=BB40_18 Depth=4
	v_mov_b32_e32 v13, v2
	v_lshlrev_b64 v[37:38], 2, v[1:2]
	s_mov_b32 s11, exec_lo
	v_lshlrev_b64 v[39:40], 2, v[12:13]
	v_add_co_u32 v37, vcc_lo, v30, v37
	v_add_co_ci_u32_e64 v38, null, v31, v38, vcc_lo
	v_add_co_u32 v39, vcc_lo, v9, v39
	v_add_co_ci_u32_e64 v40, null, v10, v40, vcc_lo
	global_load_dword v16, v[37:38], off
	global_load_dword v37, v[39:40], off
	s_waitcnt vmcnt(1)
	v_subrev_nc_u32_e32 v16, s61, v16
	s_waitcnt vmcnt(0)
	v_subrev_nc_u32_e32 v37, s62, v37
	v_cmpx_eq_u32_e64 v16, v37
	s_cbranch_execz .LBB40_16
; %bb.20:                               ;   in Loop: Header=BB40_18 Depth=4
	v_lshlrev_b64 v[38:39], 3, v[1:2]
	v_lshlrev_b64 v[40:41], 3, v[12:13]
	v_add_co_u32 v38, vcc_lo, v32, v38
	v_add_co_ci_u32_e64 v39, null, v33, v39, vcc_lo
	v_add_co_u32 v40, vcc_lo, v14, v40
	v_add_co_ci_u32_e64 v41, null, v15, v41, vcc_lo
	global_load_dwordx2 v[38:39], v[38:39], off
	global_load_dwordx2 v[40:41], v[40:41], off
	s_waitcnt vmcnt(0)
	v_fmac_f32_e32 v34, v38, v40
	v_fmac_f32_e32 v35, v39, v40
	v_fma_f32 v34, -v39, v41, v34
	v_fmac_f32_e32 v35, v38, v41
	s_branch .LBB40_16
.LBB40_21:                              ;   in Loop: Header=BB40_14 Depth=3
	s_or_b32 exec_lo, exec_lo, s71
.LBB40_22:                              ;   in Loop: Header=BB40_14 Depth=3
	s_or_b32 exec_lo, exec_lo, s12
	v_lshlrev_b64 v[9:10], 3, v[4:5]
	v_cmp_le_i32_e64 s11, v3, v7
	s_mov_b32 s71, exec_lo
	v_add_co_u32 v9, vcc_lo, s42, v9
	v_add_co_ci_u32_e64 v10, null, s43, v10, vcc_lo
	global_load_dwordx2 v[9:10], v[9:10], off
	s_waitcnt vmcnt(0)
	v_sub_f32_e32 v13, v9, v34
	v_sub_f32_e32 v14, v10, v35
	v_cmpx_gt_i32_e64 v3, v7
	s_cbranch_execz .LBB40_32
; %bb.23:                               ;   in Loop: Header=BB40_14 Depth=3
	v_lshlrev_b64 v[15:16], 3, v[7:8]
                                        ; implicit-def: $vgpr38
	s_mov_b32 s12, exec_lo
	v_add_co_u32 v15, vcc_lo, s48, v15
	v_add_co_ci_u32_e64 v16, null, s49, v16, vcc_lo
	global_load_dwordx2 v[15:16], v[15:16], off
	s_waitcnt vmcnt(0)
	v_cmp_gt_f32_e32 vcc_lo, 0, v15
	v_cndmask_b32_e64 v5, v15, -v15, vcc_lo
	v_cmp_gt_f32_e32 vcc_lo, 0, v16
	v_cndmask_b32_e64 v37, v16, -v16, vcc_lo
	v_cmpx_ngt_f32_e32 v5, v37
	s_xor_b32 s72, exec_lo, s12
	s_cbranch_execz .LBB40_27
; %bb.24:                               ;   in Loop: Header=BB40_14 Depth=3
	v_mov_b32_e32 v38, 0
	s_mov_b32 s73, exec_lo
	v_cmpx_neq_f32_e32 0, v16
	s_cbranch_execz .LBB40_26
; %bb.25:                               ;   in Loop: Header=BB40_14 Depth=3
	v_div_scale_f32 v38, null, v37, v37, v5
	v_div_scale_f32 v41, vcc_lo, v5, v37, v5
	v_rcp_f32_e32 v39, v38
	v_fma_f32 v40, -v38, v39, 1.0
	v_fmac_f32_e32 v39, v40, v39
	v_mul_f32_e32 v40, v41, v39
	v_fma_f32 v42, -v38, v40, v41
	v_fmac_f32_e32 v40, v42, v39
	v_fma_f32 v38, -v38, v40, v41
	v_div_fmas_f32 v38, v38, v39, v40
	v_div_fixup_f32 v5, v38, v37, v5
	v_fma_f32 v5, v5, v5, 1.0
	v_mul_f32_e32 v38, 0x4f800000, v5
	v_cmp_gt_f32_e32 vcc_lo, 0xf800000, v5
	v_cndmask_b32_e32 v5, v5, v38, vcc_lo
	v_sqrt_f32_e32 v38, v5
	v_add_nc_u32_e32 v39, -1, v38
	v_add_nc_u32_e32 v40, 1, v38
	v_fma_f32 v41, -v39, v38, v5
	v_fma_f32 v42, -v40, v38, v5
	v_cmp_ge_f32_e64 s12, 0, v41
	v_cndmask_b32_e64 v38, v38, v39, s12
	v_cmp_lt_f32_e64 s12, 0, v42
	v_cndmask_b32_e64 v38, v38, v40, s12
	v_mul_f32_e32 v39, 0x37800000, v38
	v_cndmask_b32_e32 v38, v38, v39, vcc_lo
	v_cmp_class_f32_e64 vcc_lo, v5, 0x260
	v_cndmask_b32_e32 v5, v38, v5, vcc_lo
	v_mul_f32_e32 v38, v37, v5
.LBB40_26:                              ;   in Loop: Header=BB40_14 Depth=3
	s_or_b32 exec_lo, exec_lo, s73
                                        ; implicit-def: $vgpr5
                                        ; implicit-def: $vgpr37
.LBB40_27:                              ;   in Loop: Header=BB40_14 Depth=3
	s_andn2_saveexec_b32 s72, s72
	s_cbranch_execz .LBB40_29
; %bb.28:                               ;   in Loop: Header=BB40_14 Depth=3
	v_div_scale_f32 v38, null, v5, v5, v37
	v_div_scale_f32 v41, vcc_lo, v37, v5, v37
	v_rcp_f32_e32 v39, v38
	v_fma_f32 v40, -v38, v39, 1.0
	v_fmac_f32_e32 v39, v40, v39
	v_mul_f32_e32 v40, v41, v39
	v_fma_f32 v42, -v38, v40, v41
	v_fmac_f32_e32 v40, v42, v39
	v_fma_f32 v38, -v38, v40, v41
	v_div_fmas_f32 v38, v38, v39, v40
	v_div_fixup_f32 v37, v38, v5, v37
	v_fma_f32 v37, v37, v37, 1.0
	v_mul_f32_e32 v38, 0x4f800000, v37
	v_cmp_gt_f32_e32 vcc_lo, 0xf800000, v37
	v_cndmask_b32_e32 v37, v37, v38, vcc_lo
	v_sqrt_f32_e32 v38, v37
	v_add_nc_u32_e32 v39, -1, v38
	v_add_nc_u32_e32 v40, 1, v38
	v_fma_f32 v41, -v39, v38, v37
	v_fma_f32 v42, -v40, v38, v37
	v_cmp_ge_f32_e64 s12, 0, v41
	v_cndmask_b32_e64 v38, v38, v39, s12
	v_cmp_lt_f32_e64 s12, 0, v42
	v_cndmask_b32_e64 v38, v38, v40, s12
	v_mul_f32_e32 v39, 0x37800000, v38
	v_cndmask_b32_e32 v38, v38, v39, vcc_lo
	v_cmp_class_f32_e64 vcc_lo, v37, 0x260
	v_cndmask_b32_e32 v37, v38, v37, vcc_lo
	v_mul_f32_e32 v38, v5, v37
.LBB40_29:                              ;   in Loop: Header=BB40_14 Depth=3
	s_or_b32 exec_lo, exec_lo, s72
	v_mov_b32_e32 v5, 0
	v_mov_b32_e32 v37, 0
	s_mov_b32 s12, exec_lo
	v_cmpx_lt_f32_e32 0, v38
	s_cbranch_execz .LBB40_31
; %bb.30:                               ;   in Loop: Header=BB40_14 Depth=3
	v_mul_f32_e32 v5, v16, v16
	v_fmac_f32_e32 v5, v15, v15
	v_div_scale_f32 v37, null, v5, v5, 1.0
	v_div_scale_f32 v40, vcc_lo, 1.0, v5, 1.0
	v_rcp_f32_e32 v38, v37
	v_fma_f32 v39, -v37, v38, 1.0
	v_fmac_f32_e32 v38, v39, v38
	v_mul_f32_e32 v39, v40, v38
	v_fma_f32 v41, -v37, v39, v40
	v_fmac_f32_e32 v39, v41, v38
	v_fma_f32 v37, -v37, v39, v40
	v_mul_f32_e32 v40, v14, v16
	v_mul_f32_e64 v16, v16, -v13
	v_div_fmas_f32 v37, v37, v38, v39
	v_fmac_f32_e32 v40, v13, v15
	v_fmac_f32_e32 v16, v14, v15
	v_div_fixup_f32 v5, v37, v5, 1.0
	v_mul_f32_e32 v37, v40, v5
	v_mul_f32_e32 v5, v16, v5
.LBB40_31:                              ;   in Loop: Header=BB40_14 Depth=3
	s_or_b32 exec_lo, exec_lo, s12
	v_mov_b32_e32 v14, v5
	v_mov_b32_e32 v13, v37
.LBB40_32:                              ;   in Loop: Header=BB40_14 Depth=3
	s_or_b32 exec_lo, exec_lo, s71
	v_cmp_gt_f32_e32 vcc_lo, 0, v13
                                        ; implicit-def: $vgpr16
	s_mov_b32 s12, exec_lo
	v_cndmask_b32_e64 v5, v13, -v13, vcc_lo
	v_cmp_gt_f32_e32 vcc_lo, 0, v14
	v_cndmask_b32_e64 v15, v14, -v14, vcc_lo
	v_cmpx_ngt_f32_e32 v5, v15
	s_xor_b32 s71, exec_lo, s12
	s_cbranch_execnz .LBB40_36
; %bb.33:                               ;   in Loop: Header=BB40_14 Depth=3
	s_andn2_saveexec_b32 s71, s71
	s_cbranch_execnz .LBB40_39
.LBB40_34:                              ;   in Loop: Header=BB40_14 Depth=3
	s_or_b32 exec_lo, exec_lo, s71
	v_cmp_class_f32_e64 s12, v16, 0x1f8
	s_and_saveexec_b32 s71, s12
	s_cbranch_execnz .LBB40_40
.LBB40_35:                              ;   in Loop: Header=BB40_14 Depth=3
	s_or_b32 exec_lo, exec_lo, s71
	s_and_b32 s11, s33, s12
	s_and_saveexec_b32 s12, s11
	s_cbranch_execz .LBB40_13
	s_branch .LBB40_81
.LBB40_36:                              ;   in Loop: Header=BB40_14 Depth=3
	v_mov_b32_e32 v16, 0
	s_mov_b32 s72, exec_lo
	v_cmpx_neq_f32_e32 0, v14
	s_cbranch_execz .LBB40_38
; %bb.37:                               ;   in Loop: Header=BB40_14 Depth=3
	v_div_scale_f32 v16, null, v15, v15, v5
	v_div_scale_f32 v39, vcc_lo, v5, v15, v5
	v_rcp_f32_e32 v37, v16
	v_fma_f32 v38, -v16, v37, 1.0
	v_fmac_f32_e32 v37, v38, v37
	v_mul_f32_e32 v38, v39, v37
	v_fma_f32 v40, -v16, v38, v39
	v_fmac_f32_e32 v38, v40, v37
	v_fma_f32 v16, -v16, v38, v39
	v_div_fmas_f32 v16, v16, v37, v38
	v_div_fixup_f32 v5, v16, v15, v5
	v_fma_f32 v5, v5, v5, 1.0
	v_mul_f32_e32 v16, 0x4f800000, v5
	v_cmp_gt_f32_e32 vcc_lo, 0xf800000, v5
	v_cndmask_b32_e32 v5, v5, v16, vcc_lo
	v_sqrt_f32_e32 v16, v5
	v_add_nc_u32_e32 v37, -1, v16
	v_add_nc_u32_e32 v38, 1, v16
	v_fma_f32 v39, -v37, v16, v5
	v_fma_f32 v40, -v38, v16, v5
	v_cmp_ge_f32_e64 s12, 0, v39
	v_cndmask_b32_e64 v16, v16, v37, s12
	v_cmp_lt_f32_e64 s12, 0, v40
	v_cndmask_b32_e64 v16, v16, v38, s12
	v_mul_f32_e32 v37, 0x37800000, v16
	v_cndmask_b32_e32 v16, v16, v37, vcc_lo
	v_cmp_class_f32_e64 vcc_lo, v5, 0x260
	v_cndmask_b32_e32 v5, v16, v5, vcc_lo
	v_mul_f32_e32 v16, v15, v5
.LBB40_38:                              ;   in Loop: Header=BB40_14 Depth=3
	s_or_b32 exec_lo, exec_lo, s72
                                        ; implicit-def: $vgpr5
                                        ; implicit-def: $vgpr15
	s_andn2_saveexec_b32 s71, s71
	s_cbranch_execz .LBB40_34
.LBB40_39:                              ;   in Loop: Header=BB40_14 Depth=3
	v_div_scale_f32 v16, null, v5, v5, v15
	v_div_scale_f32 v39, vcc_lo, v15, v5, v15
	v_rcp_f32_e32 v37, v16
	v_fma_f32 v38, -v16, v37, 1.0
	v_fmac_f32_e32 v37, v38, v37
	v_mul_f32_e32 v38, v39, v37
	v_fma_f32 v40, -v16, v38, v39
	v_fmac_f32_e32 v38, v40, v37
	v_fma_f32 v16, -v16, v38, v39
	v_div_fmas_f32 v16, v16, v37, v38
	v_div_fixup_f32 v15, v16, v5, v15
	v_fma_f32 v15, v15, v15, 1.0
	v_mul_f32_e32 v16, 0x4f800000, v15
	v_cmp_gt_f32_e32 vcc_lo, 0xf800000, v15
	v_cndmask_b32_e32 v15, v15, v16, vcc_lo
	v_sqrt_f32_e32 v16, v15
	v_add_nc_u32_e32 v37, -1, v16
	v_add_nc_u32_e32 v38, 1, v16
	v_fma_f32 v39, -v37, v16, v15
	v_fma_f32 v40, -v38, v16, v15
	v_cmp_ge_f32_e64 s12, 0, v39
	v_cndmask_b32_e64 v16, v16, v37, s12
	v_cmp_lt_f32_e64 s12, 0, v40
	v_cndmask_b32_e64 v16, v16, v38, s12
	v_mul_f32_e32 v37, 0x37800000, v16
	v_cndmask_b32_e32 v16, v16, v37, vcc_lo
	v_cmp_class_f32_e64 vcc_lo, v15, 0x260
	v_cndmask_b32_e32 v15, v16, v15, vcc_lo
	v_mul_f32_e32 v16, v5, v15
	s_or_b32 exec_lo, exec_lo, s71
	v_cmp_class_f32_e64 s12, v16, 0x1f8
	s_and_saveexec_b32 s71, s12
	s_cbranch_execz .LBB40_35
.LBB40_40:                              ;   in Loop: Header=BB40_14 Depth=3
	s_and_saveexec_b32 s72, s11
	s_xor_b32 s72, exec_lo, s72
	s_cbranch_execz .LBB40_65
; %bb.41:                               ;   in Loop: Header=BB40_14 Depth=3
	s_mov_b32 s11, exec_lo
	v_cmpx_ge_i32_e64 v3, v7
	s_xor_b32 s73, exec_lo, s11
	s_cbranch_execz .LBB40_49
; %bb.42:                               ;   in Loop: Header=BB40_14 Depth=3
	v_lshlrev_b64 v[15:16], 3, v[7:8]
	v_add_co_u32 v37, vcc_lo, s50, v15
	v_add_co_ci_u32_e64 v38, null, s51, v16, vcc_lo
	s_andn2_b32 vcc_lo, exec_lo, s56
	global_store_dwordx2 v[37:38], v[13:14], off
	s_cbranch_vccnz .LBB40_48
; %bb.43:                               ;   in Loop: Header=BB40_14 Depth=3
	v_add_co_u32 v15, vcc_lo, s48, v15
	v_add_co_ci_u32_e64 v16, null, s49, v16, vcc_lo
	s_mov_b32 s11, exec_lo
	global_load_dwordx2 v[15:16], v[15:16], off
	s_waitcnt vmcnt(0)
	v_sub_f32_e32 v5, v15, v13
	v_sub_f32_e32 v15, v16, v14
                                        ; implicit-def: $vgpr14
	v_cmp_gt_f32_e32 vcc_lo, 0, v5
	v_cndmask_b32_e64 v5, v5, -v5, vcc_lo
	v_cmp_gt_f32_e32 vcc_lo, 0, v15
	v_cndmask_b32_e64 v13, v15, -v15, vcc_lo
	v_cmpx_ngt_f32_e32 v5, v13
	s_xor_b32 s74, exec_lo, s11
	s_cbranch_execnz .LBB40_109
; %bb.44:                               ;   in Loop: Header=BB40_14 Depth=3
	s_andn2_saveexec_b32 s74, s74
	s_cbranch_execnz .LBB40_112
.LBB40_45:                              ;   in Loop: Header=BB40_14 Depth=3
	s_or_b32 exec_lo, exec_lo, s74
	v_cmp_class_f32_e64 s74, v14, 0x1f8
	s_and_saveexec_b32 s11, s74
.LBB40_46:                              ;   in Loop: Header=BB40_14 Depth=3
	v_cmp_lt_f32_e32 vcc_lo, v22, v14
	v_cndmask_b32_e32 v22, v22, v14, vcc_lo
.LBB40_47:                              ;   in Loop: Header=BB40_14 Depth=3
	s_or_b32 exec_lo, exec_lo, s11
.LBB40_48:                              ;   in Loop: Header=BB40_14 Depth=3
                                        ; implicit-def: $vgpr13
.LBB40_49:                              ;   in Loop: Header=BB40_14 Depth=3
	s_andn2_saveexec_b32 s73, s73
	s_cbranch_execz .LBB40_64
; %bb.50:                               ;   in Loop: Header=BB40_14 Depth=3
	s_mov_b32 s74, exec_lo
	v_cmpx_lt_i32_e64 v12, v36
	s_cbranch_execz .LBB40_63
; %bb.51:                               ;   in Loop: Header=BB40_14 Depth=3
	v_mov_b32_e32 v5, v12
	s_mov_b32 s11, 0
                                        ; implicit-def: $sgpr75
                                        ; implicit-def: $sgpr77
                                        ; implicit-def: $sgpr76
	s_inst_prefetch 0x1
	s_branch .LBB40_53
	.p2align	6
.LBB40_52:                              ;   in Loop: Header=BB40_53 Depth=4
	s_or_b32 exec_lo, exec_lo, s78
	s_and_b32 s78, exec_lo, s77
	s_or_b32 s11, s78, s11
	s_andn2_b32 s75, s75, exec_lo
	s_and_b32 s78, s76, exec_lo
	s_or_b32 s75, s75, s78
	s_andn2_b32 exec_lo, exec_lo, s11
	s_cbranch_execz .LBB40_55
.LBB40_53:                              ;   Parent Loop BB40_5 Depth=1
                                        ;     Parent Loop BB40_9 Depth=2
                                        ;       Parent Loop BB40_14 Depth=3
                                        ; =>      This Inner Loop Header: Depth=4
	v_add_nc_u32_e32 v15, v11, v5
	s_or_b32 s76, s76, exec_lo
	s_or_b32 s77, s77, exec_lo
	s_mov_b32 s78, exec_lo
	v_ashrrev_i32_e32 v16, 31, v15
	v_lshlrev_b64 v[37:38], 2, v[15:16]
	v_add_co_u32 v37, vcc_lo, s20, v37
	v_add_co_ci_u32_e64 v38, null, s21, v38, vcc_lo
	global_load_dword v37, v[37:38], off
	s_waitcnt vmcnt(0)
	v_subrev_nc_u32_e32 v37, s62, v37
	v_cmpx_ne_u32_e64 v37, v3
	s_cbranch_execz .LBB40_52
; %bb.54:                               ;   in Loop: Header=BB40_53 Depth=4
	v_add_nc_u32_e32 v5, 1, v5
	s_andn2_b32 s77, s77, exec_lo
	s_andn2_b32 s76, s76, exec_lo
	v_cmp_ge_i32_e32 vcc_lo, v5, v36
	s_and_b32 s79, vcc_lo, exec_lo
	s_or_b32 s77, s77, s79
	s_branch .LBB40_52
.LBB40_55:                              ;   in Loop: Header=BB40_14 Depth=3
	s_inst_prefetch 0x2
	s_or_b32 exec_lo, exec_lo, s11
	s_and_saveexec_b32 s11, s75
	s_xor_b32 s75, exec_lo, s11
	s_cbranch_execz .LBB40_62
; %bb.56:                               ;   in Loop: Header=BB40_14 Depth=3
	v_lshlrev_b64 v[15:16], 3, v[15:16]
	v_add_co_u32 v37, vcc_lo, s34, v15
	v_add_co_ci_u32_e64 v38, null, s35, v16, vcc_lo
	s_andn2_b32 vcc_lo, exec_lo, s56
	global_store_dwordx2 v[37:38], v[13:14], off
	s_cbranch_vccnz .LBB40_62
; %bb.57:                               ;   in Loop: Header=BB40_14 Depth=3
	v_add_co_u32 v15, vcc_lo, s22, v15
	v_add_co_ci_u32_e64 v16, null, s23, v16, vcc_lo
	s_mov_b32 s11, exec_lo
	global_load_dwordx2 v[15:16], v[15:16], off
	s_waitcnt vmcnt(0)
	v_sub_f32_e32 v5, v15, v13
	v_sub_f32_e32 v15, v16, v14
                                        ; implicit-def: $vgpr14
	v_cmp_gt_f32_e32 vcc_lo, 0, v5
	v_cndmask_b32_e64 v5, v5, -v5, vcc_lo
	v_cmp_gt_f32_e32 vcc_lo, 0, v15
	v_cndmask_b32_e64 v13, v15, -v15, vcc_lo
	v_cmpx_ngt_f32_e32 v5, v13
	s_xor_b32 s76, exec_lo, s11
	s_cbranch_execnz .LBB40_117
; %bb.58:                               ;   in Loop: Header=BB40_14 Depth=3
	s_andn2_saveexec_b32 s76, s76
	s_cbranch_execnz .LBB40_120
.LBB40_59:                              ;   in Loop: Header=BB40_14 Depth=3
	s_or_b32 exec_lo, exec_lo, s76
	v_cmp_class_f32_e64 s76, v14, 0x1f8
	s_and_saveexec_b32 s11, s76
.LBB40_60:                              ;   in Loop: Header=BB40_14 Depth=3
	v_cmp_lt_f32_e32 vcc_lo, v22, v14
	v_cndmask_b32_e32 v22, v22, v14, vcc_lo
.LBB40_61:                              ;   in Loop: Header=BB40_14 Depth=3
	s_or_b32 exec_lo, exec_lo, s11
.LBB40_62:                              ;   in Loop: Header=BB40_14 Depth=3
	s_or_b32 exec_lo, exec_lo, s75
.LBB40_63:                              ;   in Loop: Header=BB40_14 Depth=3
	s_or_b32 exec_lo, exec_lo, s74
.LBB40_64:                              ;   in Loop: Header=BB40_14 Depth=3
	s_or_b32 exec_lo, exec_lo, s73
                                        ; implicit-def: $vgpr13
.LBB40_65:                              ;   in Loop: Header=BB40_14 Depth=3
	s_andn2_saveexec_b32 s72, s72
	s_cbranch_execz .LBB40_80
; %bb.66:                               ;   in Loop: Header=BB40_14 Depth=3
	s_mov_b32 s73, exec_lo
	v_cmpx_lt_i32_e64 v1, v29
	s_cbranch_execz .LBB40_79
; %bb.67:                               ;   in Loop: Header=BB40_14 Depth=3
	v_mov_b32_e32 v5, v1
	s_mov_b32 s11, 0
                                        ; implicit-def: $sgpr74
                                        ; implicit-def: $sgpr76
                                        ; implicit-def: $sgpr75
	s_inst_prefetch 0x1
	s_branch .LBB40_69
	.p2align	6
.LBB40_68:                              ;   in Loop: Header=BB40_69 Depth=4
	s_or_b32 exec_lo, exec_lo, s77
	s_and_b32 s77, exec_lo, s76
	s_or_b32 s11, s77, s11
	s_andn2_b32 s74, s74, exec_lo
	s_and_b32 s77, s75, exec_lo
	s_or_b32 s74, s74, s77
	s_andn2_b32 exec_lo, exec_lo, s11
	s_cbranch_execz .LBB40_71
.LBB40_69:                              ;   Parent Loop BB40_5 Depth=1
                                        ;     Parent Loop BB40_9 Depth=2
                                        ;       Parent Loop BB40_14 Depth=3
                                        ; =>      This Inner Loop Header: Depth=4
	v_add_nc_u32_e32 v15, v6, v5
	s_or_b32 s75, s75, exec_lo
	s_or_b32 s76, s76, exec_lo
	s_mov_b32 s77, exec_lo
	v_ashrrev_i32_e32 v16, 31, v15
	v_lshlrev_b64 v[37:38], 2, v[15:16]
	v_add_co_u32 v37, vcc_lo, s28, v37
	v_add_co_ci_u32_e64 v38, null, s29, v38, vcc_lo
	global_load_dword v37, v[37:38], off
	s_waitcnt vmcnt(0)
	v_subrev_nc_u32_e32 v37, s61, v37
	v_cmpx_ne_u32_e64 v37, v7
	s_cbranch_execz .LBB40_68
; %bb.70:                               ;   in Loop: Header=BB40_69 Depth=4
	v_add_nc_u32_e32 v5, 1, v5
	s_andn2_b32 s76, s76, exec_lo
	s_andn2_b32 s75, s75, exec_lo
	v_cmp_ge_i32_e32 vcc_lo, v5, v29
	s_and_b32 s78, vcc_lo, exec_lo
	s_or_b32 s76, s76, s78
	s_branch .LBB40_68
.LBB40_71:                              ;   in Loop: Header=BB40_14 Depth=3
	s_inst_prefetch 0x2
	s_or_b32 exec_lo, exec_lo, s11
	s_and_saveexec_b32 s11, s74
	s_xor_b32 s74, exec_lo, s11
	s_cbranch_execz .LBB40_78
; %bb.72:                               ;   in Loop: Header=BB40_14 Depth=3
	v_lshlrev_b64 v[15:16], 3, v[15:16]
	v_add_co_u32 v37, vcc_lo, s52, v15
	v_add_co_ci_u32_e64 v38, null, s53, v16, vcc_lo
	s_andn2_b32 vcc_lo, exec_lo, s56
	global_store_dwordx2 v[37:38], v[13:14], off
	s_cbranch_vccnz .LBB40_78
; %bb.73:                               ;   in Loop: Header=BB40_14 Depth=3
	v_add_co_u32 v15, vcc_lo, s30, v15
	v_add_co_ci_u32_e64 v16, null, s31, v16, vcc_lo
	s_mov_b32 s11, exec_lo
	global_load_dwordx2 v[15:16], v[15:16], off
	s_waitcnt vmcnt(0)
	v_sub_f32_e32 v5, v15, v13
	v_sub_f32_e32 v15, v16, v14
                                        ; implicit-def: $vgpr14
	v_cmp_gt_f32_e32 vcc_lo, 0, v5
	v_cndmask_b32_e64 v5, v5, -v5, vcc_lo
	v_cmp_gt_f32_e32 vcc_lo, 0, v15
	v_cndmask_b32_e64 v13, v15, -v15, vcc_lo
	v_cmpx_ngt_f32_e32 v5, v13
	s_xor_b32 s75, exec_lo, s11
	s_cbranch_execnz .LBB40_113
; %bb.74:                               ;   in Loop: Header=BB40_14 Depth=3
	s_andn2_saveexec_b32 s75, s75
	s_cbranch_execnz .LBB40_116
.LBB40_75:                              ;   in Loop: Header=BB40_14 Depth=3
	s_or_b32 exec_lo, exec_lo, s75
	v_cmp_class_f32_e64 s75, v14, 0x1f8
	s_and_saveexec_b32 s11, s75
.LBB40_76:                              ;   in Loop: Header=BB40_14 Depth=3
	v_cmp_lt_f32_e32 vcc_lo, v22, v14
	v_cndmask_b32_e32 v22, v22, v14, vcc_lo
.LBB40_77:                              ;   in Loop: Header=BB40_14 Depth=3
	s_or_b32 exec_lo, exec_lo, s11
.LBB40_78:                              ;   in Loop: Header=BB40_14 Depth=3
	s_or_b32 exec_lo, exec_lo, s74
.LBB40_79:                              ;   in Loop: Header=BB40_14 Depth=3
	s_or_b32 exec_lo, exec_lo, s73
.LBB40_80:                              ;   in Loop: Header=BB40_14 Depth=3
	s_or_b32 exec_lo, exec_lo, s72
	s_or_b32 exec_lo, exec_lo, s71
	s_and_b32 s11, s33, s12
	s_and_saveexec_b32 s12, s11
	s_cbranch_execz .LBB40_13
.LBB40_81:                              ;   in Loop: Header=BB40_14 Depth=3
	s_mov_b32 s11, exec_lo
	v_cmpx_ge_i32_e64 v12, v36
	s_xor_b32 s11, exec_lo, s11
	s_cbranch_execnz .LBB40_88
; %bb.82:                               ;   in Loop: Header=BB40_14 Depth=3
	s_andn2_saveexec_b32 s11, s11
	s_cbranch_execnz .LBB40_102
.LBB40_83:                              ;   in Loop: Header=BB40_14 Depth=3
	s_or_b32 exec_lo, exec_lo, s11
	s_mov_b32 s11, exec_lo
	v_cmpx_eq_u32_e64 v3, v7
	s_cbranch_execz .LBB40_85
.LBB40_84:                              ;   in Loop: Header=BB40_14 Depth=3
	v_lshlrev_b64 v[7:8], 3, v[7:8]
	v_add_co_u32 v7, vcc_lo, s48, v7
	v_add_co_ci_u32_e64 v8, null, s49, v8, vcc_lo
	global_load_dwordx2 v[7:8], v[7:8], off
	s_waitcnt vmcnt(0)
	v_add_f32_e32 v34, v34, v7
	v_add_f32_e32 v35, v35, v8
.LBB40_85:                              ;   in Loop: Header=BB40_14 Depth=3
	s_or_b32 exec_lo, exec_lo, s11
	v_sub_f32_e32 v1, v9, v34
	v_sub_f32_e32 v8, v10, v35
                                        ; implicit-def: $vgpr7
	s_mov_b32 s11, exec_lo
	v_cmp_gt_f32_e32 vcc_lo, 0, v1
	v_cndmask_b32_e64 v1, v1, -v1, vcc_lo
	v_cmp_gt_f32_e32 vcc_lo, 0, v8
	v_cndmask_b32_e64 v5, v8, -v8, vcc_lo
	v_cmpx_ngt_f32_e32 v1, v5
	s_xor_b32 s71, exec_lo, s11
	s_cbranch_execnz .LBB40_93
; %bb.86:                               ;   in Loop: Header=BB40_14 Depth=3
	s_andn2_saveexec_b32 s71, s71
	s_cbranch_execnz .LBB40_96
.LBB40_87:                              ;   in Loop: Header=BB40_14 Depth=3
	s_or_b32 exec_lo, exec_lo, s71
	v_cmp_class_f32_e64 s71, v7, 0x1f8
	s_and_saveexec_b32 s11, s71
	s_cbranch_execz .LBB40_12
	s_branch .LBB40_97
.LBB40_88:                              ;   in Loop: Header=BB40_14 Depth=3
	s_mov_b32 s71, exec_lo
	v_cmpx_lt_i32_e64 v1, v29
	s_cbranch_execz .LBB40_101
; %bb.89:                               ;   in Loop: Header=BB40_14 Depth=3
	s_mov_b32 s73, 0
                                        ; implicit-def: $sgpr72
                                        ; implicit-def: $sgpr75
                                        ; implicit-def: $sgpr74
	s_inst_prefetch 0x1
	s_branch .LBB40_91
	.p2align	6
.LBB40_90:                              ;   in Loop: Header=BB40_91 Depth=4
	s_or_b32 exec_lo, exec_lo, s76
	s_and_b32 s76, exec_lo, s75
	s_or_b32 s73, s76, s73
	s_andn2_b32 s72, s72, exec_lo
	s_and_b32 s76, s74, exec_lo
	s_or_b32 s72, s72, s76
	s_andn2_b32 exec_lo, exec_lo, s73
	s_cbranch_execz .LBB40_98
.LBB40_91:                              ;   Parent Loop BB40_5 Depth=1
                                        ;     Parent Loop BB40_9 Depth=2
                                        ;       Parent Loop BB40_14 Depth=3
                                        ; =>      This Inner Loop Header: Depth=4
	v_add_nc_u32_e32 v11, v6, v1
	s_or_b32 s74, s74, exec_lo
	s_or_b32 s75, s75, exec_lo
	s_mov_b32 s76, exec_lo
	v_ashrrev_i32_e32 v12, 31, v11
	v_lshlrev_b64 v[13:14], 2, v[11:12]
	v_add_co_u32 v13, vcc_lo, s28, v13
	v_add_co_ci_u32_e64 v14, null, s29, v14, vcc_lo
	global_load_dword v5, v[13:14], off
	s_waitcnt vmcnt(0)
	v_subrev_nc_u32_e32 v5, s61, v5
	v_cmpx_ne_u32_e64 v5, v7
	s_cbranch_execz .LBB40_90
; %bb.92:                               ;   in Loop: Header=BB40_91 Depth=4
	v_add_nc_u32_e32 v1, 1, v1
	s_andn2_b32 s75, s75, exec_lo
	s_andn2_b32 s74, s74, exec_lo
	v_cmp_ge_i32_e32 vcc_lo, v1, v29
	s_and_b32 s77, vcc_lo, exec_lo
	s_or_b32 s75, s75, s77
	s_branch .LBB40_90
.LBB40_93:                              ;   in Loop: Header=BB40_14 Depth=3
	v_mov_b32_e32 v7, 0
	s_mov_b32 s72, exec_lo
	v_cmpx_neq_f32_e32 0, v8
	s_cbranch_execz .LBB40_95
; %bb.94:                               ;   in Loop: Header=BB40_14 Depth=3
	v_div_scale_f32 v7, null, v5, v5, v1
	v_div_scale_f32 v10, vcc_lo, v1, v5, v1
	v_rcp_f32_e32 v8, v7
	v_fma_f32 v9, -v7, v8, 1.0
	v_fmac_f32_e32 v8, v9, v8
	v_mul_f32_e32 v9, v10, v8
	v_fma_f32 v11, -v7, v9, v10
	v_fmac_f32_e32 v9, v11, v8
	v_fma_f32 v7, -v7, v9, v10
	v_div_fmas_f32 v7, v7, v8, v9
	v_div_fixup_f32 v1, v7, v5, v1
	v_fma_f32 v1, v1, v1, 1.0
	v_mul_f32_e32 v7, 0x4f800000, v1
	v_cmp_gt_f32_e32 vcc_lo, 0xf800000, v1
	v_cndmask_b32_e32 v1, v1, v7, vcc_lo
	v_sqrt_f32_e32 v7, v1
	v_add_nc_u32_e32 v8, -1, v7
	v_add_nc_u32_e32 v9, 1, v7
	v_fma_f32 v10, -v8, v7, v1
	v_fma_f32 v11, -v9, v7, v1
	v_cmp_ge_f32_e64 s11, 0, v10
	v_cndmask_b32_e64 v7, v7, v8, s11
	v_cmp_lt_f32_e64 s11, 0, v11
	v_cndmask_b32_e64 v7, v7, v9, s11
	v_mul_f32_e32 v8, 0x37800000, v7
	v_cndmask_b32_e32 v7, v7, v8, vcc_lo
	v_cmp_class_f32_e64 vcc_lo, v1, 0x260
	v_cndmask_b32_e32 v1, v7, v1, vcc_lo
	v_mul_f32_e32 v7, v5, v1
.LBB40_95:                              ;   in Loop: Header=BB40_14 Depth=3
	s_or_b32 exec_lo, exec_lo, s72
                                        ; implicit-def: $vgpr1
                                        ; implicit-def: $vgpr5
	s_andn2_saveexec_b32 s71, s71
	s_cbranch_execz .LBB40_87
.LBB40_96:                              ;   in Loop: Header=BB40_14 Depth=3
	v_div_scale_f32 v7, null, v1, v1, v5
	v_div_scale_f32 v10, vcc_lo, v5, v1, v5
	v_rcp_f32_e32 v8, v7
	v_fma_f32 v9, -v7, v8, 1.0
	v_fmac_f32_e32 v8, v9, v8
	v_mul_f32_e32 v9, v10, v8
	v_fma_f32 v11, -v7, v9, v10
	v_fmac_f32_e32 v9, v11, v8
	v_fma_f32 v7, -v7, v9, v10
	v_div_fmas_f32 v7, v7, v8, v9
	v_div_fixup_f32 v5, v7, v1, v5
	v_fma_f32 v5, v5, v5, 1.0
	v_mul_f32_e32 v7, 0x4f800000, v5
	v_cmp_gt_f32_e32 vcc_lo, 0xf800000, v5
	v_cndmask_b32_e32 v5, v5, v7, vcc_lo
	v_sqrt_f32_e32 v7, v5
	v_add_nc_u32_e32 v8, -1, v7
	v_add_nc_u32_e32 v9, 1, v7
	v_fma_f32 v10, -v8, v7, v5
	v_fma_f32 v11, -v9, v7, v5
	v_cmp_ge_f32_e64 s11, 0, v10
	v_cndmask_b32_e64 v7, v7, v8, s11
	v_cmp_lt_f32_e64 s11, 0, v11
	v_cndmask_b32_e64 v7, v7, v9, s11
	v_mul_f32_e32 v8, 0x37800000, v7
	v_cndmask_b32_e32 v7, v7, v8, vcc_lo
	v_cmp_class_f32_e64 vcc_lo, v5, 0x260
	v_cndmask_b32_e32 v5, v7, v5, vcc_lo
	v_mul_f32_e32 v7, v1, v5
	s_or_b32 exec_lo, exec_lo, s71
	v_cmp_class_f32_e64 s71, v7, 0x1f8
	s_and_saveexec_b32 s11, s71
	s_cbranch_execz .LBB40_12
.LBB40_97:                              ;   in Loop: Header=BB40_14 Depth=3
	v_cmp_lt_f32_e32 vcc_lo, v18, v7
	v_cndmask_b32_e32 v18, v18, v7, vcc_lo
	s_branch .LBB40_12
.LBB40_98:                              ;   in Loop: Header=BB40_14 Depth=3
	s_inst_prefetch 0x2
	s_or_b32 exec_lo, exec_lo, s73
	s_and_saveexec_b32 s73, s72
	s_xor_b32 s72, exec_lo, s73
	s_cbranch_execz .LBB40_100
; %bb.99:                               ;   in Loop: Header=BB40_14 Depth=3
	v_lshlrev_b64 v[11:12], 3, v[11:12]
	v_lshlrev_b64 v[13:14], 3, v[7:8]
	v_add_co_u32 v11, vcc_lo, s30, v11
	v_add_co_ci_u32_e64 v12, null, s31, v12, vcc_lo
	v_add_co_u32 v13, vcc_lo, s48, v13
	v_add_co_ci_u32_e64 v14, null, s49, v14, vcc_lo
	global_load_dwordx2 v[11:12], v[11:12], off
	global_load_dwordx2 v[13:14], v[13:14], off
	s_waitcnt vmcnt(0)
	v_mul_f32_e64 v1, v14, -v12
	v_mul_f32_e32 v5, v14, v11
	v_fmac_f32_e32 v1, v11, v13
	v_fmac_f32_e32 v5, v12, v13
	v_add_f32_e32 v34, v34, v1
	v_add_f32_e32 v35, v35, v5
.LBB40_100:                             ;   in Loop: Header=BB40_14 Depth=3
	s_or_b32 exec_lo, exec_lo, s72
.LBB40_101:                             ;   in Loop: Header=BB40_14 Depth=3
	s_or_b32 exec_lo, exec_lo, s71
                                        ; implicit-def: $vgpr12
                                        ; implicit-def: $vgpr11
                                        ; implicit-def: $vgpr36
	s_andn2_saveexec_b32 s11, s11
	s_cbranch_execz .LBB40_83
.LBB40_102:                             ;   in Loop: Header=BB40_14 Depth=3
	s_mov_b32 s72, 0
                                        ; implicit-def: $sgpr71
                                        ; implicit-def: $sgpr74
                                        ; implicit-def: $sgpr73
	s_inst_prefetch 0x1
	s_branch .LBB40_104
	.p2align	6
.LBB40_103:                             ;   in Loop: Header=BB40_104 Depth=4
	s_or_b32 exec_lo, exec_lo, s75
	s_and_b32 s75, exec_lo, s74
	s_or_b32 s72, s75, s72
	s_andn2_b32 s71, s71, exec_lo
	s_and_b32 s75, s73, exec_lo
	s_or_b32 s71, s71, s75
	s_andn2_b32 exec_lo, exec_lo, s72
	s_cbranch_execz .LBB40_106
.LBB40_104:                             ;   Parent Loop BB40_5 Depth=1
                                        ;     Parent Loop BB40_9 Depth=2
                                        ;       Parent Loop BB40_14 Depth=3
                                        ; =>      This Inner Loop Header: Depth=4
	v_add_nc_u32_e32 v13, v11, v12
	s_or_b32 s73, s73, exec_lo
	s_or_b32 s74, s74, exec_lo
	s_mov_b32 s75, exec_lo
	v_ashrrev_i32_e32 v14, 31, v13
	v_lshlrev_b64 v[15:16], 2, v[13:14]
	v_add_co_u32 v15, vcc_lo, s20, v15
	v_add_co_ci_u32_e64 v16, null, s21, v16, vcc_lo
	global_load_dword v1, v[15:16], off
	s_waitcnt vmcnt(0)
	v_subrev_nc_u32_e32 v1, s62, v1
	v_cmpx_ne_u32_e64 v1, v3
	s_cbranch_execz .LBB40_103
; %bb.105:                              ;   in Loop: Header=BB40_104 Depth=4
	v_add_nc_u32_e32 v12, 1, v12
	s_andn2_b32 s74, s74, exec_lo
	s_andn2_b32 s73, s73, exec_lo
	v_cmp_ge_i32_e32 vcc_lo, v12, v36
	s_and_b32 s76, vcc_lo, exec_lo
	s_or_b32 s74, s74, s76
	s_branch .LBB40_103
.LBB40_106:                             ;   in Loop: Header=BB40_14 Depth=3
	s_inst_prefetch 0x2
	s_or_b32 exec_lo, exec_lo, s72
	s_and_saveexec_b32 s72, s71
	s_xor_b32 s71, exec_lo, s72
	s_cbranch_execz .LBB40_108
; %bb.107:                              ;   in Loop: Header=BB40_14 Depth=3
	v_lshlrev_b64 v[11:12], 3, v[13:14]
	v_add_co_u32 v11, vcc_lo, s22, v11
	v_add_co_ci_u32_e64 v12, null, s23, v12, vcc_lo
	global_load_dwordx2 v[11:12], v[11:12], off
	s_waitcnt vmcnt(0)
	v_add_f32_e32 v34, v34, v11
	v_add_f32_e32 v35, v35, v12
.LBB40_108:                             ;   in Loop: Header=BB40_14 Depth=3
	s_or_b32 exec_lo, exec_lo, s71
	s_or_b32 exec_lo, exec_lo, s11
	s_mov_b32 s11, exec_lo
	v_cmpx_eq_u32_e64 v3, v7
	s_cbranch_execnz .LBB40_84
	s_branch .LBB40_85
.LBB40_109:                             ;   in Loop: Header=BB40_14 Depth=3
	v_mov_b32_e32 v14, 0
	s_mov_b32 s75, exec_lo
	v_cmpx_neq_f32_e32 0, v15
	s_cbranch_execz .LBB40_111
; %bb.110:                              ;   in Loop: Header=BB40_14 Depth=3
	v_div_scale_f32 v14, null, v13, v13, v5
	v_div_scale_f32 v37, vcc_lo, v5, v13, v5
	v_rcp_f32_e32 v15, v14
	v_fma_f32 v16, -v14, v15, 1.0
	v_fmac_f32_e32 v15, v16, v15
	v_mul_f32_e32 v16, v37, v15
	v_fma_f32 v38, -v14, v16, v37
	v_fmac_f32_e32 v16, v38, v15
	v_fma_f32 v14, -v14, v16, v37
	v_div_fmas_f32 v14, v14, v15, v16
	v_div_fixup_f32 v5, v14, v13, v5
	v_fma_f32 v5, v5, v5, 1.0
	v_mul_f32_e32 v14, 0x4f800000, v5
	v_cmp_gt_f32_e32 vcc_lo, 0xf800000, v5
	v_cndmask_b32_e32 v5, v5, v14, vcc_lo
	v_sqrt_f32_e32 v14, v5
	v_add_nc_u32_e32 v15, -1, v14
	v_add_nc_u32_e32 v16, 1, v14
	v_fma_f32 v37, -v15, v14, v5
	v_fma_f32 v38, -v16, v14, v5
	v_cmp_ge_f32_e64 s11, 0, v37
	v_cndmask_b32_e64 v14, v14, v15, s11
	v_cmp_lt_f32_e64 s11, 0, v38
	v_cndmask_b32_e64 v14, v14, v16, s11
	v_mul_f32_e32 v15, 0x37800000, v14
	v_cndmask_b32_e32 v14, v14, v15, vcc_lo
	v_cmp_class_f32_e64 vcc_lo, v5, 0x260
	v_cndmask_b32_e32 v5, v14, v5, vcc_lo
	v_mul_f32_e32 v14, v13, v5
.LBB40_111:                             ;   in Loop: Header=BB40_14 Depth=3
	s_or_b32 exec_lo, exec_lo, s75
                                        ; implicit-def: $vgpr5
                                        ; implicit-def: $vgpr13
	s_andn2_saveexec_b32 s74, s74
	s_cbranch_execz .LBB40_45
.LBB40_112:                             ;   in Loop: Header=BB40_14 Depth=3
	v_div_scale_f32 v14, null, v5, v5, v13
	v_div_scale_f32 v37, vcc_lo, v13, v5, v13
	v_rcp_f32_e32 v15, v14
	v_fma_f32 v16, -v14, v15, 1.0
	v_fmac_f32_e32 v15, v16, v15
	v_mul_f32_e32 v16, v37, v15
	v_fma_f32 v38, -v14, v16, v37
	v_fmac_f32_e32 v16, v38, v15
	v_fma_f32 v14, -v14, v16, v37
	v_div_fmas_f32 v14, v14, v15, v16
	v_div_fixup_f32 v13, v14, v5, v13
	v_fma_f32 v13, v13, v13, 1.0
	v_mul_f32_e32 v14, 0x4f800000, v13
	v_cmp_gt_f32_e32 vcc_lo, 0xf800000, v13
	v_cndmask_b32_e32 v13, v13, v14, vcc_lo
	v_sqrt_f32_e32 v14, v13
	v_add_nc_u32_e32 v15, -1, v14
	v_add_nc_u32_e32 v16, 1, v14
	v_fma_f32 v37, -v15, v14, v13
	v_fma_f32 v38, -v16, v14, v13
	v_cmp_ge_f32_e64 s11, 0, v37
	v_cndmask_b32_e64 v14, v14, v15, s11
	v_cmp_lt_f32_e64 s11, 0, v38
	v_cndmask_b32_e64 v14, v14, v16, s11
	v_mul_f32_e32 v15, 0x37800000, v14
	v_cndmask_b32_e32 v14, v14, v15, vcc_lo
	v_cmp_class_f32_e64 vcc_lo, v13, 0x260
	v_cndmask_b32_e32 v13, v14, v13, vcc_lo
	v_mul_f32_e32 v14, v5, v13
	s_or_b32 exec_lo, exec_lo, s74
	v_cmp_class_f32_e64 s74, v14, 0x1f8
	s_and_saveexec_b32 s11, s74
	s_cbranch_execnz .LBB40_46
	s_branch .LBB40_47
.LBB40_113:                             ;   in Loop: Header=BB40_14 Depth=3
	v_mov_b32_e32 v14, 0
	s_mov_b32 s76, exec_lo
	v_cmpx_neq_f32_e32 0, v15
	s_cbranch_execz .LBB40_115
; %bb.114:                              ;   in Loop: Header=BB40_14 Depth=3
	v_div_scale_f32 v14, null, v13, v13, v5
	v_div_scale_f32 v37, vcc_lo, v5, v13, v5
	v_rcp_f32_e32 v15, v14
	v_fma_f32 v16, -v14, v15, 1.0
	v_fmac_f32_e32 v15, v16, v15
	v_mul_f32_e32 v16, v37, v15
	v_fma_f32 v38, -v14, v16, v37
	v_fmac_f32_e32 v16, v38, v15
	v_fma_f32 v14, -v14, v16, v37
	v_div_fmas_f32 v14, v14, v15, v16
	v_div_fixup_f32 v5, v14, v13, v5
	v_fma_f32 v5, v5, v5, 1.0
	v_mul_f32_e32 v14, 0x4f800000, v5
	v_cmp_gt_f32_e32 vcc_lo, 0xf800000, v5
	v_cndmask_b32_e32 v5, v5, v14, vcc_lo
	v_sqrt_f32_e32 v14, v5
	v_add_nc_u32_e32 v15, -1, v14
	v_add_nc_u32_e32 v16, 1, v14
	v_fma_f32 v37, -v15, v14, v5
	v_fma_f32 v38, -v16, v14, v5
	v_cmp_ge_f32_e64 s11, 0, v37
	v_cndmask_b32_e64 v14, v14, v15, s11
	v_cmp_lt_f32_e64 s11, 0, v38
	v_cndmask_b32_e64 v14, v14, v16, s11
	v_mul_f32_e32 v15, 0x37800000, v14
	v_cndmask_b32_e32 v14, v14, v15, vcc_lo
	v_cmp_class_f32_e64 vcc_lo, v5, 0x260
	v_cndmask_b32_e32 v5, v14, v5, vcc_lo
	v_mul_f32_e32 v14, v13, v5
.LBB40_115:                             ;   in Loop: Header=BB40_14 Depth=3
	s_or_b32 exec_lo, exec_lo, s76
                                        ; implicit-def: $vgpr5
                                        ; implicit-def: $vgpr13
	s_andn2_saveexec_b32 s75, s75
	s_cbranch_execz .LBB40_75
.LBB40_116:                             ;   in Loop: Header=BB40_14 Depth=3
	v_div_scale_f32 v14, null, v5, v5, v13
	v_div_scale_f32 v37, vcc_lo, v13, v5, v13
	v_rcp_f32_e32 v15, v14
	v_fma_f32 v16, -v14, v15, 1.0
	v_fmac_f32_e32 v15, v16, v15
	v_mul_f32_e32 v16, v37, v15
	v_fma_f32 v38, -v14, v16, v37
	v_fmac_f32_e32 v16, v38, v15
	v_fma_f32 v14, -v14, v16, v37
	v_div_fmas_f32 v14, v14, v15, v16
	v_div_fixup_f32 v13, v14, v5, v13
	v_fma_f32 v13, v13, v13, 1.0
	v_mul_f32_e32 v14, 0x4f800000, v13
	v_cmp_gt_f32_e32 vcc_lo, 0xf800000, v13
	v_cndmask_b32_e32 v13, v13, v14, vcc_lo
	v_sqrt_f32_e32 v14, v13
	v_add_nc_u32_e32 v15, -1, v14
	v_add_nc_u32_e32 v16, 1, v14
	v_fma_f32 v37, -v15, v14, v13
	v_fma_f32 v38, -v16, v14, v13
	v_cmp_ge_f32_e64 s11, 0, v37
	v_cndmask_b32_e64 v14, v14, v15, s11
	v_cmp_lt_f32_e64 s11, 0, v38
	v_cndmask_b32_e64 v14, v14, v16, s11
	v_mul_f32_e32 v15, 0x37800000, v14
	v_cndmask_b32_e32 v14, v14, v15, vcc_lo
	v_cmp_class_f32_e64 vcc_lo, v13, 0x260
	v_cndmask_b32_e32 v13, v14, v13, vcc_lo
	v_mul_f32_e32 v14, v5, v13
	s_or_b32 exec_lo, exec_lo, s75
	v_cmp_class_f32_e64 s75, v14, 0x1f8
	s_and_saveexec_b32 s11, s75
	s_cbranch_execnz .LBB40_76
	s_branch .LBB40_77
.LBB40_117:                             ;   in Loop: Header=BB40_14 Depth=3
	v_mov_b32_e32 v14, 0
	s_mov_b32 s77, exec_lo
	v_cmpx_neq_f32_e32 0, v15
	s_cbranch_execz .LBB40_119
; %bb.118:                              ;   in Loop: Header=BB40_14 Depth=3
	v_div_scale_f32 v14, null, v13, v13, v5
	v_div_scale_f32 v37, vcc_lo, v5, v13, v5
	v_rcp_f32_e32 v15, v14
	v_fma_f32 v16, -v14, v15, 1.0
	v_fmac_f32_e32 v15, v16, v15
	v_mul_f32_e32 v16, v37, v15
	v_fma_f32 v38, -v14, v16, v37
	v_fmac_f32_e32 v16, v38, v15
	v_fma_f32 v14, -v14, v16, v37
	v_div_fmas_f32 v14, v14, v15, v16
	v_div_fixup_f32 v5, v14, v13, v5
	v_fma_f32 v5, v5, v5, 1.0
	v_mul_f32_e32 v14, 0x4f800000, v5
	v_cmp_gt_f32_e32 vcc_lo, 0xf800000, v5
	v_cndmask_b32_e32 v5, v5, v14, vcc_lo
	v_sqrt_f32_e32 v14, v5
	v_add_nc_u32_e32 v15, -1, v14
	v_add_nc_u32_e32 v16, 1, v14
	v_fma_f32 v37, -v15, v14, v5
	v_fma_f32 v38, -v16, v14, v5
	v_cmp_ge_f32_e64 s11, 0, v37
	v_cndmask_b32_e64 v14, v14, v15, s11
	v_cmp_lt_f32_e64 s11, 0, v38
	v_cndmask_b32_e64 v14, v14, v16, s11
	v_mul_f32_e32 v15, 0x37800000, v14
	v_cndmask_b32_e32 v14, v14, v15, vcc_lo
	v_cmp_class_f32_e64 vcc_lo, v5, 0x260
	v_cndmask_b32_e32 v5, v14, v5, vcc_lo
	v_mul_f32_e32 v14, v13, v5
.LBB40_119:                             ;   in Loop: Header=BB40_14 Depth=3
	s_or_b32 exec_lo, exec_lo, s77
                                        ; implicit-def: $vgpr5
                                        ; implicit-def: $vgpr13
	s_andn2_saveexec_b32 s76, s76
	s_cbranch_execz .LBB40_59
.LBB40_120:                             ;   in Loop: Header=BB40_14 Depth=3
	v_div_scale_f32 v14, null, v5, v5, v13
	v_div_scale_f32 v37, vcc_lo, v13, v5, v13
	v_rcp_f32_e32 v15, v14
	v_fma_f32 v16, -v14, v15, 1.0
	v_fmac_f32_e32 v15, v16, v15
	v_mul_f32_e32 v16, v37, v15
	v_fma_f32 v38, -v14, v16, v37
	v_fmac_f32_e32 v16, v38, v15
	v_fma_f32 v14, -v14, v16, v37
	v_div_fmas_f32 v14, v14, v15, v16
	v_div_fixup_f32 v13, v14, v5, v13
	v_fma_f32 v13, v13, v13, 1.0
	v_mul_f32_e32 v14, 0x4f800000, v13
	v_cmp_gt_f32_e32 vcc_lo, 0xf800000, v13
	v_cndmask_b32_e32 v13, v13, v14, vcc_lo
	v_sqrt_f32_e32 v14, v13
	v_add_nc_u32_e32 v15, -1, v14
	v_add_nc_u32_e32 v16, 1, v14
	v_fma_f32 v37, -v15, v14, v13
	v_fma_f32 v38, -v16, v14, v13
	v_cmp_ge_f32_e64 s11, 0, v37
	v_cndmask_b32_e64 v14, v14, v15, s11
	v_cmp_lt_f32_e64 s11, 0, v38
	v_cndmask_b32_e64 v14, v14, v16, s11
	v_mul_f32_e32 v15, 0x37800000, v14
	v_cndmask_b32_e32 v14, v14, v15, vcc_lo
	v_cmp_class_f32_e64 vcc_lo, v13, 0x260
	v_cndmask_b32_e32 v13, v14, v13, vcc_lo
	v_mul_f32_e32 v14, v5, v13
	s_or_b32 exec_lo, exec_lo, s76
	v_cmp_class_f32_e64 s76, v14, 0x1f8
	s_and_saveexec_b32 s11, s76
	s_cbranch_execnz .LBB40_60
	s_branch .LBB40_61
.LBB40_121:                             ;   in Loop: Header=BB40_5 Depth=1
	v_xor_b32_e32 v6, 16, v21
	v_xor_b32_e32 v5, 8, v21
	;; [unrolled: 1-line block ×5, first 2 shown]
	s_and_b32 vcc_lo, exec_lo, s56
	s_cbranch_vccnz .LBB40_124
; %bb.122:                              ;   in Loop: Header=BB40_5 Depth=1
	s_andn2_b32 vcc_lo, exec_lo, s33
	s_cbranch_vccz .LBB40_137
.LBB40_123:                             ;   in Loop: Header=BB40_5 Depth=1
	s_and_saveexec_b32 s11, s8
	s_cbranch_execnz .LBB40_150
	s_branch .LBB40_161
.LBB40_124:                             ;   in Loop: Header=BB40_5 Depth=1
	v_cmp_gt_i32_e32 vcc_lo, 32, v6
	v_cndmask_b32_e32 v7, v21, v6, vcc_lo
	v_cmp_gt_i32_e32 vcc_lo, 32, v5
	v_lshlrev_b32_e32 v7, 2, v7
	v_cndmask_b32_e32 v8, v21, v5, vcc_lo
	ds_bpermute_b32 v7, v7, v22
	v_lshlrev_b32_e32 v8, 2, v8
	s_waitcnt lgkmcnt(0)
	v_cmp_lt_f32_e32 vcc_lo, v22, v7
	v_cndmask_b32_e32 v7, v22, v7, vcc_lo
	v_cmp_gt_i32_e32 vcc_lo, 32, v4
	ds_bpermute_b32 v8, v8, v7
	v_cndmask_b32_e32 v9, v21, v4, vcc_lo
	v_lshlrev_b32_e32 v9, 2, v9
	s_waitcnt lgkmcnt(0)
	v_cmp_lt_f32_e32 vcc_lo, v7, v8
	v_cndmask_b32_e32 v7, v7, v8, vcc_lo
	v_cmp_gt_i32_e32 vcc_lo, 32, v3
	ds_bpermute_b32 v8, v9, v7
	v_cndmask_b32_e32 v9, v21, v3, vcc_lo
	;; [unrolled: 7-line block ×3, first 2 shown]
	s_waitcnt lgkmcnt(0)
	v_cmp_lt_f32_e32 vcc_lo, v7, v8
	v_cndmask_b32_e32 v7, v7, v8, vcc_lo
	v_lshlrev_b32_e32 v8, 2, v9
	ds_bpermute_b32 v8, v8, v7
	s_and_saveexec_b32 s10, s0
	s_cbranch_execz .LBB40_126
; %bb.125:                              ;   in Loop: Header=BB40_5 Depth=1
	s_waitcnt lgkmcnt(0)
	v_cmp_lt_f32_e32 vcc_lo, v7, v8
	v_cndmask_b32_e32 v7, v7, v8, vcc_lo
	ds_write_b32 v24, v7
.LBB40_126:                             ;   in Loop: Header=BB40_5 Depth=1
	s_or_b32 exec_lo, exec_lo, s10
	s_waitcnt lgkmcnt(0)
	s_waitcnt_vscnt null, 0x0
	s_barrier
	buffer_gl0_inv
	s_and_saveexec_b32 s10, s1
	s_cbranch_execz .LBB40_128
; %bb.127:                              ;   in Loop: Header=BB40_5 Depth=1
	ds_read2_b32 v[7:8], v17 offset1:16
	s_waitcnt lgkmcnt(0)
	v_cmp_lt_f32_e32 vcc_lo, v7, v8
	v_cndmask_b32_e32 v7, v7, v8, vcc_lo
	ds_write_b32 v17, v7
.LBB40_128:                             ;   in Loop: Header=BB40_5 Depth=1
	s_or_b32 exec_lo, exec_lo, s10
	s_waitcnt lgkmcnt(0)
	s_barrier
	buffer_gl0_inv
	s_and_saveexec_b32 s10, s2
	s_cbranch_execz .LBB40_130
; %bb.129:                              ;   in Loop: Header=BB40_5 Depth=1
	ds_read2_b32 v[7:8], v17 offset1:8
	s_waitcnt lgkmcnt(0)
	v_cmp_lt_f32_e32 vcc_lo, v7, v8
	v_cndmask_b32_e32 v7, v7, v8, vcc_lo
	ds_write_b32 v17, v7
.LBB40_130:                             ;   in Loop: Header=BB40_5 Depth=1
	s_or_b32 exec_lo, exec_lo, s10
	s_waitcnt lgkmcnt(0)
	s_barrier
	buffer_gl0_inv
	s_and_saveexec_b32 s10, s3
	s_cbranch_execz .LBB40_132
; %bb.131:                              ;   in Loop: Header=BB40_5 Depth=1
	ds_read2_b32 v[7:8], v17 offset1:4
	s_waitcnt lgkmcnt(0)
	v_cmp_lt_f32_e32 vcc_lo, v7, v8
	v_cndmask_b32_e32 v7, v7, v8, vcc_lo
	ds_write_b32 v17, v7
.LBB40_132:                             ;   in Loop: Header=BB40_5 Depth=1
	s_or_b32 exec_lo, exec_lo, s10
	s_waitcnt lgkmcnt(0)
	s_barrier
	buffer_gl0_inv
	s_and_saveexec_b32 s10, s6
	s_cbranch_execz .LBB40_134
; %bb.133:                              ;   in Loop: Header=BB40_5 Depth=1
	ds_read2_b32 v[7:8], v17 offset1:2
	s_waitcnt lgkmcnt(0)
	v_cmp_lt_f32_e32 vcc_lo, v7, v8
	v_cndmask_b32_e32 v7, v7, v8, vcc_lo
	ds_write_b32 v17, v7
.LBB40_134:                             ;   in Loop: Header=BB40_5 Depth=1
	s_or_b32 exec_lo, exec_lo, s10
	s_waitcnt lgkmcnt(0)
	s_barrier
	buffer_gl0_inv
	s_and_saveexec_b32 s10, s7
	s_cbranch_execz .LBB40_136
; %bb.135:                              ;   in Loop: Header=BB40_5 Depth=1
	ds_read_b64 v[7:8], v2
	s_waitcnt lgkmcnt(0)
	v_cmp_lt_f32_e32 vcc_lo, v7, v8
	v_cndmask_b32_e32 v7, v7, v8, vcc_lo
	ds_write_b32 v2, v7
.LBB40_136:                             ;   in Loop: Header=BB40_5 Depth=1
	s_or_b32 exec_lo, exec_lo, s10
	s_waitcnt lgkmcnt(0)
	s_barrier
	buffer_gl0_inv
	ds_read_b32 v7, v2
	s_load_dword s10, s[54:55], 0x0
	s_waitcnt lgkmcnt(0)
	v_div_scale_f32 v8, null, s10, s10, v7
	v_rcp_f32_e32 v9, v8
	v_fma_f32 v10, -v8, v9, 1.0
	v_fmac_f32_e32 v9, v10, v9
	v_div_scale_f32 v10, vcc_lo, v7, s10, v7
	v_mul_f32_e32 v11, v10, v9
	v_fma_f32 v12, -v8, v11, v10
	v_fmac_f32_e32 v11, v12, v9
	v_fma_f32 v8, -v8, v11, v10
	v_div_fmas_f32 v8, v8, v9, v11
	v_div_fixup_f32 v22, v8, s10, v7
	s_andn2_b32 vcc_lo, exec_lo, s33
	s_cbranch_vccnz .LBB40_123
.LBB40_137:                             ;   in Loop: Header=BB40_5 Depth=1
	v_cmp_gt_i32_e32 vcc_lo, 32, v6
	v_cndmask_b32_e32 v6, v21, v6, vcc_lo
	v_cmp_gt_i32_e32 vcc_lo, 32, v5
	v_lshlrev_b32_e32 v6, 2, v6
	v_cndmask_b32_e32 v5, v21, v5, vcc_lo
	ds_bpermute_b32 v6, v6, v18
	v_lshlrev_b32_e32 v5, 2, v5
	s_waitcnt lgkmcnt(0)
	v_cmp_lt_f32_e32 vcc_lo, v18, v6
	v_cndmask_b32_e32 v6, v18, v6, vcc_lo
	v_cmp_gt_i32_e32 vcc_lo, 32, v4
	ds_bpermute_b32 v5, v5, v6
	v_cndmask_b32_e32 v4, v21, v4, vcc_lo
	v_lshlrev_b32_e32 v4, 2, v4
	s_waitcnt lgkmcnt(0)
	v_cmp_lt_f32_e32 vcc_lo, v6, v5
	v_cndmask_b32_e32 v5, v6, v5, vcc_lo
	v_cmp_gt_i32_e32 vcc_lo, 32, v3
	ds_bpermute_b32 v4, v4, v5
	v_cndmask_b32_e32 v3, v21, v3, vcc_lo
	;; [unrolled: 7-line block ×3, first 2 shown]
	s_waitcnt lgkmcnt(0)
	v_cmp_lt_f32_e32 vcc_lo, v4, v3
	v_cndmask_b32_e32 v1, v4, v3, vcc_lo
	v_lshlrev_b32_e32 v3, 2, v5
	ds_bpermute_b32 v3, v3, v1
	s_and_saveexec_b32 s10, s0
	s_cbranch_execz .LBB40_139
; %bb.138:                              ;   in Loop: Header=BB40_5 Depth=1
	s_waitcnt lgkmcnt(0)
	v_cmp_lt_f32_e32 vcc_lo, v1, v3
	v_cndmask_b32_e32 v1, v1, v3, vcc_lo
	ds_write_b32 v24, v1
.LBB40_139:                             ;   in Loop: Header=BB40_5 Depth=1
	s_or_b32 exec_lo, exec_lo, s10
	s_waitcnt lgkmcnt(0)
	s_waitcnt_vscnt null, 0x0
	s_barrier
	buffer_gl0_inv
	s_and_saveexec_b32 s10, s1
	s_cbranch_execz .LBB40_141
; %bb.140:                              ;   in Loop: Header=BB40_5 Depth=1
	ds_read2_b32 v[3:4], v17 offset1:16
	s_waitcnt lgkmcnt(0)
	v_cmp_lt_f32_e32 vcc_lo, v3, v4
	v_cndmask_b32_e32 v1, v3, v4, vcc_lo
	ds_write_b32 v17, v1
.LBB40_141:                             ;   in Loop: Header=BB40_5 Depth=1
	s_or_b32 exec_lo, exec_lo, s10
	s_waitcnt lgkmcnt(0)
	s_barrier
	buffer_gl0_inv
	s_and_saveexec_b32 s10, s2
	s_cbranch_execz .LBB40_143
; %bb.142:                              ;   in Loop: Header=BB40_5 Depth=1
	ds_read2_b32 v[3:4], v17 offset1:8
	s_waitcnt lgkmcnt(0)
	v_cmp_lt_f32_e32 vcc_lo, v3, v4
	v_cndmask_b32_e32 v1, v3, v4, vcc_lo
	ds_write_b32 v17, v1
.LBB40_143:                             ;   in Loop: Header=BB40_5 Depth=1
	s_or_b32 exec_lo, exec_lo, s10
	s_waitcnt lgkmcnt(0)
	;; [unrolled: 13-line block ×4, first 2 shown]
	s_barrier
	buffer_gl0_inv
	s_and_saveexec_b32 s10, s7
	s_cbranch_execz .LBB40_149
; %bb.148:                              ;   in Loop: Header=BB40_5 Depth=1
	ds_read_b64 v[3:4], v2
	s_waitcnt lgkmcnt(0)
	v_cmp_lt_f32_e32 vcc_lo, v3, v4
	v_cndmask_b32_e32 v1, v3, v4, vcc_lo
	ds_write_b32 v2, v1
.LBB40_149:                             ;   in Loop: Header=BB40_5 Depth=1
	s_or_b32 exec_lo, exec_lo, s10
	s_waitcnt lgkmcnt(0)
	s_barrier
	buffer_gl0_inv
	ds_read_b32 v1, v2
	s_load_dword s10, s[54:55], 0x0
	s_waitcnt lgkmcnt(0)
	v_div_scale_f32 v3, null, s10, s10, v1
	v_rcp_f32_e32 v4, v3
	v_fma_f32 v5, -v3, v4, 1.0
	v_fmac_f32_e32 v4, v5, v4
	v_div_scale_f32 v5, vcc_lo, v1, s10, v1
	v_mul_f32_e32 v6, v5, v4
	v_fma_f32 v7, -v3, v6, v5
	v_fmac_f32_e32 v6, v7, v4
	v_fma_f32 v3, -v3, v6, v5
	v_div_fmas_f32 v3, v3, v4, v6
	v_div_fixup_f32 v18, v3, s10, v1
	s_and_saveexec_b32 s11, s8
	s_cbranch_execz .LBB40_161
.LBB40_150:                             ;   in Loop: Header=BB40_5 Depth=1
	v_mov_b32_e32 v3, v23
	s_mov_b32 s12, 0
	s_branch .LBB40_152
.LBB40_151:                             ;   in Loop: Header=BB40_152 Depth=2
	s_or_b32 exec_lo, exec_lo, s67
	v_add_nc_u32_e32 v3, 32, v3
	v_cmp_le_u32_e32 vcc_lo, s63, v3
	s_or_b32 s12, vcc_lo, s12
	s_andn2_b32 exec_lo, exec_lo, s12
	s_cbranch_execz .LBB40_161
.LBB40_152:                             ;   Parent Loop BB40_5 Depth=1
                                        ; =>  This Loop Header: Depth=2
                                        ;       Child Loop BB40_155 Depth 3
                                        ;       Child Loop BB40_158 Depth 3
	s_mov_b32 s67, exec_lo
	v_cmpx_gt_i32_e64 s15, v3
	s_cbranch_execz .LBB40_151
; %bb.153:                              ;   in Loop: Header=BB40_152 Depth=2
	v_ashrrev_i32_e32 v4, 31, v3
	s_mov_b32 s68, exec_lo
	v_lshlrev_b64 v[5:6], 2, v[3:4]
	v_add_co_u32 v7, vcc_lo, s24, v5
	v_add_co_ci_u32_e64 v8, null, s25, v6, vcc_lo
	v_add_co_u32 v9, vcc_lo, s26, v5
	v_add_co_ci_u32_e64 v10, null, s27, v6, vcc_lo
	global_load_dword v1, v[7:8], off
	global_load_dword v8, v[9:10], off
	s_waitcnt vmcnt(1)
	v_add_nc_u32_e32 v7, v26, v1
	s_waitcnt vmcnt(0)
	v_subrev_nc_u32_e32 v1, s61, v8
	v_cmpx_lt_i32_e64 v7, v1
	s_cbranch_execz .LBB40_156
; %bb.154:                              ;   in Loop: Header=BB40_152 Depth=2
	v_ashrrev_i32_e32 v8, 31, v7
	s_mov_b32 s69, 0
	v_lshlrev_b64 v[10:11], 3, v[7:8]
	v_add_co_u32 v8, vcc_lo, s52, v10
	v_add_co_ci_u32_e64 v9, null, s53, v11, vcc_lo
	v_add_co_u32 v10, vcc_lo, s30, v10
	v_add_co_ci_u32_e64 v11, null, s31, v11, vcc_lo
	.p2align	6
.LBB40_155:                             ;   Parent Loop BB40_5 Depth=1
                                        ;     Parent Loop BB40_152 Depth=2
                                        ; =>    This Inner Loop Header: Depth=3
	global_load_dwordx2 v[12:13], v[8:9], off
	v_add_nc_u32_e32 v7, 32, v7
	v_add_co_u32 v8, vcc_lo, 0x100, v8
	v_add_co_ci_u32_e64 v9, null, 0, v9, vcc_lo
	v_cmp_ge_i32_e32 vcc_lo, v7, v1
	s_or_b32 s69, vcc_lo, s69
	s_waitcnt vmcnt(0)
	global_store_dwordx2 v[10:11], v[12:13], off
	v_add_co_u32 v10, s10, 0x100, v10
	v_add_co_ci_u32_e64 v11, null, 0, v11, s10
	s_andn2_b32 exec_lo, exec_lo, s69
	s_cbranch_execnz .LBB40_155
.LBB40_156:                             ;   in Loop: Header=BB40_152 Depth=2
	s_or_b32 exec_lo, exec_lo, s68
	v_add_co_u32 v7, vcc_lo, s16, v5
	v_add_co_ci_u32_e64 v8, null, s17, v6, vcc_lo
	v_add_co_u32 v5, vcc_lo, s18, v5
	v_add_co_ci_u32_e64 v6, null, s19, v6, vcc_lo
	global_load_dword v1, v[7:8], off
	global_load_dword v6, v[5:6], off
	s_mov_b32 s68, exec_lo
	s_waitcnt vmcnt(1)
	v_add_nc_u32_e32 v5, v27, v1
	s_waitcnt vmcnt(0)
	v_subrev_nc_u32_e32 v1, s62, v6
	v_cmpx_lt_i32_e64 v5, v1
	s_cbranch_execz .LBB40_159
; %bb.157:                              ;   in Loop: Header=BB40_152 Depth=2
	v_ashrrev_i32_e32 v6, 31, v5
	s_mov_b32 s69, 0
	v_lshlrev_b64 v[8:9], 3, v[5:6]
	v_add_co_u32 v6, vcc_lo, s34, v8
	v_add_co_ci_u32_e64 v7, null, s35, v9, vcc_lo
	v_add_co_u32 v8, vcc_lo, s22, v8
	v_add_co_ci_u32_e64 v9, null, s23, v9, vcc_lo
	.p2align	6
.LBB40_158:                             ;   Parent Loop BB40_5 Depth=1
                                        ;     Parent Loop BB40_152 Depth=2
                                        ; =>    This Inner Loop Header: Depth=3
	global_load_dwordx2 v[10:11], v[6:7], off
	v_add_nc_u32_e32 v5, 32, v5
	v_add_co_u32 v6, vcc_lo, 0x100, v6
	v_add_co_ci_u32_e64 v7, null, 0, v7, vcc_lo
	v_cmp_ge_i32_e32 vcc_lo, v5, v1
	s_or_b32 s69, vcc_lo, s69
	s_waitcnt vmcnt(0)
	global_store_dwordx2 v[8:9], v[10:11], off
	v_add_co_u32 v8, s10, 0x100, v8
	v_add_co_ci_u32_e64 v9, null, 0, v9, s10
	s_andn2_b32 exec_lo, exec_lo, s69
	s_cbranch_execnz .LBB40_158
.LBB40_159:                             ;   in Loop: Header=BB40_152 Depth=2
	s_or_b32 exec_lo, exec_lo, s68
	s_and_b32 exec_lo, exec_lo, s9
	s_cbranch_execz .LBB40_151
; %bb.160:                              ;   in Loop: Header=BB40_152 Depth=2
	v_lshlrev_b64 v[4:5], 3, v[3:4]
	v_add_co_u32 v6, vcc_lo, s50, v4
	v_add_co_ci_u32_e64 v7, null, s51, v5, vcc_lo
	v_add_co_u32 v4, vcc_lo, s48, v4
	v_add_co_ci_u32_e64 v5, null, s49, v5, vcc_lo
	global_load_dwordx2 v[6:7], v[6:7], off
	s_waitcnt vmcnt(0)
	global_store_dwordx2 v[4:5], v[6:7], off
	s_branch .LBB40_151
.LBB40_161:                             ;   in Loop: Header=BB40_5 Depth=1
	s_or_b32 exec_lo, exec_lo, s11
	s_mov_b32 s11, -1
	s_and_b32 vcc_lo, exec_lo, s57
	s_mov_b32 s12, -1
	s_cbranch_vccz .LBB40_171
; %bb.162:                              ;   in Loop: Header=BB40_5 Depth=1
	s_and_b32 vcc_lo, exec_lo, s65
	s_mov_b32 s10, -1
                                        ; implicit-def: $sgpr12
	s_cbranch_vccz .LBB40_168
; %bb.163:                              ;   in Loop: Header=BB40_5 Depth=1
	s_and_b32 vcc_lo, exec_lo, s64
                                        ; implicit-def: $sgpr12
	s_cbranch_vccz .LBB40_165
; %bb.164:                              ;   in Loop: Header=BB40_5 Depth=1
	v_cmp_ge_f32_e64 s12, s14, v18
	s_mov_b32 s10, 0
.LBB40_165:                             ;   in Loop: Header=BB40_5 Depth=1
	s_andn2_b32 vcc_lo, exec_lo, s10
	s_cbranch_vccnz .LBB40_167
; %bb.166:                              ;   in Loop: Header=BB40_5 Depth=1
	v_cmp_ge_f32_e32 vcc_lo, s14, v22
	s_andn2_b32 s10, s12, exec_lo
	s_and_b32 s12, vcc_lo, exec_lo
	s_or_b32 s12, s10, s12
.LBB40_167:                             ;   in Loop: Header=BB40_5 Depth=1
	s_mov_b32 s10, 0
.LBB40_168:                             ;   in Loop: Header=BB40_5 Depth=1
	s_andn2_b32 vcc_lo, exec_lo, s10
	s_cbranch_vccnz .LBB40_170
; %bb.169:                              ;   in Loop: Header=BB40_5 Depth=1
	v_cmp_ge_f32_e32 vcc_lo, s14, v22
	v_cmp_ge_f32_e64 s10, s14, v18
	s_andn2_b32 s12, s12, exec_lo
	s_and_b32 s10, vcc_lo, s10
	s_and_b32 s10, s10, exec_lo
	s_or_b32 s12, s12, s10
.LBB40_170:                             ;   in Loop: Header=BB40_5 Depth=1
	s_xor_b32 s12, s12, -1
.LBB40_171:                             ;   in Loop: Header=BB40_5 Depth=1
	v_mov_b32_e32 v1, s66
	s_and_saveexec_b32 s10, s12
	s_cbranch_execz .LBB40_4
; %bb.172:                              ;   in Loop: Header=BB40_5 Depth=1
	s_add_i32 s66, s66, 1
	v_mov_b32_e32 v1, s13
	s_cmp_eq_u32 s66, s13
	s_cselect_b32 s11, -1, 0
	s_orn2_b32 s11, s11, exec_lo
	s_branch .LBB40_4
.LBB40_173:
	s_or_b32 exec_lo, exec_lo, s58
	s_or_b32 exec_lo, exec_lo, s59
	s_andn2_b32 vcc_lo, exec_lo, s57
	s_cbranch_vccnz .LBB40_2
.LBB40_174:
	v_xor_b32_e32 v2, 16, v21
	v_xor_b32_e32 v3, 8, v21
	s_mov_b32 s0, exec_lo
	v_cmp_gt_i32_e32 vcc_lo, 32, v2
	v_cndmask_b32_e32 v2, v21, v2, vcc_lo
	v_cmp_gt_i32_e32 vcc_lo, 32, v3
	v_lshlrev_b32_e32 v2, 2, v2
	v_cndmask_b32_e32 v3, v21, v3, vcc_lo
	ds_bpermute_b32 v2, v2, v1
	v_lshlrev_b32_e32 v3, 2, v3
	s_waitcnt lgkmcnt(0)
	v_max_i32_e32 v1, v1, v2
	ds_bpermute_b32 v2, v3, v1
	v_xor_b32_e32 v3, 4, v21
	v_cmp_gt_i32_e32 vcc_lo, 32, v3
	v_cndmask_b32_e32 v3, v21, v3, vcc_lo
	v_lshlrev_b32_e32 v3, 2, v3
	s_waitcnt lgkmcnt(0)
	v_max_i32_e32 v1, v1, v2
	ds_bpermute_b32 v2, v3, v1
	v_xor_b32_e32 v3, 2, v21
	v_cmp_gt_i32_e32 vcc_lo, 32, v3
	v_cndmask_b32_e32 v3, v21, v3, vcc_lo
	;; [unrolled: 7-line block ×3, first 2 shown]
	s_waitcnt lgkmcnt(0)
	v_max_i32_e32 v1, v1, v2
	v_lshlrev_b32_e32 v2, 2, v3
	ds_bpermute_b32 v2, v2, v1
	v_cmpx_eq_u32_e32 31, v20
	s_cbranch_execz .LBB40_176
; %bb.175:
	v_lshlrev_b32_e32 v3, 2, v19
	s_waitcnt lgkmcnt(0)
	v_max_i32_e32 v1, v1, v2
	ds_write_b32 v3, v1 offset:128
.LBB40_176:
	s_or_b32 exec_lo, exec_lo, s0
	s_mov_b32 s0, exec_lo
	s_waitcnt lgkmcnt(0)
	s_waitcnt_vscnt null, 0x0
	s_barrier
	buffer_gl0_inv
	v_cmpx_gt_u32_e32 16, v0
	s_cbranch_execz .LBB40_178
; %bb.177:
	ds_read2_b32 v[1:2], v17 offset0:32 offset1:48
	s_waitcnt lgkmcnt(0)
	v_max_i32_e32 v1, v1, v2
	ds_write_b32 v17, v1 offset:128
.LBB40_178:
	s_or_b32 exec_lo, exec_lo, s0
	s_mov_b32 s0, exec_lo
	s_waitcnt lgkmcnt(0)
	s_barrier
	buffer_gl0_inv
	v_cmpx_gt_u32_e32 8, v0
	s_cbranch_execz .LBB40_180
; %bb.179:
	ds_read2_b32 v[1:2], v17 offset0:32 offset1:40
	s_waitcnt lgkmcnt(0)
	v_max_i32_e32 v1, v1, v2
	ds_write_b32 v17, v1 offset:128
.LBB40_180:
	s_or_b32 exec_lo, exec_lo, s0
	s_mov_b32 s0, exec_lo
	s_waitcnt lgkmcnt(0)
	;; [unrolled: 13-line block ×3, first 2 shown]
	s_barrier
	buffer_gl0_inv
	v_cmpx_gt_u32_e32 2, v0
	s_cbranch_execz .LBB40_184
; %bb.183:
	ds_read2_b32 v[1:2], v17 offset0:32 offset1:34
	s_waitcnt lgkmcnt(0)
	v_max_i32_e32 v1, v1, v2
	ds_write_b32 v17, v1 offset:128
.LBB40_184:
	s_or_b32 exec_lo, exec_lo, s0
	v_cmp_eq_u32_e32 vcc_lo, 0, v0
	s_waitcnt lgkmcnt(0)
	s_barrier
	buffer_gl0_inv
	s_and_saveexec_b32 s0, vcc_lo
	s_cbranch_execz .LBB40_186
; %bb.185:
	v_mov_b32_e32 v3, 0
	ds_read_b64 v[1:2], v3 offset:128
	s_waitcnt lgkmcnt(0)
	v_max_i32_e32 v1, v1, v2
	ds_write_b32 v3, v1 offset:128
.LBB40_186:
	s_or_b32 exec_lo, exec_lo, s0
	s_waitcnt lgkmcnt(0)
	s_barrier
	buffer_gl0_inv
	s_and_saveexec_b32 s0, vcc_lo
	s_cbranch_execz .LBB40_189
; %bb.187:
	v_mbcnt_lo_u32_b32 v1, exec_lo, 0
	v_cmp_eq_u32_e32 vcc_lo, 0, v1
	s_and_b32 exec_lo, exec_lo, vcc_lo
	s_cbranch_execz .LBB40_189
; %bb.188:
	v_mov_b32_e32 v1, 0
	s_load_dwordx2 s[2:3], s[4:5], 0x8
	ds_read_b32 v2, v1 offset:128
	s_waitcnt lgkmcnt(0)
	v_add_nc_u32_e32 v2, 1, v2
	global_atomic_smax v1, v2, s[2:3]
.LBB40_189:
	s_or_b32 exec_lo, exec_lo, s0
	v_cmp_eq_u32_e32 vcc_lo, 0, v0
	s_and_b32 s0, vcc_lo, s56
	s_and_saveexec_b32 s1, s0
	s_cbranch_execz .LBB40_196
.LBB40_190:
	v_mov_b32_e32 v0, 0x7fc00000
	s_mov_b32 s0, exec_lo
.LBB40_191:                             ; =>This Inner Loop Header: Depth=1
	s_ff1_i32_b32 s2, s0
	v_max_f32_e32 v0, v0, v0
	v_readlane_b32 s3, v22, s2
	s_lshl_b32 s2, 1, s2
	s_andn2_b32 s0, s0, s2
	s_cmp_lg_u32 s0, 0
	v_max_f32_e64 v1, s3, s3
	v_max_f32_e32 v0, v0, v1
	s_cbranch_scc1 .LBB40_191
; %bb.192:
	v_mbcnt_lo_u32_b32 v1, exec_lo, 0
	s_mov_b32 s2, 0
	s_mov_b32 s3, exec_lo
	v_cmpx_eq_u32_e32 0, v1
	s_xor_b32 s3, exec_lo, s3
	s_cbranch_execz .LBB40_196
; %bb.193:
	v_mov_b32_e32 v2, 0
	v_max_f32_e32 v3, v0, v0
	global_load_dword v1, v2, s[44:45]
.LBB40_194:                             ; =>This Inner Loop Header: Depth=1
	s_waitcnt vmcnt(0)
	v_max_f32_e32 v0, v1, v1
	v_max_f32_e32 v0, v0, v3
	global_atomic_cmpswap v0, v2, v[0:1], s[44:45] glc
	s_waitcnt vmcnt(0)
	v_cmp_eq_u32_e64 s0, v0, v1
	v_mov_b32_e32 v1, v0
	s_or_b32 s2, s0, s2
	s_andn2_b32 exec_lo, exec_lo, s2
	s_cbranch_execnz .LBB40_194
; %bb.195:
	s_or_b32 exec_lo, exec_lo, s2
.LBB40_196:
	s_or_b32 exec_lo, exec_lo, s1
	s_and_b32 s0, vcc_lo, s33
	s_and_saveexec_b32 s1, s0
	s_cbranch_execz .LBB40_202
; %bb.197:
	v_mov_b32_e32 v0, 0x7fc00000
	s_mov_b32 s0, exec_lo
.LBB40_198:                             ; =>This Inner Loop Header: Depth=1
	s_ff1_i32_b32 s1, s0
	v_max_f32_e32 v0, v0, v0
	v_readlane_b32 s2, v18, s1
	s_lshl_b32 s1, 1, s1
	s_andn2_b32 s0, s0, s1
	s_cmp_lg_u32 s0, 0
	v_max_f32_e64 v1, s2, s2
	v_max_f32_e32 v0, v0, v1
	s_cbranch_scc1 .LBB40_198
; %bb.199:
	v_mbcnt_lo_u32_b32 v1, exec_lo, 0
	s_mov_b32 s0, 0
	s_mov_b32 s1, exec_lo
	v_cmpx_eq_u32_e32 0, v1
	s_xor_b32 s1, exec_lo, s1
	s_cbranch_execz .LBB40_202
; %bb.200:
	v_mov_b32_e32 v2, 0
	v_max_f32_e32 v3, v0, v0
	global_load_dword v1, v2, s[46:47]
.LBB40_201:                             ; =>This Inner Loop Header: Depth=1
	s_waitcnt vmcnt(0)
	v_max_f32_e32 v0, v1, v1
	v_max_f32_e32 v0, v0, v3
	global_atomic_cmpswap v0, v2, v[0:1], s[46:47] glc
	s_waitcnt vmcnt(0)
	v_cmp_eq_u32_e32 vcc_lo, v0, v1
	v_mov_b32_e32 v1, v0
	s_or_b32 s0, vcc_lo, s0
	s_andn2_b32 exec_lo, exec_lo, s0
	s_cbranch_execnz .LBB40_201
.LBB40_202:
	s_endpgm
	.section	.rodata,"a",@progbits
	.p2align	6, 0x0
	.amdhsa_kernel _ZN9rocsparseL6kernelILi1024ELi32E21rocsparse_complex_numIfEiiEEvbbbT3_PS3_NS_15floating_traitsIT1_E6data_tES3_T2_PKS9_SB_PKS3_PKS6_21rocsparse_index_base_SB_SB_SD_PS6_SH_SG_SB_SB_SD_SH_SH_SG_SH_SH_PS8_SI_PKS8_
		.amdhsa_group_segment_fixed_size 256
		.amdhsa_private_segment_fixed_size 0
		.amdhsa_kernarg_size 208
		.amdhsa_user_sgpr_count 6
		.amdhsa_user_sgpr_private_segment_buffer 1
		.amdhsa_user_sgpr_dispatch_ptr 0
		.amdhsa_user_sgpr_queue_ptr 0
		.amdhsa_user_sgpr_kernarg_segment_ptr 1
		.amdhsa_user_sgpr_dispatch_id 0
		.amdhsa_user_sgpr_flat_scratch_init 0
		.amdhsa_user_sgpr_private_segment_size 0
		.amdhsa_wavefront_size32 1
		.amdhsa_uses_dynamic_stack 0
		.amdhsa_system_sgpr_private_segment_wavefront_offset 0
		.amdhsa_system_sgpr_workgroup_id_x 1
		.amdhsa_system_sgpr_workgroup_id_y 0
		.amdhsa_system_sgpr_workgroup_id_z 0
		.amdhsa_system_sgpr_workgroup_info 0
		.amdhsa_system_vgpr_workitem_id 0
		.amdhsa_next_free_vgpr 43
		.amdhsa_next_free_sgpr 80
		.amdhsa_reserve_vcc 1
		.amdhsa_reserve_flat_scratch 0
		.amdhsa_float_round_mode_32 0
		.amdhsa_float_round_mode_16_64 0
		.amdhsa_float_denorm_mode_32 3
		.amdhsa_float_denorm_mode_16_64 3
		.amdhsa_dx10_clamp 1
		.amdhsa_ieee_mode 1
		.amdhsa_fp16_overflow 0
		.amdhsa_workgroup_processor_mode 1
		.amdhsa_memory_ordered 1
		.amdhsa_forward_progress 1
		.amdhsa_shared_vgpr_count 0
		.amdhsa_exception_fp_ieee_invalid_op 0
		.amdhsa_exception_fp_denorm_src 0
		.amdhsa_exception_fp_ieee_div_zero 0
		.amdhsa_exception_fp_ieee_overflow 0
		.amdhsa_exception_fp_ieee_underflow 0
		.amdhsa_exception_fp_ieee_inexact 0
		.amdhsa_exception_int_div_zero 0
	.end_amdhsa_kernel
	.section	.text._ZN9rocsparseL6kernelILi1024ELi32E21rocsparse_complex_numIfEiiEEvbbbT3_PS3_NS_15floating_traitsIT1_E6data_tES3_T2_PKS9_SB_PKS3_PKS6_21rocsparse_index_base_SB_SB_SD_PS6_SH_SG_SB_SB_SD_SH_SH_SG_SH_SH_PS8_SI_PKS8_,"axG",@progbits,_ZN9rocsparseL6kernelILi1024ELi32E21rocsparse_complex_numIfEiiEEvbbbT3_PS3_NS_15floating_traitsIT1_E6data_tES3_T2_PKS9_SB_PKS3_PKS6_21rocsparse_index_base_SB_SB_SD_PS6_SH_SG_SB_SB_SD_SH_SH_SG_SH_SH_PS8_SI_PKS8_,comdat
.Lfunc_end40:
	.size	_ZN9rocsparseL6kernelILi1024ELi32E21rocsparse_complex_numIfEiiEEvbbbT3_PS3_NS_15floating_traitsIT1_E6data_tES3_T2_PKS9_SB_PKS3_PKS6_21rocsparse_index_base_SB_SB_SD_PS6_SH_SG_SB_SB_SD_SH_SH_SG_SH_SH_PS8_SI_PKS8_, .Lfunc_end40-_ZN9rocsparseL6kernelILi1024ELi32E21rocsparse_complex_numIfEiiEEvbbbT3_PS3_NS_15floating_traitsIT1_E6data_tES3_T2_PKS9_SB_PKS3_PKS6_21rocsparse_index_base_SB_SB_SD_PS6_SH_SG_SB_SB_SD_SH_SH_SG_SH_SH_PS8_SI_PKS8_
                                        ; -- End function
	.set _ZN9rocsparseL6kernelILi1024ELi32E21rocsparse_complex_numIfEiiEEvbbbT3_PS3_NS_15floating_traitsIT1_E6data_tES3_T2_PKS9_SB_PKS3_PKS6_21rocsparse_index_base_SB_SB_SD_PS6_SH_SG_SB_SB_SD_SH_SH_SG_SH_SH_PS8_SI_PKS8_.num_vgpr, 43
	.set _ZN9rocsparseL6kernelILi1024ELi32E21rocsparse_complex_numIfEiiEEvbbbT3_PS3_NS_15floating_traitsIT1_E6data_tES3_T2_PKS9_SB_PKS3_PKS6_21rocsparse_index_base_SB_SB_SD_PS6_SH_SG_SB_SB_SD_SH_SH_SG_SH_SH_PS8_SI_PKS8_.num_agpr, 0
	.set _ZN9rocsparseL6kernelILi1024ELi32E21rocsparse_complex_numIfEiiEEvbbbT3_PS3_NS_15floating_traitsIT1_E6data_tES3_T2_PKS9_SB_PKS3_PKS6_21rocsparse_index_base_SB_SB_SD_PS6_SH_SG_SB_SB_SD_SH_SH_SG_SH_SH_PS8_SI_PKS8_.numbered_sgpr, 80
	.set _ZN9rocsparseL6kernelILi1024ELi32E21rocsparse_complex_numIfEiiEEvbbbT3_PS3_NS_15floating_traitsIT1_E6data_tES3_T2_PKS9_SB_PKS3_PKS6_21rocsparse_index_base_SB_SB_SD_PS6_SH_SG_SB_SB_SD_SH_SH_SG_SH_SH_PS8_SI_PKS8_.num_named_barrier, 0
	.set _ZN9rocsparseL6kernelILi1024ELi32E21rocsparse_complex_numIfEiiEEvbbbT3_PS3_NS_15floating_traitsIT1_E6data_tES3_T2_PKS9_SB_PKS3_PKS6_21rocsparse_index_base_SB_SB_SD_PS6_SH_SG_SB_SB_SD_SH_SH_SG_SH_SH_PS8_SI_PKS8_.private_seg_size, 0
	.set _ZN9rocsparseL6kernelILi1024ELi32E21rocsparse_complex_numIfEiiEEvbbbT3_PS3_NS_15floating_traitsIT1_E6data_tES3_T2_PKS9_SB_PKS3_PKS6_21rocsparse_index_base_SB_SB_SD_PS6_SH_SG_SB_SB_SD_SH_SH_SG_SH_SH_PS8_SI_PKS8_.uses_vcc, 1
	.set _ZN9rocsparseL6kernelILi1024ELi32E21rocsparse_complex_numIfEiiEEvbbbT3_PS3_NS_15floating_traitsIT1_E6data_tES3_T2_PKS9_SB_PKS3_PKS6_21rocsparse_index_base_SB_SB_SD_PS6_SH_SG_SB_SB_SD_SH_SH_SG_SH_SH_PS8_SI_PKS8_.uses_flat_scratch, 0
	.set _ZN9rocsparseL6kernelILi1024ELi32E21rocsparse_complex_numIfEiiEEvbbbT3_PS3_NS_15floating_traitsIT1_E6data_tES3_T2_PKS9_SB_PKS3_PKS6_21rocsparse_index_base_SB_SB_SD_PS6_SH_SG_SB_SB_SD_SH_SH_SG_SH_SH_PS8_SI_PKS8_.has_dyn_sized_stack, 0
	.set _ZN9rocsparseL6kernelILi1024ELi32E21rocsparse_complex_numIfEiiEEvbbbT3_PS3_NS_15floating_traitsIT1_E6data_tES3_T2_PKS9_SB_PKS3_PKS6_21rocsparse_index_base_SB_SB_SD_PS6_SH_SG_SB_SB_SD_SH_SH_SG_SH_SH_PS8_SI_PKS8_.has_recursion, 0
	.set _ZN9rocsparseL6kernelILi1024ELi32E21rocsparse_complex_numIfEiiEEvbbbT3_PS3_NS_15floating_traitsIT1_E6data_tES3_T2_PKS9_SB_PKS3_PKS6_21rocsparse_index_base_SB_SB_SD_PS6_SH_SG_SB_SB_SD_SH_SH_SG_SH_SH_PS8_SI_PKS8_.has_indirect_call, 0
	.section	.AMDGPU.csdata,"",@progbits
; Kernel info:
; codeLenInByte = 8900
; TotalNumSgprs: 82
; NumVgprs: 43
; ScratchSize: 0
; MemoryBound: 0
; FloatMode: 240
; IeeeMode: 1
; LDSByteSize: 256 bytes/workgroup (compile time only)
; SGPRBlocks: 0
; VGPRBlocks: 5
; NumSGPRsForWavesPerEU: 82
; NumVGPRsForWavesPerEU: 43
; Occupancy: 16
; WaveLimiterHint : 1
; COMPUTE_PGM_RSRC2:SCRATCH_EN: 0
; COMPUTE_PGM_RSRC2:USER_SGPR: 6
; COMPUTE_PGM_RSRC2:TRAP_HANDLER: 0
; COMPUTE_PGM_RSRC2:TGID_X_EN: 1
; COMPUTE_PGM_RSRC2:TGID_Y_EN: 0
; COMPUTE_PGM_RSRC2:TGID_Z_EN: 0
; COMPUTE_PGM_RSRC2:TIDIG_COMP_CNT: 0
	.section	.text._ZN9rocsparseL6kernelILi1024ELi64E21rocsparse_complex_numIfEiiEEvbbbT3_PS3_NS_15floating_traitsIT1_E6data_tES3_T2_PKS9_SB_PKS3_PKS6_21rocsparse_index_base_SB_SB_SD_PS6_SH_SG_SB_SB_SD_SH_SH_SG_SH_SH_PS8_SI_PKS8_,"axG",@progbits,_ZN9rocsparseL6kernelILi1024ELi64E21rocsparse_complex_numIfEiiEEvbbbT3_PS3_NS_15floating_traitsIT1_E6data_tES3_T2_PKS9_SB_PKS3_PKS6_21rocsparse_index_base_SB_SB_SD_PS6_SH_SG_SB_SB_SD_SH_SH_SG_SH_SH_PS8_SI_PKS8_,comdat
	.globl	_ZN9rocsparseL6kernelILi1024ELi64E21rocsparse_complex_numIfEiiEEvbbbT3_PS3_NS_15floating_traitsIT1_E6data_tES3_T2_PKS9_SB_PKS3_PKS6_21rocsparse_index_base_SB_SB_SD_PS6_SH_SG_SB_SB_SD_SH_SH_SG_SH_SH_PS8_SI_PKS8_ ; -- Begin function _ZN9rocsparseL6kernelILi1024ELi64E21rocsparse_complex_numIfEiiEEvbbbT3_PS3_NS_15floating_traitsIT1_E6data_tES3_T2_PKS9_SB_PKS3_PKS6_21rocsparse_index_base_SB_SB_SD_PS6_SH_SG_SB_SB_SD_SH_SH_SG_SH_SH_PS8_SI_PKS8_
	.p2align	8
	.type	_ZN9rocsparseL6kernelILi1024ELi64E21rocsparse_complex_numIfEiiEEvbbbT3_PS3_NS_15floating_traitsIT1_E6data_tES3_T2_PKS9_SB_PKS3_PKS6_21rocsparse_index_base_SB_SB_SD_PS6_SH_SG_SB_SB_SD_SH_SH_SG_SH_SH_PS8_SI_PKS8_,@function
_ZN9rocsparseL6kernelILi1024ELi64E21rocsparse_complex_numIfEiiEEvbbbT3_PS3_NS_15floating_traitsIT1_E6data_tES3_T2_PKS9_SB_PKS3_PKS6_21rocsparse_index_base_SB_SB_SD_PS6_SH_SG_SB_SB_SD_SH_SH_SG_SH_SH_PS8_SI_PKS8_: ; @_ZN9rocsparseL6kernelILi1024ELi64E21rocsparse_complex_numIfEiiEEvbbbT3_PS3_NS_15floating_traitsIT1_E6data_tES3_T2_PKS9_SB_PKS3_PKS6_21rocsparse_index_base_SB_SB_SD_PS6_SH_SG_SB_SB_SD_SH_SH_SG_SH_SH_PS8_SI_PKS8_
; %bb.0:
	s_clause 0x3
	s_load_dword s0, s[4:5], 0x0
	s_load_dwordx2 s[34:35], s[4:5], 0x0
	s_load_dwordx2 s[48:49], s[4:5], 0x10
	s_load_dwordx4 s[28:31], s[4:5], 0xb8
	v_lshrrev_b32_e32 v19, 6, v0
	v_mov_b32_e32 v1, 0
	v_lshlrev_b32_e32 v17, 2, v0
	v_and_b32_e32 v20, 63, v0
	v_mbcnt_lo_u32_b32 v21, -1, 0
	v_mov_b32_e32 v22, 0
	v_mov_b32_e32 v18, 0
	ds_write_b32 v17, v1
	s_waitcnt lgkmcnt(0)
	s_barrier
	buffer_gl0_inv
	s_bitcmp1_b32 s0, 0
	s_cselect_b32 s57, -1, 0
	s_bitcmp1_b32 s0, 8
	s_cselect_b32 s56, -1, 0
	s_bitcmp1_b32 s34, 16
	s_mov_b32 s34, 0
	s_cselect_b32 s33, -1, 0
	s_lshl_b32 s62, s6, 10
	s_cmp_gt_i32 s35, 0
	v_or_b32_e32 v23, s62, v19
	s_cselect_b32 s0, -1, 0
	v_cmp_gt_i32_e32 vcc_lo, s49, v23
	s_and_b32 s0, s0, vcc_lo
	s_and_saveexec_b32 s58, s0
	s_cbranch_execnz .LBB41_3
; %bb.1:
	s_or_b32 exec_lo, exec_lo, s58
	s_andn2_b32 vcc_lo, exec_lo, s57
	s_cbranch_vccz .LBB41_170
.LBB41_2:
	v_cmp_eq_u32_e32 vcc_lo, 0, v0
	s_and_b32 s0, vcc_lo, s56
	s_and_saveexec_b32 s1, s0
	s_cbranch_execnz .LBB41_184
	s_branch .LBB41_190
.LBB41_3:
	s_clause 0x9
	s_load_dword s59, s[4:5], 0x40
	s_load_dword s60, s[4:5], 0x70
	;; [unrolled: 1-line block ×3, first 2 shown]
	s_load_dwordx2 s[50:51], s[4:5], 0x98
	s_load_dwordx2 s[52:53], s[4:5], 0x68
	;; [unrolled: 1-line block ×3, first 2 shown]
	s_load_dwordx4 s[44:47], s[4:5], 0xa8
	s_load_dwordx8 s[12:19], s[4:5], 0x78
	s_load_dwordx8 s[20:27], s[4:5], 0x48
	;; [unrolled: 1-line block ×3, first 2 shown]
	s_addk_i32 s62, 0x400
	v_cmp_eq_u32_e64 s0, 63, v20
	v_lshlrev_b32_e32 v24, 2, v19
	v_cmp_gt_u32_e64 s1, 8, v0
	v_cmp_gt_u32_e64 s2, 4, v0
	v_cmp_gt_u32_e64 s3, 2, v0
	v_cmp_eq_u32_e64 s6, 0, v0
	v_cmp_gt_u32_e64 s7, s62, v23
	v_cmp_eq_u32_e64 s8, 0, v20
	v_mov_b32_e32 v2, 0
	s_waitcnt lgkmcnt(0)
	v_subrev_nc_u32_e32 v25, s59, v20
	v_subrev_nc_u32_e32 v26, s60, v20
	;; [unrolled: 1-line block ×3, first 2 shown]
	v_mov_b32_e32 v18, 0
	v_mov_b32_e32 v22, 0
	s_and_b32 s9, s56, s33
	s_xor_b32 s63, s56, -1
	s_xor_b32 s64, s9, -1
	s_mov_b32 s65, 0
	s_branch .LBB41_5
.LBB41_4:                               ;   in Loop: Header=BB41_5 Depth=1
	s_or_b32 exec_lo, exec_lo, s9
	s_and_b32 s9, exec_lo, s10
	s_or_b32 s34, s9, s34
	s_andn2_b32 exec_lo, exec_lo, s34
	s_cbranch_execz .LBB41_169
.LBB41_5:                               ; =>This Loop Header: Depth=1
                                        ;     Child Loop BB41_9 Depth 2
                                        ;       Child Loop BB41_14 Depth 3
                                        ;         Child Loop BB41_18 Depth 4
                                        ;         Child Loop BB41_53 Depth 4
	;; [unrolled: 1-line block ×5, first 2 shown]
                                        ;     Child Loop BB41_148 Depth 2
                                        ;       Child Loop BB41_151 Depth 3
                                        ;       Child Loop BB41_154 Depth 3
	v_cndmask_b32_e64 v22, v22, 0, s56
	v_cndmask_b32_e64 v18, v18, 0, s33
	s_mov_b32 s66, 0
	s_branch .LBB41_9
.LBB41_6:                               ;   in Loop: Header=BB41_9 Depth=2
	s_or_b32 exec_lo, exec_lo, s69
.LBB41_7:                               ;   in Loop: Header=BB41_9 Depth=2
	s_or_b32 exec_lo, exec_lo, s68
.LBB41_8:                               ;   in Loop: Header=BB41_9 Depth=2
	s_or_b32 exec_lo, exec_lo, s67
	s_add_i32 s66, s66, 1
	s_cmp_eq_u32 s66, 64
	s_cbranch_scc1 .LBB41_121
.LBB41_9:                               ;   Parent Loop BB41_5 Depth=1
                                        ; =>  This Loop Header: Depth=2
                                        ;       Child Loop BB41_14 Depth 3
                                        ;         Child Loop BB41_18 Depth 4
                                        ;         Child Loop BB41_53 Depth 4
	;; [unrolled: 1-line block ×5, first 2 shown]
	v_lshl_add_u32 v3, s66, 4, v23
	s_mov_b32 s67, exec_lo
	v_cmpx_gt_i32_e64 s49, v3
	s_cbranch_execz .LBB41_8
; %bb.10:                               ;   in Loop: Header=BB41_9 Depth=2
	v_ashrrev_i32_e32 v4, 31, v3
	s_mov_b32 s68, exec_lo
	v_lshlrev_b64 v[5:6], 2, v[3:4]
	v_add_co_u32 v7, vcc_lo, s36, v5
	v_add_co_ci_u32_e64 v8, null, s37, v6, vcc_lo
	v_add_co_u32 v9, vcc_lo, s38, v5
	v_add_co_ci_u32_e64 v10, null, s39, v6, vcc_lo
	global_load_dword v1, v[7:8], off
	global_load_dword v7, v[9:10], off
	s_waitcnt vmcnt(1)
	v_add_nc_u32_e32 v4, v25, v1
	s_waitcnt vmcnt(0)
	v_subrev_nc_u32_e32 v28, s59, v7
	v_cmpx_lt_i32_e64 v4, v28
	s_cbranch_execz .LBB41_7
; %bb.11:                               ;   in Loop: Header=BB41_9 Depth=2
	v_add_co_u32 v7, vcc_lo, s20, v5
	v_add_co_ci_u32_e64 v8, null, s21, v6, vcc_lo
	v_add_co_u32 v5, vcc_lo, s22, v5
	v_add_co_ci_u32_e64 v6, null, s23, v6, vcc_lo
	global_load_dword v1, v[7:8], off
	s_mov_b32 s69, 0
	global_load_dword v5, v[5:6], off
	s_waitcnt vmcnt(1)
	v_subrev_nc_u32_e32 v6, s60, v1
	s_waitcnt vmcnt(0)
	v_sub_nc_u32_e32 v29, v5, v1
	v_ashrrev_i32_e32 v7, 31, v6
	v_cmp_lt_i32_e64 s9, 0, v29
	v_lshlrev_b64 v[8:9], 2, v[6:7]
	v_lshlrev_b64 v[10:11], 3, v[6:7]
	v_add_co_u32 v30, vcc_lo, s24, v8
	v_add_co_ci_u32_e64 v31, null, s25, v9, vcc_lo
	v_add_co_u32 v32, vcc_lo, s26, v10
	v_add_co_ci_u32_e64 v33, null, s27, v11, vcc_lo
	s_branch .LBB41_14
.LBB41_12:                              ;   in Loop: Header=BB41_14 Depth=3
	s_or_b32 exec_lo, exec_lo, s10
.LBB41_13:                              ;   in Loop: Header=BB41_14 Depth=3
	s_or_b32 exec_lo, exec_lo, s11
	v_add_nc_u32_e32 v4, 64, v4
	v_cmp_ge_i32_e32 vcc_lo, v4, v28
	s_or_b32 s69, vcc_lo, s69
	s_andn2_b32 exec_lo, exec_lo, s69
	s_cbranch_execz .LBB41_6
.LBB41_14:                              ;   Parent Loop BB41_5 Depth=1
                                        ;     Parent Loop BB41_9 Depth=2
                                        ; =>    This Loop Header: Depth=3
                                        ;         Child Loop BB41_18 Depth 4
                                        ;         Child Loop BB41_53 Depth 4
	;; [unrolled: 1-line block ×5, first 2 shown]
	v_ashrrev_i32_e32 v5, 31, v4
	v_mov_b32_e32 v34, 0
	v_mov_b32_e32 v35, 0
	v_lshlrev_b64 v[7:8], 2, v[4:5]
	v_add_co_u32 v7, vcc_lo, s40, v7
	v_add_co_ci_u32_e64 v8, null, s41, v8, vcc_lo
	global_load_dword v1, v[7:8], off
	s_waitcnt vmcnt(0)
	v_subrev_nc_u32_e32 v7, s59, v1
	v_mov_b32_e32 v1, 0
	v_ashrrev_i32_e32 v8, 31, v7
	v_lshlrev_b64 v[9:10], 2, v[7:8]
	v_add_co_u32 v11, vcc_lo, s12, v9
	v_add_co_ci_u32_e64 v12, null, s13, v10, vcc_lo
	v_add_co_u32 v9, vcc_lo, s14, v9
	v_add_co_ci_u32_e64 v10, null, s15, v10, vcc_lo
	global_load_dword v12, v[11:12], off
	global_load_dword v9, v[9:10], off
	s_waitcnt vmcnt(1)
	v_subrev_nc_u32_e32 v11, s61, v12
	s_waitcnt vmcnt(0)
	v_sub_nc_u32_e32 v36, v9, v12
	v_mov_b32_e32 v12, v1
	s_and_saveexec_b32 s11, s9
	s_cbranch_execz .LBB41_22
; %bb.15:                               ;   in Loop: Header=BB41_14 Depth=3
	v_ashrrev_i32_e32 v12, 31, v11
	v_mov_b32_e32 v34, 0
	v_mov_b32_e32 v1, 0
	;; [unrolled: 1-line block ×3, first 2 shown]
	s_mov_b32 s70, 0
	v_lshlrev_b64 v[9:10], 2, v[11:12]
	v_lshlrev_b64 v[12:13], 3, v[11:12]
                                        ; implicit-def: $sgpr71
	v_add_co_u32 v9, vcc_lo, s16, v9
	v_add_co_ci_u32_e64 v10, null, s17, v10, vcc_lo
	v_add_co_u32 v14, vcc_lo, s18, v12
	v_add_co_ci_u32_e64 v15, null, s19, v13, vcc_lo
	v_mov_b32_e32 v12, 0
	s_branch .LBB41_18
.LBB41_16:                              ;   in Loop: Header=BB41_18 Depth=4
	s_or_b32 exec_lo, exec_lo, s10
	v_cmp_le_i32_e32 vcc_lo, v16, v37
	v_cmp_ge_i32_e64 s10, v16, v37
	v_add_co_ci_u32_e64 v1, null, 0, v1, vcc_lo
	v_add_co_ci_u32_e64 v12, null, 0, v12, s10
	s_andn2_b32 s10, s71, exec_lo
	v_cmp_ge_i32_e32 vcc_lo, v1, v29
	s_and_b32 s71, vcc_lo, exec_lo
	s_or_b32 s71, s10, s71
.LBB41_17:                              ;   in Loop: Header=BB41_18 Depth=4
	s_or_b32 exec_lo, exec_lo, s72
	s_and_b32 s10, exec_lo, s71
	s_or_b32 s70, s10, s70
	s_andn2_b32 exec_lo, exec_lo, s70
	s_cbranch_execz .LBB41_21
.LBB41_18:                              ;   Parent Loop BB41_5 Depth=1
                                        ;     Parent Loop BB41_9 Depth=2
                                        ;       Parent Loop BB41_14 Depth=3
                                        ; =>      This Inner Loop Header: Depth=4
	s_or_b32 s71, s71, exec_lo
	s_mov_b32 s72, exec_lo
	v_cmpx_lt_i32_e64 v12, v36
	s_cbranch_execz .LBB41_17
; %bb.19:                               ;   in Loop: Header=BB41_18 Depth=4
	v_mov_b32_e32 v13, v2
	v_lshlrev_b64 v[37:38], 2, v[1:2]
	s_mov_b32 s10, exec_lo
	v_lshlrev_b64 v[39:40], 2, v[12:13]
	v_add_co_u32 v37, vcc_lo, v30, v37
	v_add_co_ci_u32_e64 v38, null, v31, v38, vcc_lo
	v_add_co_u32 v39, vcc_lo, v9, v39
	v_add_co_ci_u32_e64 v40, null, v10, v40, vcc_lo
	global_load_dword v16, v[37:38], off
	global_load_dword v37, v[39:40], off
	s_waitcnt vmcnt(1)
	v_subrev_nc_u32_e32 v16, s60, v16
	s_waitcnt vmcnt(0)
	v_subrev_nc_u32_e32 v37, s61, v37
	v_cmpx_eq_u32_e64 v16, v37
	s_cbranch_execz .LBB41_16
; %bb.20:                               ;   in Loop: Header=BB41_18 Depth=4
	v_lshlrev_b64 v[38:39], 3, v[1:2]
	v_lshlrev_b64 v[40:41], 3, v[12:13]
	v_add_co_u32 v38, vcc_lo, v32, v38
	v_add_co_ci_u32_e64 v39, null, v33, v39, vcc_lo
	v_add_co_u32 v40, vcc_lo, v14, v40
	v_add_co_ci_u32_e64 v41, null, v15, v41, vcc_lo
	global_load_dwordx2 v[38:39], v[38:39], off
	global_load_dwordx2 v[40:41], v[40:41], off
	s_waitcnt vmcnt(0)
	v_fmac_f32_e32 v34, v38, v40
	v_fmac_f32_e32 v35, v39, v40
	v_fma_f32 v34, -v39, v41, v34
	v_fmac_f32_e32 v35, v38, v41
	s_branch .LBB41_16
.LBB41_21:                              ;   in Loop: Header=BB41_14 Depth=3
	s_or_b32 exec_lo, exec_lo, s70
.LBB41_22:                              ;   in Loop: Header=BB41_14 Depth=3
	s_or_b32 exec_lo, exec_lo, s11
	v_lshlrev_b64 v[9:10], 3, v[4:5]
	v_cmp_le_i32_e64 s10, v3, v7
	s_mov_b32 s70, exec_lo
	v_add_co_u32 v9, vcc_lo, s42, v9
	v_add_co_ci_u32_e64 v10, null, s43, v10, vcc_lo
	global_load_dwordx2 v[9:10], v[9:10], off
	s_waitcnt vmcnt(0)
	v_sub_f32_e32 v13, v9, v34
	v_sub_f32_e32 v14, v10, v35
	v_cmpx_gt_i32_e64 v3, v7
	s_cbranch_execz .LBB41_32
; %bb.23:                               ;   in Loop: Header=BB41_14 Depth=3
	v_lshlrev_b64 v[15:16], 3, v[7:8]
                                        ; implicit-def: $vgpr38
	s_mov_b32 s11, exec_lo
	v_add_co_u32 v15, vcc_lo, s44, v15
	v_add_co_ci_u32_e64 v16, null, s45, v16, vcc_lo
	global_load_dwordx2 v[15:16], v[15:16], off
	s_waitcnt vmcnt(0)
	v_cmp_gt_f32_e32 vcc_lo, 0, v15
	v_cndmask_b32_e64 v5, v15, -v15, vcc_lo
	v_cmp_gt_f32_e32 vcc_lo, 0, v16
	v_cndmask_b32_e64 v37, v16, -v16, vcc_lo
	v_cmpx_ngt_f32_e32 v5, v37
	s_xor_b32 s71, exec_lo, s11
	s_cbranch_execz .LBB41_27
; %bb.24:                               ;   in Loop: Header=BB41_14 Depth=3
	v_mov_b32_e32 v38, 0
	s_mov_b32 s72, exec_lo
	v_cmpx_neq_f32_e32 0, v16
	s_cbranch_execz .LBB41_26
; %bb.25:                               ;   in Loop: Header=BB41_14 Depth=3
	v_div_scale_f32 v38, null, v37, v37, v5
	v_div_scale_f32 v41, vcc_lo, v5, v37, v5
	v_rcp_f32_e32 v39, v38
	v_fma_f32 v40, -v38, v39, 1.0
	v_fmac_f32_e32 v39, v40, v39
	v_mul_f32_e32 v40, v41, v39
	v_fma_f32 v42, -v38, v40, v41
	v_fmac_f32_e32 v40, v42, v39
	v_fma_f32 v38, -v38, v40, v41
	v_div_fmas_f32 v38, v38, v39, v40
	v_div_fixup_f32 v5, v38, v37, v5
	v_fma_f32 v5, v5, v5, 1.0
	v_mul_f32_e32 v38, 0x4f800000, v5
	v_cmp_gt_f32_e32 vcc_lo, 0xf800000, v5
	v_cndmask_b32_e32 v5, v5, v38, vcc_lo
	v_sqrt_f32_e32 v38, v5
	v_add_nc_u32_e32 v39, -1, v38
	v_add_nc_u32_e32 v40, 1, v38
	v_fma_f32 v41, -v39, v38, v5
	v_fma_f32 v42, -v40, v38, v5
	v_cmp_ge_f32_e64 s11, 0, v41
	v_cndmask_b32_e64 v38, v38, v39, s11
	v_cmp_lt_f32_e64 s11, 0, v42
	v_cndmask_b32_e64 v38, v38, v40, s11
	v_mul_f32_e32 v39, 0x37800000, v38
	v_cndmask_b32_e32 v38, v38, v39, vcc_lo
	v_cmp_class_f32_e64 vcc_lo, v5, 0x260
	v_cndmask_b32_e32 v5, v38, v5, vcc_lo
	v_mul_f32_e32 v38, v37, v5
.LBB41_26:                              ;   in Loop: Header=BB41_14 Depth=3
	s_or_b32 exec_lo, exec_lo, s72
                                        ; implicit-def: $vgpr5
                                        ; implicit-def: $vgpr37
.LBB41_27:                              ;   in Loop: Header=BB41_14 Depth=3
	s_andn2_saveexec_b32 s71, s71
	s_cbranch_execz .LBB41_29
; %bb.28:                               ;   in Loop: Header=BB41_14 Depth=3
	v_div_scale_f32 v38, null, v5, v5, v37
	v_div_scale_f32 v41, vcc_lo, v37, v5, v37
	v_rcp_f32_e32 v39, v38
	v_fma_f32 v40, -v38, v39, 1.0
	v_fmac_f32_e32 v39, v40, v39
	v_mul_f32_e32 v40, v41, v39
	v_fma_f32 v42, -v38, v40, v41
	v_fmac_f32_e32 v40, v42, v39
	v_fma_f32 v38, -v38, v40, v41
	v_div_fmas_f32 v38, v38, v39, v40
	v_div_fixup_f32 v37, v38, v5, v37
	v_fma_f32 v37, v37, v37, 1.0
	v_mul_f32_e32 v38, 0x4f800000, v37
	v_cmp_gt_f32_e32 vcc_lo, 0xf800000, v37
	v_cndmask_b32_e32 v37, v37, v38, vcc_lo
	v_sqrt_f32_e32 v38, v37
	v_add_nc_u32_e32 v39, -1, v38
	v_add_nc_u32_e32 v40, 1, v38
	v_fma_f32 v41, -v39, v38, v37
	v_fma_f32 v42, -v40, v38, v37
	v_cmp_ge_f32_e64 s11, 0, v41
	v_cndmask_b32_e64 v38, v38, v39, s11
	v_cmp_lt_f32_e64 s11, 0, v42
	v_cndmask_b32_e64 v38, v38, v40, s11
	v_mul_f32_e32 v39, 0x37800000, v38
	v_cndmask_b32_e32 v38, v38, v39, vcc_lo
	v_cmp_class_f32_e64 vcc_lo, v37, 0x260
	v_cndmask_b32_e32 v37, v38, v37, vcc_lo
	v_mul_f32_e32 v38, v5, v37
.LBB41_29:                              ;   in Loop: Header=BB41_14 Depth=3
	s_or_b32 exec_lo, exec_lo, s71
	v_mov_b32_e32 v5, 0
	v_mov_b32_e32 v37, 0
	s_mov_b32 s11, exec_lo
	v_cmpx_lt_f32_e32 0, v38
	s_cbranch_execz .LBB41_31
; %bb.30:                               ;   in Loop: Header=BB41_14 Depth=3
	v_mul_f32_e32 v5, v16, v16
	v_fmac_f32_e32 v5, v15, v15
	v_div_scale_f32 v37, null, v5, v5, 1.0
	v_div_scale_f32 v40, vcc_lo, 1.0, v5, 1.0
	v_rcp_f32_e32 v38, v37
	v_fma_f32 v39, -v37, v38, 1.0
	v_fmac_f32_e32 v38, v39, v38
	v_mul_f32_e32 v39, v40, v38
	v_fma_f32 v41, -v37, v39, v40
	v_fmac_f32_e32 v39, v41, v38
	v_fma_f32 v37, -v37, v39, v40
	v_mul_f32_e32 v40, v14, v16
	v_mul_f32_e64 v16, v16, -v13
	v_div_fmas_f32 v37, v37, v38, v39
	v_fmac_f32_e32 v40, v13, v15
	v_fmac_f32_e32 v16, v14, v15
	v_div_fixup_f32 v5, v37, v5, 1.0
	v_mul_f32_e32 v37, v40, v5
	v_mul_f32_e32 v5, v16, v5
.LBB41_31:                              ;   in Loop: Header=BB41_14 Depth=3
	s_or_b32 exec_lo, exec_lo, s11
	v_mov_b32_e32 v14, v5
	v_mov_b32_e32 v13, v37
.LBB41_32:                              ;   in Loop: Header=BB41_14 Depth=3
	s_or_b32 exec_lo, exec_lo, s70
	v_cmp_gt_f32_e32 vcc_lo, 0, v13
                                        ; implicit-def: $vgpr16
	s_mov_b32 s11, exec_lo
	v_cndmask_b32_e64 v5, v13, -v13, vcc_lo
	v_cmp_gt_f32_e32 vcc_lo, 0, v14
	v_cndmask_b32_e64 v15, v14, -v14, vcc_lo
	v_cmpx_ngt_f32_e32 v5, v15
	s_xor_b32 s70, exec_lo, s11
	s_cbranch_execnz .LBB41_36
; %bb.33:                               ;   in Loop: Header=BB41_14 Depth=3
	s_andn2_saveexec_b32 s70, s70
	s_cbranch_execnz .LBB41_39
.LBB41_34:                              ;   in Loop: Header=BB41_14 Depth=3
	s_or_b32 exec_lo, exec_lo, s70
	v_cmp_class_f32_e64 s11, v16, 0x1f8
	s_and_saveexec_b32 s70, s11
	s_cbranch_execnz .LBB41_40
.LBB41_35:                              ;   in Loop: Header=BB41_14 Depth=3
	s_or_b32 exec_lo, exec_lo, s70
	s_and_b32 s10, s33, s11
	s_and_saveexec_b32 s11, s10
	s_cbranch_execz .LBB41_13
	s_branch .LBB41_81
.LBB41_36:                              ;   in Loop: Header=BB41_14 Depth=3
	v_mov_b32_e32 v16, 0
	s_mov_b32 s71, exec_lo
	v_cmpx_neq_f32_e32 0, v14
	s_cbranch_execz .LBB41_38
; %bb.37:                               ;   in Loop: Header=BB41_14 Depth=3
	v_div_scale_f32 v16, null, v15, v15, v5
	v_div_scale_f32 v39, vcc_lo, v5, v15, v5
	v_rcp_f32_e32 v37, v16
	v_fma_f32 v38, -v16, v37, 1.0
	v_fmac_f32_e32 v37, v38, v37
	v_mul_f32_e32 v38, v39, v37
	v_fma_f32 v40, -v16, v38, v39
	v_fmac_f32_e32 v38, v40, v37
	v_fma_f32 v16, -v16, v38, v39
	v_div_fmas_f32 v16, v16, v37, v38
	v_div_fixup_f32 v5, v16, v15, v5
	v_fma_f32 v5, v5, v5, 1.0
	v_mul_f32_e32 v16, 0x4f800000, v5
	v_cmp_gt_f32_e32 vcc_lo, 0xf800000, v5
	v_cndmask_b32_e32 v5, v5, v16, vcc_lo
	v_sqrt_f32_e32 v16, v5
	v_add_nc_u32_e32 v37, -1, v16
	v_add_nc_u32_e32 v38, 1, v16
	v_fma_f32 v39, -v37, v16, v5
	v_fma_f32 v40, -v38, v16, v5
	v_cmp_ge_f32_e64 s11, 0, v39
	v_cndmask_b32_e64 v16, v16, v37, s11
	v_cmp_lt_f32_e64 s11, 0, v40
	v_cndmask_b32_e64 v16, v16, v38, s11
	v_mul_f32_e32 v37, 0x37800000, v16
	v_cndmask_b32_e32 v16, v16, v37, vcc_lo
	v_cmp_class_f32_e64 vcc_lo, v5, 0x260
	v_cndmask_b32_e32 v5, v16, v5, vcc_lo
	v_mul_f32_e32 v16, v15, v5
.LBB41_38:                              ;   in Loop: Header=BB41_14 Depth=3
	s_or_b32 exec_lo, exec_lo, s71
                                        ; implicit-def: $vgpr5
                                        ; implicit-def: $vgpr15
	s_andn2_saveexec_b32 s70, s70
	s_cbranch_execz .LBB41_34
.LBB41_39:                              ;   in Loop: Header=BB41_14 Depth=3
	v_div_scale_f32 v16, null, v5, v5, v15
	v_div_scale_f32 v39, vcc_lo, v15, v5, v15
	v_rcp_f32_e32 v37, v16
	v_fma_f32 v38, -v16, v37, 1.0
	v_fmac_f32_e32 v37, v38, v37
	v_mul_f32_e32 v38, v39, v37
	v_fma_f32 v40, -v16, v38, v39
	v_fmac_f32_e32 v38, v40, v37
	v_fma_f32 v16, -v16, v38, v39
	v_div_fmas_f32 v16, v16, v37, v38
	v_div_fixup_f32 v15, v16, v5, v15
	v_fma_f32 v15, v15, v15, 1.0
	v_mul_f32_e32 v16, 0x4f800000, v15
	v_cmp_gt_f32_e32 vcc_lo, 0xf800000, v15
	v_cndmask_b32_e32 v15, v15, v16, vcc_lo
	v_sqrt_f32_e32 v16, v15
	v_add_nc_u32_e32 v37, -1, v16
	v_add_nc_u32_e32 v38, 1, v16
	v_fma_f32 v39, -v37, v16, v15
	v_fma_f32 v40, -v38, v16, v15
	v_cmp_ge_f32_e64 s11, 0, v39
	v_cndmask_b32_e64 v16, v16, v37, s11
	v_cmp_lt_f32_e64 s11, 0, v40
	v_cndmask_b32_e64 v16, v16, v38, s11
	v_mul_f32_e32 v37, 0x37800000, v16
	v_cndmask_b32_e32 v16, v16, v37, vcc_lo
	v_cmp_class_f32_e64 vcc_lo, v15, 0x260
	v_cndmask_b32_e32 v15, v16, v15, vcc_lo
	v_mul_f32_e32 v16, v5, v15
	s_or_b32 exec_lo, exec_lo, s70
	v_cmp_class_f32_e64 s11, v16, 0x1f8
	s_and_saveexec_b32 s70, s11
	s_cbranch_execz .LBB41_35
.LBB41_40:                              ;   in Loop: Header=BB41_14 Depth=3
	s_and_saveexec_b32 s71, s10
	s_xor_b32 s71, exec_lo, s71
	s_cbranch_execz .LBB41_65
; %bb.41:                               ;   in Loop: Header=BB41_14 Depth=3
	s_mov_b32 s10, exec_lo
	v_cmpx_ge_i32_e64 v3, v7
	s_xor_b32 s72, exec_lo, s10
	s_cbranch_execz .LBB41_49
; %bb.42:                               ;   in Loop: Header=BB41_14 Depth=3
	v_lshlrev_b64 v[15:16], 3, v[7:8]
	v_add_co_u32 v37, vcc_lo, s46, v15
	v_add_co_ci_u32_e64 v38, null, s47, v16, vcc_lo
	s_andn2_b32 vcc_lo, exec_lo, s56
	global_store_dwordx2 v[37:38], v[13:14], off
	s_cbranch_vccnz .LBB41_48
; %bb.43:                               ;   in Loop: Header=BB41_14 Depth=3
	v_add_co_u32 v15, vcc_lo, s44, v15
	v_add_co_ci_u32_e64 v16, null, s45, v16, vcc_lo
	s_mov_b32 s10, exec_lo
	global_load_dwordx2 v[15:16], v[15:16], off
	s_waitcnt vmcnt(0)
	v_sub_f32_e32 v5, v15, v13
	v_sub_f32_e32 v15, v16, v14
                                        ; implicit-def: $vgpr14
	v_cmp_gt_f32_e32 vcc_lo, 0, v5
	v_cndmask_b32_e64 v5, v5, -v5, vcc_lo
	v_cmp_gt_f32_e32 vcc_lo, 0, v15
	v_cndmask_b32_e64 v13, v15, -v15, vcc_lo
	v_cmpx_ngt_f32_e32 v5, v13
	s_xor_b32 s73, exec_lo, s10
	s_cbranch_execnz .LBB41_109
; %bb.44:                               ;   in Loop: Header=BB41_14 Depth=3
	s_andn2_saveexec_b32 s73, s73
	s_cbranch_execnz .LBB41_112
.LBB41_45:                              ;   in Loop: Header=BB41_14 Depth=3
	s_or_b32 exec_lo, exec_lo, s73
	v_cmp_class_f32_e64 s73, v14, 0x1f8
	s_and_saveexec_b32 s10, s73
.LBB41_46:                              ;   in Loop: Header=BB41_14 Depth=3
	v_cmp_lt_f32_e32 vcc_lo, v22, v14
	v_cndmask_b32_e32 v22, v22, v14, vcc_lo
.LBB41_47:                              ;   in Loop: Header=BB41_14 Depth=3
	s_or_b32 exec_lo, exec_lo, s10
.LBB41_48:                              ;   in Loop: Header=BB41_14 Depth=3
                                        ; implicit-def: $vgpr13
.LBB41_49:                              ;   in Loop: Header=BB41_14 Depth=3
	s_andn2_saveexec_b32 s72, s72
	s_cbranch_execz .LBB41_64
; %bb.50:                               ;   in Loop: Header=BB41_14 Depth=3
	s_mov_b32 s73, exec_lo
	v_cmpx_lt_i32_e64 v12, v36
	s_cbranch_execz .LBB41_63
; %bb.51:                               ;   in Loop: Header=BB41_14 Depth=3
	v_mov_b32_e32 v5, v12
	s_mov_b32 s10, 0
                                        ; implicit-def: $sgpr74
                                        ; implicit-def: $sgpr76
                                        ; implicit-def: $sgpr75
	s_inst_prefetch 0x1
	s_branch .LBB41_53
	.p2align	6
.LBB41_52:                              ;   in Loop: Header=BB41_53 Depth=4
	s_or_b32 exec_lo, exec_lo, s77
	s_and_b32 s77, exec_lo, s76
	s_or_b32 s10, s77, s10
	s_andn2_b32 s74, s74, exec_lo
	s_and_b32 s77, s75, exec_lo
	s_or_b32 s74, s74, s77
	s_andn2_b32 exec_lo, exec_lo, s10
	s_cbranch_execz .LBB41_55
.LBB41_53:                              ;   Parent Loop BB41_5 Depth=1
                                        ;     Parent Loop BB41_9 Depth=2
                                        ;       Parent Loop BB41_14 Depth=3
                                        ; =>      This Inner Loop Header: Depth=4
	v_add_nc_u32_e32 v15, v11, v5
	s_or_b32 s75, s75, exec_lo
	s_or_b32 s76, s76, exec_lo
	s_mov_b32 s77, exec_lo
	v_ashrrev_i32_e32 v16, 31, v15
	v_lshlrev_b64 v[37:38], 2, v[15:16]
	v_add_co_u32 v37, vcc_lo, s16, v37
	v_add_co_ci_u32_e64 v38, null, s17, v38, vcc_lo
	global_load_dword v37, v[37:38], off
	s_waitcnt vmcnt(0)
	v_subrev_nc_u32_e32 v37, s61, v37
	v_cmpx_ne_u32_e64 v37, v3
	s_cbranch_execz .LBB41_52
; %bb.54:                               ;   in Loop: Header=BB41_53 Depth=4
	v_add_nc_u32_e32 v5, 1, v5
	s_andn2_b32 s76, s76, exec_lo
	s_andn2_b32 s75, s75, exec_lo
	v_cmp_ge_i32_e32 vcc_lo, v5, v36
	s_and_b32 s78, vcc_lo, exec_lo
	s_or_b32 s76, s76, s78
	s_branch .LBB41_52
.LBB41_55:                              ;   in Loop: Header=BB41_14 Depth=3
	s_inst_prefetch 0x2
	s_or_b32 exec_lo, exec_lo, s10
	s_and_saveexec_b32 s10, s74
	s_xor_b32 s74, exec_lo, s10
	s_cbranch_execz .LBB41_62
; %bb.56:                               ;   in Loop: Header=BB41_14 Depth=3
	v_lshlrev_b64 v[15:16], 3, v[15:16]
	v_add_co_u32 v37, vcc_lo, s50, v15
	v_add_co_ci_u32_e64 v38, null, s51, v16, vcc_lo
	s_andn2_b32 vcc_lo, exec_lo, s56
	global_store_dwordx2 v[37:38], v[13:14], off
	s_cbranch_vccnz .LBB41_62
; %bb.57:                               ;   in Loop: Header=BB41_14 Depth=3
	v_add_co_u32 v15, vcc_lo, s18, v15
	v_add_co_ci_u32_e64 v16, null, s19, v16, vcc_lo
	s_mov_b32 s10, exec_lo
	global_load_dwordx2 v[15:16], v[15:16], off
	s_waitcnt vmcnt(0)
	v_sub_f32_e32 v5, v15, v13
	v_sub_f32_e32 v15, v16, v14
                                        ; implicit-def: $vgpr14
	v_cmp_gt_f32_e32 vcc_lo, 0, v5
	v_cndmask_b32_e64 v5, v5, -v5, vcc_lo
	v_cmp_gt_f32_e32 vcc_lo, 0, v15
	v_cndmask_b32_e64 v13, v15, -v15, vcc_lo
	v_cmpx_ngt_f32_e32 v5, v13
	s_xor_b32 s75, exec_lo, s10
	s_cbranch_execnz .LBB41_117
; %bb.58:                               ;   in Loop: Header=BB41_14 Depth=3
	s_andn2_saveexec_b32 s75, s75
	s_cbranch_execnz .LBB41_120
.LBB41_59:                              ;   in Loop: Header=BB41_14 Depth=3
	s_or_b32 exec_lo, exec_lo, s75
	v_cmp_class_f32_e64 s75, v14, 0x1f8
	s_and_saveexec_b32 s10, s75
.LBB41_60:                              ;   in Loop: Header=BB41_14 Depth=3
	v_cmp_lt_f32_e32 vcc_lo, v22, v14
	v_cndmask_b32_e32 v22, v22, v14, vcc_lo
.LBB41_61:                              ;   in Loop: Header=BB41_14 Depth=3
	s_or_b32 exec_lo, exec_lo, s10
.LBB41_62:                              ;   in Loop: Header=BB41_14 Depth=3
	s_or_b32 exec_lo, exec_lo, s74
.LBB41_63:                              ;   in Loop: Header=BB41_14 Depth=3
	s_or_b32 exec_lo, exec_lo, s73
.LBB41_64:                              ;   in Loop: Header=BB41_14 Depth=3
	s_or_b32 exec_lo, exec_lo, s72
                                        ; implicit-def: $vgpr13
.LBB41_65:                              ;   in Loop: Header=BB41_14 Depth=3
	s_andn2_saveexec_b32 s71, s71
	s_cbranch_execz .LBB41_80
; %bb.66:                               ;   in Loop: Header=BB41_14 Depth=3
	s_mov_b32 s72, exec_lo
	v_cmpx_lt_i32_e64 v1, v29
	s_cbranch_execz .LBB41_79
; %bb.67:                               ;   in Loop: Header=BB41_14 Depth=3
	v_mov_b32_e32 v5, v1
	s_mov_b32 s10, 0
                                        ; implicit-def: $sgpr73
                                        ; implicit-def: $sgpr75
                                        ; implicit-def: $sgpr74
	s_inst_prefetch 0x1
	s_branch .LBB41_69
	.p2align	6
.LBB41_68:                              ;   in Loop: Header=BB41_69 Depth=4
	s_or_b32 exec_lo, exec_lo, s76
	s_and_b32 s76, exec_lo, s75
	s_or_b32 s10, s76, s10
	s_andn2_b32 s73, s73, exec_lo
	s_and_b32 s76, s74, exec_lo
	s_or_b32 s73, s73, s76
	s_andn2_b32 exec_lo, exec_lo, s10
	s_cbranch_execz .LBB41_71
.LBB41_69:                              ;   Parent Loop BB41_5 Depth=1
                                        ;     Parent Loop BB41_9 Depth=2
                                        ;       Parent Loop BB41_14 Depth=3
                                        ; =>      This Inner Loop Header: Depth=4
	v_add_nc_u32_e32 v15, v6, v5
	s_or_b32 s74, s74, exec_lo
	s_or_b32 s75, s75, exec_lo
	s_mov_b32 s76, exec_lo
	v_ashrrev_i32_e32 v16, 31, v15
	v_lshlrev_b64 v[37:38], 2, v[15:16]
	v_add_co_u32 v37, vcc_lo, s24, v37
	v_add_co_ci_u32_e64 v38, null, s25, v38, vcc_lo
	global_load_dword v37, v[37:38], off
	s_waitcnt vmcnt(0)
	v_subrev_nc_u32_e32 v37, s60, v37
	v_cmpx_ne_u32_e64 v37, v7
	s_cbranch_execz .LBB41_68
; %bb.70:                               ;   in Loop: Header=BB41_69 Depth=4
	v_add_nc_u32_e32 v5, 1, v5
	s_andn2_b32 s75, s75, exec_lo
	s_andn2_b32 s74, s74, exec_lo
	v_cmp_ge_i32_e32 vcc_lo, v5, v29
	s_and_b32 s77, vcc_lo, exec_lo
	s_or_b32 s75, s75, s77
	s_branch .LBB41_68
.LBB41_71:                              ;   in Loop: Header=BB41_14 Depth=3
	s_inst_prefetch 0x2
	s_or_b32 exec_lo, exec_lo, s10
	s_and_saveexec_b32 s10, s73
	s_xor_b32 s73, exec_lo, s10
	s_cbranch_execz .LBB41_78
; %bb.72:                               ;   in Loop: Header=BB41_14 Depth=3
	v_lshlrev_b64 v[15:16], 3, v[15:16]
	v_add_co_u32 v37, vcc_lo, s52, v15
	v_add_co_ci_u32_e64 v38, null, s53, v16, vcc_lo
	s_andn2_b32 vcc_lo, exec_lo, s56
	global_store_dwordx2 v[37:38], v[13:14], off
	s_cbranch_vccnz .LBB41_78
; %bb.73:                               ;   in Loop: Header=BB41_14 Depth=3
	v_add_co_u32 v15, vcc_lo, s26, v15
	v_add_co_ci_u32_e64 v16, null, s27, v16, vcc_lo
	s_mov_b32 s10, exec_lo
	global_load_dwordx2 v[15:16], v[15:16], off
	s_waitcnt vmcnt(0)
	v_sub_f32_e32 v5, v15, v13
	v_sub_f32_e32 v15, v16, v14
                                        ; implicit-def: $vgpr14
	v_cmp_gt_f32_e32 vcc_lo, 0, v5
	v_cndmask_b32_e64 v5, v5, -v5, vcc_lo
	v_cmp_gt_f32_e32 vcc_lo, 0, v15
	v_cndmask_b32_e64 v13, v15, -v15, vcc_lo
	v_cmpx_ngt_f32_e32 v5, v13
	s_xor_b32 s74, exec_lo, s10
	s_cbranch_execnz .LBB41_113
; %bb.74:                               ;   in Loop: Header=BB41_14 Depth=3
	s_andn2_saveexec_b32 s74, s74
	s_cbranch_execnz .LBB41_116
.LBB41_75:                              ;   in Loop: Header=BB41_14 Depth=3
	s_or_b32 exec_lo, exec_lo, s74
	v_cmp_class_f32_e64 s74, v14, 0x1f8
	s_and_saveexec_b32 s10, s74
.LBB41_76:                              ;   in Loop: Header=BB41_14 Depth=3
	v_cmp_lt_f32_e32 vcc_lo, v22, v14
	v_cndmask_b32_e32 v22, v22, v14, vcc_lo
.LBB41_77:                              ;   in Loop: Header=BB41_14 Depth=3
	s_or_b32 exec_lo, exec_lo, s10
.LBB41_78:                              ;   in Loop: Header=BB41_14 Depth=3
	s_or_b32 exec_lo, exec_lo, s73
.LBB41_79:                              ;   in Loop: Header=BB41_14 Depth=3
	s_or_b32 exec_lo, exec_lo, s72
.LBB41_80:                              ;   in Loop: Header=BB41_14 Depth=3
	s_or_b32 exec_lo, exec_lo, s71
	s_or_b32 exec_lo, exec_lo, s70
	s_and_b32 s10, s33, s11
	s_and_saveexec_b32 s11, s10
	s_cbranch_execz .LBB41_13
.LBB41_81:                              ;   in Loop: Header=BB41_14 Depth=3
	s_mov_b32 s10, exec_lo
	v_cmpx_ge_i32_e64 v12, v36
	s_xor_b32 s10, exec_lo, s10
	s_cbranch_execnz .LBB41_88
; %bb.82:                               ;   in Loop: Header=BB41_14 Depth=3
	s_andn2_saveexec_b32 s10, s10
	s_cbranch_execnz .LBB41_102
.LBB41_83:                              ;   in Loop: Header=BB41_14 Depth=3
	s_or_b32 exec_lo, exec_lo, s10
	s_mov_b32 s10, exec_lo
	v_cmpx_eq_u32_e64 v3, v7
	s_cbranch_execz .LBB41_85
.LBB41_84:                              ;   in Loop: Header=BB41_14 Depth=3
	v_lshlrev_b64 v[7:8], 3, v[7:8]
	v_add_co_u32 v7, vcc_lo, s44, v7
	v_add_co_ci_u32_e64 v8, null, s45, v8, vcc_lo
	global_load_dwordx2 v[7:8], v[7:8], off
	s_waitcnt vmcnt(0)
	v_add_f32_e32 v34, v34, v7
	v_add_f32_e32 v35, v35, v8
.LBB41_85:                              ;   in Loop: Header=BB41_14 Depth=3
	s_or_b32 exec_lo, exec_lo, s10
	v_sub_f32_e32 v1, v9, v34
	v_sub_f32_e32 v8, v10, v35
                                        ; implicit-def: $vgpr7
	s_mov_b32 s10, exec_lo
	v_cmp_gt_f32_e32 vcc_lo, 0, v1
	v_cndmask_b32_e64 v1, v1, -v1, vcc_lo
	v_cmp_gt_f32_e32 vcc_lo, 0, v8
	v_cndmask_b32_e64 v5, v8, -v8, vcc_lo
	v_cmpx_ngt_f32_e32 v1, v5
	s_xor_b32 s70, exec_lo, s10
	s_cbranch_execnz .LBB41_93
; %bb.86:                               ;   in Loop: Header=BB41_14 Depth=3
	s_andn2_saveexec_b32 s70, s70
	s_cbranch_execnz .LBB41_96
.LBB41_87:                              ;   in Loop: Header=BB41_14 Depth=3
	s_or_b32 exec_lo, exec_lo, s70
	v_cmp_class_f32_e64 s70, v7, 0x1f8
	s_and_saveexec_b32 s10, s70
	s_cbranch_execz .LBB41_12
	s_branch .LBB41_97
.LBB41_88:                              ;   in Loop: Header=BB41_14 Depth=3
	s_mov_b32 s70, exec_lo
	v_cmpx_lt_i32_e64 v1, v29
	s_cbranch_execz .LBB41_101
; %bb.89:                               ;   in Loop: Header=BB41_14 Depth=3
	s_mov_b32 s72, 0
                                        ; implicit-def: $sgpr71
                                        ; implicit-def: $sgpr74
                                        ; implicit-def: $sgpr73
	s_inst_prefetch 0x1
	s_branch .LBB41_91
	.p2align	6
.LBB41_90:                              ;   in Loop: Header=BB41_91 Depth=4
	s_or_b32 exec_lo, exec_lo, s75
	s_and_b32 s75, exec_lo, s74
	s_or_b32 s72, s75, s72
	s_andn2_b32 s71, s71, exec_lo
	s_and_b32 s75, s73, exec_lo
	s_or_b32 s71, s71, s75
	s_andn2_b32 exec_lo, exec_lo, s72
	s_cbranch_execz .LBB41_98
.LBB41_91:                              ;   Parent Loop BB41_5 Depth=1
                                        ;     Parent Loop BB41_9 Depth=2
                                        ;       Parent Loop BB41_14 Depth=3
                                        ; =>      This Inner Loop Header: Depth=4
	v_add_nc_u32_e32 v11, v6, v1
	s_or_b32 s73, s73, exec_lo
	s_or_b32 s74, s74, exec_lo
	s_mov_b32 s75, exec_lo
	v_ashrrev_i32_e32 v12, 31, v11
	v_lshlrev_b64 v[13:14], 2, v[11:12]
	v_add_co_u32 v13, vcc_lo, s24, v13
	v_add_co_ci_u32_e64 v14, null, s25, v14, vcc_lo
	global_load_dword v5, v[13:14], off
	s_waitcnt vmcnt(0)
	v_subrev_nc_u32_e32 v5, s60, v5
	v_cmpx_ne_u32_e64 v5, v7
	s_cbranch_execz .LBB41_90
; %bb.92:                               ;   in Loop: Header=BB41_91 Depth=4
	v_add_nc_u32_e32 v1, 1, v1
	s_andn2_b32 s74, s74, exec_lo
	s_andn2_b32 s73, s73, exec_lo
	v_cmp_ge_i32_e32 vcc_lo, v1, v29
	s_and_b32 s76, vcc_lo, exec_lo
	s_or_b32 s74, s74, s76
	s_branch .LBB41_90
.LBB41_93:                              ;   in Loop: Header=BB41_14 Depth=3
	v_mov_b32_e32 v7, 0
	s_mov_b32 s71, exec_lo
	v_cmpx_neq_f32_e32 0, v8
	s_cbranch_execz .LBB41_95
; %bb.94:                               ;   in Loop: Header=BB41_14 Depth=3
	v_div_scale_f32 v7, null, v5, v5, v1
	v_div_scale_f32 v10, vcc_lo, v1, v5, v1
	v_rcp_f32_e32 v8, v7
	v_fma_f32 v9, -v7, v8, 1.0
	v_fmac_f32_e32 v8, v9, v8
	v_mul_f32_e32 v9, v10, v8
	v_fma_f32 v11, -v7, v9, v10
	v_fmac_f32_e32 v9, v11, v8
	v_fma_f32 v7, -v7, v9, v10
	v_div_fmas_f32 v7, v7, v8, v9
	v_div_fixup_f32 v1, v7, v5, v1
	v_fma_f32 v1, v1, v1, 1.0
	v_mul_f32_e32 v7, 0x4f800000, v1
	v_cmp_gt_f32_e32 vcc_lo, 0xf800000, v1
	v_cndmask_b32_e32 v1, v1, v7, vcc_lo
	v_sqrt_f32_e32 v7, v1
	v_add_nc_u32_e32 v8, -1, v7
	v_add_nc_u32_e32 v9, 1, v7
	v_fma_f32 v10, -v8, v7, v1
	v_fma_f32 v11, -v9, v7, v1
	v_cmp_ge_f32_e64 s10, 0, v10
	v_cndmask_b32_e64 v7, v7, v8, s10
	v_cmp_lt_f32_e64 s10, 0, v11
	v_cndmask_b32_e64 v7, v7, v9, s10
	v_mul_f32_e32 v8, 0x37800000, v7
	v_cndmask_b32_e32 v7, v7, v8, vcc_lo
	v_cmp_class_f32_e64 vcc_lo, v1, 0x260
	v_cndmask_b32_e32 v1, v7, v1, vcc_lo
	v_mul_f32_e32 v7, v5, v1
.LBB41_95:                              ;   in Loop: Header=BB41_14 Depth=3
	s_or_b32 exec_lo, exec_lo, s71
                                        ; implicit-def: $vgpr1
                                        ; implicit-def: $vgpr5
	s_andn2_saveexec_b32 s70, s70
	s_cbranch_execz .LBB41_87
.LBB41_96:                              ;   in Loop: Header=BB41_14 Depth=3
	v_div_scale_f32 v7, null, v1, v1, v5
	v_div_scale_f32 v10, vcc_lo, v5, v1, v5
	v_rcp_f32_e32 v8, v7
	v_fma_f32 v9, -v7, v8, 1.0
	v_fmac_f32_e32 v8, v9, v8
	v_mul_f32_e32 v9, v10, v8
	v_fma_f32 v11, -v7, v9, v10
	v_fmac_f32_e32 v9, v11, v8
	v_fma_f32 v7, -v7, v9, v10
	v_div_fmas_f32 v7, v7, v8, v9
	v_div_fixup_f32 v5, v7, v1, v5
	v_fma_f32 v5, v5, v5, 1.0
	v_mul_f32_e32 v7, 0x4f800000, v5
	v_cmp_gt_f32_e32 vcc_lo, 0xf800000, v5
	v_cndmask_b32_e32 v5, v5, v7, vcc_lo
	v_sqrt_f32_e32 v7, v5
	v_add_nc_u32_e32 v8, -1, v7
	v_add_nc_u32_e32 v9, 1, v7
	v_fma_f32 v10, -v8, v7, v5
	v_fma_f32 v11, -v9, v7, v5
	v_cmp_ge_f32_e64 s10, 0, v10
	v_cndmask_b32_e64 v7, v7, v8, s10
	v_cmp_lt_f32_e64 s10, 0, v11
	v_cndmask_b32_e64 v7, v7, v9, s10
	v_mul_f32_e32 v8, 0x37800000, v7
	v_cndmask_b32_e32 v7, v7, v8, vcc_lo
	v_cmp_class_f32_e64 vcc_lo, v5, 0x260
	v_cndmask_b32_e32 v5, v7, v5, vcc_lo
	v_mul_f32_e32 v7, v1, v5
	s_or_b32 exec_lo, exec_lo, s70
	v_cmp_class_f32_e64 s70, v7, 0x1f8
	s_and_saveexec_b32 s10, s70
	s_cbranch_execz .LBB41_12
.LBB41_97:                              ;   in Loop: Header=BB41_14 Depth=3
	v_cmp_lt_f32_e32 vcc_lo, v18, v7
	v_cndmask_b32_e32 v18, v18, v7, vcc_lo
	s_branch .LBB41_12
.LBB41_98:                              ;   in Loop: Header=BB41_14 Depth=3
	s_inst_prefetch 0x2
	s_or_b32 exec_lo, exec_lo, s72
	s_and_saveexec_b32 s72, s71
	s_xor_b32 s71, exec_lo, s72
	s_cbranch_execz .LBB41_100
; %bb.99:                               ;   in Loop: Header=BB41_14 Depth=3
	v_lshlrev_b64 v[11:12], 3, v[11:12]
	v_lshlrev_b64 v[13:14], 3, v[7:8]
	v_add_co_u32 v11, vcc_lo, s26, v11
	v_add_co_ci_u32_e64 v12, null, s27, v12, vcc_lo
	v_add_co_u32 v13, vcc_lo, s44, v13
	v_add_co_ci_u32_e64 v14, null, s45, v14, vcc_lo
	global_load_dwordx2 v[11:12], v[11:12], off
	global_load_dwordx2 v[13:14], v[13:14], off
	s_waitcnt vmcnt(0)
	v_mul_f32_e64 v1, v14, -v12
	v_mul_f32_e32 v5, v14, v11
	v_fmac_f32_e32 v1, v11, v13
	v_fmac_f32_e32 v5, v12, v13
	v_add_f32_e32 v34, v34, v1
	v_add_f32_e32 v35, v35, v5
.LBB41_100:                             ;   in Loop: Header=BB41_14 Depth=3
	s_or_b32 exec_lo, exec_lo, s71
.LBB41_101:                             ;   in Loop: Header=BB41_14 Depth=3
	s_or_b32 exec_lo, exec_lo, s70
                                        ; implicit-def: $vgpr12
                                        ; implicit-def: $vgpr11
                                        ; implicit-def: $vgpr36
	s_andn2_saveexec_b32 s10, s10
	s_cbranch_execz .LBB41_83
.LBB41_102:                             ;   in Loop: Header=BB41_14 Depth=3
	s_mov_b32 s71, 0
                                        ; implicit-def: $sgpr70
                                        ; implicit-def: $sgpr73
                                        ; implicit-def: $sgpr72
	s_inst_prefetch 0x1
	s_branch .LBB41_104
	.p2align	6
.LBB41_103:                             ;   in Loop: Header=BB41_104 Depth=4
	s_or_b32 exec_lo, exec_lo, s74
	s_and_b32 s74, exec_lo, s73
	s_or_b32 s71, s74, s71
	s_andn2_b32 s70, s70, exec_lo
	s_and_b32 s74, s72, exec_lo
	s_or_b32 s70, s70, s74
	s_andn2_b32 exec_lo, exec_lo, s71
	s_cbranch_execz .LBB41_106
.LBB41_104:                             ;   Parent Loop BB41_5 Depth=1
                                        ;     Parent Loop BB41_9 Depth=2
                                        ;       Parent Loop BB41_14 Depth=3
                                        ; =>      This Inner Loop Header: Depth=4
	v_add_nc_u32_e32 v13, v11, v12
	s_or_b32 s72, s72, exec_lo
	s_or_b32 s73, s73, exec_lo
	s_mov_b32 s74, exec_lo
	v_ashrrev_i32_e32 v14, 31, v13
	v_lshlrev_b64 v[15:16], 2, v[13:14]
	v_add_co_u32 v15, vcc_lo, s16, v15
	v_add_co_ci_u32_e64 v16, null, s17, v16, vcc_lo
	global_load_dword v1, v[15:16], off
	s_waitcnt vmcnt(0)
	v_subrev_nc_u32_e32 v1, s61, v1
	v_cmpx_ne_u32_e64 v1, v3
	s_cbranch_execz .LBB41_103
; %bb.105:                              ;   in Loop: Header=BB41_104 Depth=4
	v_add_nc_u32_e32 v12, 1, v12
	s_andn2_b32 s73, s73, exec_lo
	s_andn2_b32 s72, s72, exec_lo
	v_cmp_ge_i32_e32 vcc_lo, v12, v36
	s_and_b32 s75, vcc_lo, exec_lo
	s_or_b32 s73, s73, s75
	s_branch .LBB41_103
.LBB41_106:                             ;   in Loop: Header=BB41_14 Depth=3
	s_inst_prefetch 0x2
	s_or_b32 exec_lo, exec_lo, s71
	s_and_saveexec_b32 s71, s70
	s_xor_b32 s70, exec_lo, s71
	s_cbranch_execz .LBB41_108
; %bb.107:                              ;   in Loop: Header=BB41_14 Depth=3
	v_lshlrev_b64 v[11:12], 3, v[13:14]
	v_add_co_u32 v11, vcc_lo, s18, v11
	v_add_co_ci_u32_e64 v12, null, s19, v12, vcc_lo
	global_load_dwordx2 v[11:12], v[11:12], off
	s_waitcnt vmcnt(0)
	v_add_f32_e32 v34, v34, v11
	v_add_f32_e32 v35, v35, v12
.LBB41_108:                             ;   in Loop: Header=BB41_14 Depth=3
	s_or_b32 exec_lo, exec_lo, s70
	s_or_b32 exec_lo, exec_lo, s10
	s_mov_b32 s10, exec_lo
	v_cmpx_eq_u32_e64 v3, v7
	s_cbranch_execnz .LBB41_84
	s_branch .LBB41_85
.LBB41_109:                             ;   in Loop: Header=BB41_14 Depth=3
	v_mov_b32_e32 v14, 0
	s_mov_b32 s74, exec_lo
	v_cmpx_neq_f32_e32 0, v15
	s_cbranch_execz .LBB41_111
; %bb.110:                              ;   in Loop: Header=BB41_14 Depth=3
	v_div_scale_f32 v14, null, v13, v13, v5
	v_div_scale_f32 v37, vcc_lo, v5, v13, v5
	v_rcp_f32_e32 v15, v14
	v_fma_f32 v16, -v14, v15, 1.0
	v_fmac_f32_e32 v15, v16, v15
	v_mul_f32_e32 v16, v37, v15
	v_fma_f32 v38, -v14, v16, v37
	v_fmac_f32_e32 v16, v38, v15
	v_fma_f32 v14, -v14, v16, v37
	v_div_fmas_f32 v14, v14, v15, v16
	v_div_fixup_f32 v5, v14, v13, v5
	v_fma_f32 v5, v5, v5, 1.0
	v_mul_f32_e32 v14, 0x4f800000, v5
	v_cmp_gt_f32_e32 vcc_lo, 0xf800000, v5
	v_cndmask_b32_e32 v5, v5, v14, vcc_lo
	v_sqrt_f32_e32 v14, v5
	v_add_nc_u32_e32 v15, -1, v14
	v_add_nc_u32_e32 v16, 1, v14
	v_fma_f32 v37, -v15, v14, v5
	v_fma_f32 v38, -v16, v14, v5
	v_cmp_ge_f32_e64 s10, 0, v37
	v_cndmask_b32_e64 v14, v14, v15, s10
	v_cmp_lt_f32_e64 s10, 0, v38
	v_cndmask_b32_e64 v14, v14, v16, s10
	v_mul_f32_e32 v15, 0x37800000, v14
	v_cndmask_b32_e32 v14, v14, v15, vcc_lo
	v_cmp_class_f32_e64 vcc_lo, v5, 0x260
	v_cndmask_b32_e32 v5, v14, v5, vcc_lo
	v_mul_f32_e32 v14, v13, v5
.LBB41_111:                             ;   in Loop: Header=BB41_14 Depth=3
	s_or_b32 exec_lo, exec_lo, s74
                                        ; implicit-def: $vgpr5
                                        ; implicit-def: $vgpr13
	s_andn2_saveexec_b32 s73, s73
	s_cbranch_execz .LBB41_45
.LBB41_112:                             ;   in Loop: Header=BB41_14 Depth=3
	v_div_scale_f32 v14, null, v5, v5, v13
	v_div_scale_f32 v37, vcc_lo, v13, v5, v13
	v_rcp_f32_e32 v15, v14
	v_fma_f32 v16, -v14, v15, 1.0
	v_fmac_f32_e32 v15, v16, v15
	v_mul_f32_e32 v16, v37, v15
	v_fma_f32 v38, -v14, v16, v37
	v_fmac_f32_e32 v16, v38, v15
	v_fma_f32 v14, -v14, v16, v37
	v_div_fmas_f32 v14, v14, v15, v16
	v_div_fixup_f32 v13, v14, v5, v13
	v_fma_f32 v13, v13, v13, 1.0
	v_mul_f32_e32 v14, 0x4f800000, v13
	v_cmp_gt_f32_e32 vcc_lo, 0xf800000, v13
	v_cndmask_b32_e32 v13, v13, v14, vcc_lo
	v_sqrt_f32_e32 v14, v13
	v_add_nc_u32_e32 v15, -1, v14
	v_add_nc_u32_e32 v16, 1, v14
	v_fma_f32 v37, -v15, v14, v13
	v_fma_f32 v38, -v16, v14, v13
	v_cmp_ge_f32_e64 s10, 0, v37
	v_cndmask_b32_e64 v14, v14, v15, s10
	v_cmp_lt_f32_e64 s10, 0, v38
	v_cndmask_b32_e64 v14, v14, v16, s10
	v_mul_f32_e32 v15, 0x37800000, v14
	v_cndmask_b32_e32 v14, v14, v15, vcc_lo
	v_cmp_class_f32_e64 vcc_lo, v13, 0x260
	v_cndmask_b32_e32 v13, v14, v13, vcc_lo
	v_mul_f32_e32 v14, v5, v13
	s_or_b32 exec_lo, exec_lo, s73
	v_cmp_class_f32_e64 s73, v14, 0x1f8
	s_and_saveexec_b32 s10, s73
	s_cbranch_execnz .LBB41_46
	s_branch .LBB41_47
.LBB41_113:                             ;   in Loop: Header=BB41_14 Depth=3
	v_mov_b32_e32 v14, 0
	s_mov_b32 s75, exec_lo
	v_cmpx_neq_f32_e32 0, v15
	s_cbranch_execz .LBB41_115
; %bb.114:                              ;   in Loop: Header=BB41_14 Depth=3
	v_div_scale_f32 v14, null, v13, v13, v5
	v_div_scale_f32 v37, vcc_lo, v5, v13, v5
	v_rcp_f32_e32 v15, v14
	v_fma_f32 v16, -v14, v15, 1.0
	v_fmac_f32_e32 v15, v16, v15
	v_mul_f32_e32 v16, v37, v15
	v_fma_f32 v38, -v14, v16, v37
	v_fmac_f32_e32 v16, v38, v15
	v_fma_f32 v14, -v14, v16, v37
	v_div_fmas_f32 v14, v14, v15, v16
	v_div_fixup_f32 v5, v14, v13, v5
	v_fma_f32 v5, v5, v5, 1.0
	v_mul_f32_e32 v14, 0x4f800000, v5
	v_cmp_gt_f32_e32 vcc_lo, 0xf800000, v5
	v_cndmask_b32_e32 v5, v5, v14, vcc_lo
	v_sqrt_f32_e32 v14, v5
	v_add_nc_u32_e32 v15, -1, v14
	v_add_nc_u32_e32 v16, 1, v14
	v_fma_f32 v37, -v15, v14, v5
	v_fma_f32 v38, -v16, v14, v5
	v_cmp_ge_f32_e64 s10, 0, v37
	v_cndmask_b32_e64 v14, v14, v15, s10
	v_cmp_lt_f32_e64 s10, 0, v38
	v_cndmask_b32_e64 v14, v14, v16, s10
	v_mul_f32_e32 v15, 0x37800000, v14
	v_cndmask_b32_e32 v14, v14, v15, vcc_lo
	v_cmp_class_f32_e64 vcc_lo, v5, 0x260
	v_cndmask_b32_e32 v5, v14, v5, vcc_lo
	v_mul_f32_e32 v14, v13, v5
.LBB41_115:                             ;   in Loop: Header=BB41_14 Depth=3
	s_or_b32 exec_lo, exec_lo, s75
                                        ; implicit-def: $vgpr5
                                        ; implicit-def: $vgpr13
	s_andn2_saveexec_b32 s74, s74
	s_cbranch_execz .LBB41_75
.LBB41_116:                             ;   in Loop: Header=BB41_14 Depth=3
	v_div_scale_f32 v14, null, v5, v5, v13
	v_div_scale_f32 v37, vcc_lo, v13, v5, v13
	v_rcp_f32_e32 v15, v14
	v_fma_f32 v16, -v14, v15, 1.0
	v_fmac_f32_e32 v15, v16, v15
	v_mul_f32_e32 v16, v37, v15
	v_fma_f32 v38, -v14, v16, v37
	v_fmac_f32_e32 v16, v38, v15
	v_fma_f32 v14, -v14, v16, v37
	v_div_fmas_f32 v14, v14, v15, v16
	v_div_fixup_f32 v13, v14, v5, v13
	v_fma_f32 v13, v13, v13, 1.0
	v_mul_f32_e32 v14, 0x4f800000, v13
	v_cmp_gt_f32_e32 vcc_lo, 0xf800000, v13
	v_cndmask_b32_e32 v13, v13, v14, vcc_lo
	v_sqrt_f32_e32 v14, v13
	v_add_nc_u32_e32 v15, -1, v14
	v_add_nc_u32_e32 v16, 1, v14
	v_fma_f32 v37, -v15, v14, v13
	v_fma_f32 v38, -v16, v14, v13
	v_cmp_ge_f32_e64 s10, 0, v37
	v_cndmask_b32_e64 v14, v14, v15, s10
	v_cmp_lt_f32_e64 s10, 0, v38
	v_cndmask_b32_e64 v14, v14, v16, s10
	v_mul_f32_e32 v15, 0x37800000, v14
	v_cndmask_b32_e32 v14, v14, v15, vcc_lo
	v_cmp_class_f32_e64 vcc_lo, v13, 0x260
	v_cndmask_b32_e32 v13, v14, v13, vcc_lo
	v_mul_f32_e32 v14, v5, v13
	s_or_b32 exec_lo, exec_lo, s74
	v_cmp_class_f32_e64 s74, v14, 0x1f8
	s_and_saveexec_b32 s10, s74
	s_cbranch_execnz .LBB41_76
	s_branch .LBB41_77
.LBB41_117:                             ;   in Loop: Header=BB41_14 Depth=3
	v_mov_b32_e32 v14, 0
	s_mov_b32 s76, exec_lo
	v_cmpx_neq_f32_e32 0, v15
	s_cbranch_execz .LBB41_119
; %bb.118:                              ;   in Loop: Header=BB41_14 Depth=3
	v_div_scale_f32 v14, null, v13, v13, v5
	v_div_scale_f32 v37, vcc_lo, v5, v13, v5
	v_rcp_f32_e32 v15, v14
	v_fma_f32 v16, -v14, v15, 1.0
	v_fmac_f32_e32 v15, v16, v15
	v_mul_f32_e32 v16, v37, v15
	v_fma_f32 v38, -v14, v16, v37
	v_fmac_f32_e32 v16, v38, v15
	v_fma_f32 v14, -v14, v16, v37
	v_div_fmas_f32 v14, v14, v15, v16
	v_div_fixup_f32 v5, v14, v13, v5
	v_fma_f32 v5, v5, v5, 1.0
	v_mul_f32_e32 v14, 0x4f800000, v5
	v_cmp_gt_f32_e32 vcc_lo, 0xf800000, v5
	v_cndmask_b32_e32 v5, v5, v14, vcc_lo
	v_sqrt_f32_e32 v14, v5
	v_add_nc_u32_e32 v15, -1, v14
	v_add_nc_u32_e32 v16, 1, v14
	v_fma_f32 v37, -v15, v14, v5
	v_fma_f32 v38, -v16, v14, v5
	v_cmp_ge_f32_e64 s10, 0, v37
	v_cndmask_b32_e64 v14, v14, v15, s10
	v_cmp_lt_f32_e64 s10, 0, v38
	v_cndmask_b32_e64 v14, v14, v16, s10
	v_mul_f32_e32 v15, 0x37800000, v14
	v_cndmask_b32_e32 v14, v14, v15, vcc_lo
	v_cmp_class_f32_e64 vcc_lo, v5, 0x260
	v_cndmask_b32_e32 v5, v14, v5, vcc_lo
	v_mul_f32_e32 v14, v13, v5
.LBB41_119:                             ;   in Loop: Header=BB41_14 Depth=3
	s_or_b32 exec_lo, exec_lo, s76
                                        ; implicit-def: $vgpr5
                                        ; implicit-def: $vgpr13
	s_andn2_saveexec_b32 s75, s75
	s_cbranch_execz .LBB41_59
.LBB41_120:                             ;   in Loop: Header=BB41_14 Depth=3
	v_div_scale_f32 v14, null, v5, v5, v13
	v_div_scale_f32 v37, vcc_lo, v13, v5, v13
	v_rcp_f32_e32 v15, v14
	v_fma_f32 v16, -v14, v15, 1.0
	v_fmac_f32_e32 v15, v16, v15
	v_mul_f32_e32 v16, v37, v15
	v_fma_f32 v38, -v14, v16, v37
	v_fmac_f32_e32 v16, v38, v15
	v_fma_f32 v14, -v14, v16, v37
	v_div_fmas_f32 v14, v14, v15, v16
	v_div_fixup_f32 v13, v14, v5, v13
	v_fma_f32 v13, v13, v13, 1.0
	v_mul_f32_e32 v14, 0x4f800000, v13
	v_cmp_gt_f32_e32 vcc_lo, 0xf800000, v13
	v_cndmask_b32_e32 v13, v13, v14, vcc_lo
	v_sqrt_f32_e32 v14, v13
	v_add_nc_u32_e32 v15, -1, v14
	v_add_nc_u32_e32 v16, 1, v14
	v_fma_f32 v37, -v15, v14, v13
	v_fma_f32 v38, -v16, v14, v13
	v_cmp_ge_f32_e64 s10, 0, v37
	v_cndmask_b32_e64 v14, v14, v15, s10
	v_cmp_lt_f32_e64 s10, 0, v38
	v_cndmask_b32_e64 v14, v14, v16, s10
	v_mul_f32_e32 v15, 0x37800000, v14
	v_cndmask_b32_e32 v14, v14, v15, vcc_lo
	v_cmp_class_f32_e64 vcc_lo, v13, 0x260
	v_cndmask_b32_e32 v13, v14, v13, vcc_lo
	v_mul_f32_e32 v14, v5, v13
	s_or_b32 exec_lo, exec_lo, s75
	v_cmp_class_f32_e64 s75, v14, 0x1f8
	s_and_saveexec_b32 s10, s75
	s_cbranch_execnz .LBB41_60
	s_branch .LBB41_61
.LBB41_121:                             ;   in Loop: Header=BB41_5 Depth=1
	v_or_b32_e32 v7, 32, v21
	v_xor_b32_e32 v6, 16, v21
	v_xor_b32_e32 v5, 8, v21
	;; [unrolled: 1-line block ×5, first 2 shown]
	s_and_b32 vcc_lo, exec_lo, s56
	s_cbranch_vccnz .LBB41_124
; %bb.122:                              ;   in Loop: Header=BB41_5 Depth=1
	s_andn2_b32 vcc_lo, exec_lo, s33
	s_cbranch_vccz .LBB41_135
.LBB41_123:                             ;   in Loop: Header=BB41_5 Depth=1
	s_and_saveexec_b32 s10, s7
	s_cbranch_execnz .LBB41_146
	s_branch .LBB41_157
.LBB41_124:                             ;   in Loop: Header=BB41_5 Depth=1
	v_cmp_gt_i32_e32 vcc_lo, 32, v7
	v_cndmask_b32_e32 v8, v21, v7, vcc_lo
	v_cmp_gt_i32_e32 vcc_lo, 32, v6
	v_lshlrev_b32_e32 v8, 2, v8
	v_cndmask_b32_e32 v9, v21, v6, vcc_lo
	ds_bpermute_b32 v8, v8, v22
	v_lshlrev_b32_e32 v9, 2, v9
	s_waitcnt lgkmcnt(0)
	v_cmp_lt_f32_e32 vcc_lo, v22, v8
	v_cndmask_b32_e32 v8, v22, v8, vcc_lo
	v_cmp_gt_i32_e32 vcc_lo, 32, v5
	ds_bpermute_b32 v9, v9, v8
	v_cndmask_b32_e32 v10, v21, v5, vcc_lo
	v_lshlrev_b32_e32 v10, 2, v10
	s_waitcnt lgkmcnt(0)
	v_cmp_lt_f32_e32 vcc_lo, v8, v9
	v_cndmask_b32_e32 v8, v8, v9, vcc_lo
	v_cmp_gt_i32_e32 vcc_lo, 32, v4
	ds_bpermute_b32 v9, v10, v8
	v_cndmask_b32_e32 v10, v21, v4, vcc_lo
	;; [unrolled: 7-line block ×4, first 2 shown]
	s_waitcnt lgkmcnt(0)
	v_cmp_lt_f32_e32 vcc_lo, v8, v9
	v_cndmask_b32_e32 v8, v8, v9, vcc_lo
	v_lshlrev_b32_e32 v9, 2, v10
	ds_bpermute_b32 v9, v9, v8
	s_and_saveexec_b32 s9, s0
	s_cbranch_execz .LBB41_126
; %bb.125:                              ;   in Loop: Header=BB41_5 Depth=1
	s_waitcnt lgkmcnt(0)
	v_cmp_lt_f32_e32 vcc_lo, v8, v9
	v_cndmask_b32_e32 v8, v8, v9, vcc_lo
	ds_write_b32 v24, v8
.LBB41_126:                             ;   in Loop: Header=BB41_5 Depth=1
	s_or_b32 exec_lo, exec_lo, s9
	s_waitcnt lgkmcnt(0)
	s_waitcnt_vscnt null, 0x0
	s_barrier
	buffer_gl0_inv
	s_and_saveexec_b32 s9, s1
	s_cbranch_execz .LBB41_128
; %bb.127:                              ;   in Loop: Header=BB41_5 Depth=1
	ds_read2_b32 v[8:9], v17 offset1:8
	s_waitcnt lgkmcnt(0)
	v_cmp_lt_f32_e32 vcc_lo, v8, v9
	v_cndmask_b32_e32 v8, v8, v9, vcc_lo
	ds_write_b32 v17, v8
.LBB41_128:                             ;   in Loop: Header=BB41_5 Depth=1
	s_or_b32 exec_lo, exec_lo, s9
	s_waitcnt lgkmcnt(0)
	s_barrier
	buffer_gl0_inv
	s_and_saveexec_b32 s9, s2
	s_cbranch_execz .LBB41_130
; %bb.129:                              ;   in Loop: Header=BB41_5 Depth=1
	ds_read2_b32 v[8:9], v17 offset1:4
	s_waitcnt lgkmcnt(0)
	v_cmp_lt_f32_e32 vcc_lo, v8, v9
	v_cndmask_b32_e32 v8, v8, v9, vcc_lo
	ds_write_b32 v17, v8
.LBB41_130:                             ;   in Loop: Header=BB41_5 Depth=1
	s_or_b32 exec_lo, exec_lo, s9
	s_waitcnt lgkmcnt(0)
	;; [unrolled: 13-line block ×3, first 2 shown]
	s_barrier
	buffer_gl0_inv
	s_and_saveexec_b32 s9, s6
	s_cbranch_execz .LBB41_134
; %bb.133:                              ;   in Loop: Header=BB41_5 Depth=1
	ds_read_b64 v[8:9], v2
	s_waitcnt lgkmcnt(0)
	v_cmp_lt_f32_e32 vcc_lo, v8, v9
	v_cndmask_b32_e32 v8, v8, v9, vcc_lo
	ds_write_b32 v2, v8
.LBB41_134:                             ;   in Loop: Header=BB41_5 Depth=1
	s_or_b32 exec_lo, exec_lo, s9
	s_waitcnt lgkmcnt(0)
	s_barrier
	buffer_gl0_inv
	ds_read_b32 v8, v2
	s_load_dword s9, s[54:55], 0x0
	s_waitcnt lgkmcnt(0)
	v_div_scale_f32 v9, null, s9, s9, v8
	v_rcp_f32_e32 v10, v9
	v_fma_f32 v11, -v9, v10, 1.0
	v_fmac_f32_e32 v10, v11, v10
	v_div_scale_f32 v11, vcc_lo, v8, s9, v8
	v_mul_f32_e32 v12, v11, v10
	v_fma_f32 v13, -v9, v12, v11
	v_fmac_f32_e32 v12, v13, v10
	v_fma_f32 v9, -v9, v12, v11
	v_div_fmas_f32 v9, v9, v10, v12
	v_div_fixup_f32 v22, v9, s9, v8
	s_andn2_b32 vcc_lo, exec_lo, s33
	s_cbranch_vccnz .LBB41_123
.LBB41_135:                             ;   in Loop: Header=BB41_5 Depth=1
	v_cmp_gt_i32_e32 vcc_lo, 32, v7
	v_cndmask_b32_e32 v7, v21, v7, vcc_lo
	v_cmp_gt_i32_e32 vcc_lo, 32, v6
	v_lshlrev_b32_e32 v7, 2, v7
	v_cndmask_b32_e32 v6, v21, v6, vcc_lo
	ds_bpermute_b32 v7, v7, v18
	v_lshlrev_b32_e32 v6, 2, v6
	s_waitcnt lgkmcnt(0)
	v_cmp_lt_f32_e32 vcc_lo, v18, v7
	v_cndmask_b32_e32 v7, v18, v7, vcc_lo
	v_cmp_gt_i32_e32 vcc_lo, 32, v5
	ds_bpermute_b32 v6, v6, v7
	v_cndmask_b32_e32 v5, v21, v5, vcc_lo
	v_lshlrev_b32_e32 v5, 2, v5
	s_waitcnt lgkmcnt(0)
	v_cmp_lt_f32_e32 vcc_lo, v7, v6
	v_cndmask_b32_e32 v6, v7, v6, vcc_lo
	v_cmp_gt_i32_e32 vcc_lo, 32, v4
	ds_bpermute_b32 v5, v5, v6
	v_cndmask_b32_e32 v4, v21, v4, vcc_lo
	;; [unrolled: 7-line block ×4, first 2 shown]
	s_waitcnt lgkmcnt(0)
	v_cmp_lt_f32_e32 vcc_lo, v4, v3
	v_cndmask_b32_e32 v1, v4, v3, vcc_lo
	v_lshlrev_b32_e32 v3, 2, v5
	ds_bpermute_b32 v3, v3, v1
	s_and_saveexec_b32 s9, s0
	s_cbranch_execz .LBB41_137
; %bb.136:                              ;   in Loop: Header=BB41_5 Depth=1
	s_waitcnt lgkmcnt(0)
	v_cmp_lt_f32_e32 vcc_lo, v1, v3
	v_cndmask_b32_e32 v1, v1, v3, vcc_lo
	ds_write_b32 v24, v1
.LBB41_137:                             ;   in Loop: Header=BB41_5 Depth=1
	s_or_b32 exec_lo, exec_lo, s9
	s_waitcnt lgkmcnt(0)
	s_waitcnt_vscnt null, 0x0
	s_barrier
	buffer_gl0_inv
	s_and_saveexec_b32 s9, s1
	s_cbranch_execz .LBB41_139
; %bb.138:                              ;   in Loop: Header=BB41_5 Depth=1
	ds_read2_b32 v[3:4], v17 offset1:8
	s_waitcnt lgkmcnt(0)
	v_cmp_lt_f32_e32 vcc_lo, v3, v4
	v_cndmask_b32_e32 v1, v3, v4, vcc_lo
	ds_write_b32 v17, v1
.LBB41_139:                             ;   in Loop: Header=BB41_5 Depth=1
	s_or_b32 exec_lo, exec_lo, s9
	s_waitcnt lgkmcnt(0)
	s_barrier
	buffer_gl0_inv
	s_and_saveexec_b32 s9, s2
	s_cbranch_execz .LBB41_141
; %bb.140:                              ;   in Loop: Header=BB41_5 Depth=1
	ds_read2_b32 v[3:4], v17 offset1:4
	s_waitcnt lgkmcnt(0)
	v_cmp_lt_f32_e32 vcc_lo, v3, v4
	v_cndmask_b32_e32 v1, v3, v4, vcc_lo
	ds_write_b32 v17, v1
.LBB41_141:                             ;   in Loop: Header=BB41_5 Depth=1
	s_or_b32 exec_lo, exec_lo, s9
	s_waitcnt lgkmcnt(0)
	s_barrier
	buffer_gl0_inv
	s_and_saveexec_b32 s9, s3
	s_cbranch_execz .LBB41_143
; %bb.142:                              ;   in Loop: Header=BB41_5 Depth=1
	ds_read2_b32 v[3:4], v17 offset1:2
	s_waitcnt lgkmcnt(0)
	v_cmp_lt_f32_e32 vcc_lo, v3, v4
	v_cndmask_b32_e32 v1, v3, v4, vcc_lo
	ds_write_b32 v17, v1
.LBB41_143:                             ;   in Loop: Header=BB41_5 Depth=1
	s_or_b32 exec_lo, exec_lo, s9
	s_waitcnt lgkmcnt(0)
	s_barrier
	buffer_gl0_inv
	s_and_saveexec_b32 s9, s6
	s_cbranch_execz .LBB41_145
; %bb.144:                              ;   in Loop: Header=BB41_5 Depth=1
	ds_read_b64 v[3:4], v2
	s_waitcnt lgkmcnt(0)
	v_cmp_lt_f32_e32 vcc_lo, v3, v4
	v_cndmask_b32_e32 v1, v3, v4, vcc_lo
	ds_write_b32 v2, v1
.LBB41_145:                             ;   in Loop: Header=BB41_5 Depth=1
	s_or_b32 exec_lo, exec_lo, s9
	s_waitcnt lgkmcnt(0)
	s_barrier
	buffer_gl0_inv
	ds_read_b32 v1, v2
	s_load_dword s9, s[54:55], 0x0
	s_waitcnt lgkmcnt(0)
	v_div_scale_f32 v3, null, s9, s9, v1
	v_rcp_f32_e32 v4, v3
	v_fma_f32 v5, -v3, v4, 1.0
	v_fmac_f32_e32 v4, v5, v4
	v_div_scale_f32 v5, vcc_lo, v1, s9, v1
	v_mul_f32_e32 v6, v5, v4
	v_fma_f32 v7, -v3, v6, v5
	v_fmac_f32_e32 v6, v7, v4
	v_fma_f32 v3, -v3, v6, v5
	v_div_fmas_f32 v3, v3, v4, v6
	v_div_fixup_f32 v18, v3, s9, v1
	s_and_saveexec_b32 s10, s7
	s_cbranch_execz .LBB41_157
.LBB41_146:                             ;   in Loop: Header=BB41_5 Depth=1
	v_mov_b32_e32 v3, v23
	s_mov_b32 s11, 0
	s_branch .LBB41_148
.LBB41_147:                             ;   in Loop: Header=BB41_148 Depth=2
	s_or_b32 exec_lo, exec_lo, s66
	v_add_nc_u32_e32 v3, 16, v3
	v_cmp_le_u32_e32 vcc_lo, s62, v3
	s_or_b32 s11, vcc_lo, s11
	s_andn2_b32 exec_lo, exec_lo, s11
	s_cbranch_execz .LBB41_157
.LBB41_148:                             ;   Parent Loop BB41_5 Depth=1
                                        ; =>  This Loop Header: Depth=2
                                        ;       Child Loop BB41_151 Depth 3
                                        ;       Child Loop BB41_154 Depth 3
	s_mov_b32 s66, exec_lo
	v_cmpx_gt_i32_e64 s49, v3
	s_cbranch_execz .LBB41_147
; %bb.149:                              ;   in Loop: Header=BB41_148 Depth=2
	v_ashrrev_i32_e32 v4, 31, v3
	s_mov_b32 s67, exec_lo
	v_lshlrev_b64 v[5:6], 2, v[3:4]
	v_add_co_u32 v7, vcc_lo, s20, v5
	v_add_co_ci_u32_e64 v8, null, s21, v6, vcc_lo
	v_add_co_u32 v9, vcc_lo, s22, v5
	v_add_co_ci_u32_e64 v10, null, s23, v6, vcc_lo
	global_load_dword v1, v[7:8], off
	global_load_dword v8, v[9:10], off
	s_waitcnt vmcnt(1)
	v_add_nc_u32_e32 v7, v26, v1
	s_waitcnt vmcnt(0)
	v_subrev_nc_u32_e32 v1, s60, v8
	v_cmpx_lt_i32_e64 v7, v1
	s_cbranch_execz .LBB41_152
; %bb.150:                              ;   in Loop: Header=BB41_148 Depth=2
	v_ashrrev_i32_e32 v8, 31, v7
	s_mov_b32 s68, 0
	v_lshlrev_b64 v[10:11], 3, v[7:8]
	v_add_co_u32 v8, vcc_lo, s52, v10
	v_add_co_ci_u32_e64 v9, null, s53, v11, vcc_lo
	v_add_co_u32 v10, vcc_lo, s26, v10
	v_add_co_ci_u32_e64 v11, null, s27, v11, vcc_lo
	.p2align	6
.LBB41_151:                             ;   Parent Loop BB41_5 Depth=1
                                        ;     Parent Loop BB41_148 Depth=2
                                        ; =>    This Inner Loop Header: Depth=3
	global_load_dwordx2 v[12:13], v[8:9], off
	v_add_nc_u32_e32 v7, 64, v7
	v_add_co_u32 v8, vcc_lo, 0x200, v8
	v_add_co_ci_u32_e64 v9, null, 0, v9, vcc_lo
	v_cmp_ge_i32_e32 vcc_lo, v7, v1
	s_or_b32 s68, vcc_lo, s68
	s_waitcnt vmcnt(0)
	global_store_dwordx2 v[10:11], v[12:13], off
	v_add_co_u32 v10, s9, 0x200, v10
	v_add_co_ci_u32_e64 v11, null, 0, v11, s9
	s_andn2_b32 exec_lo, exec_lo, s68
	s_cbranch_execnz .LBB41_151
.LBB41_152:                             ;   in Loop: Header=BB41_148 Depth=2
	s_or_b32 exec_lo, exec_lo, s67
	v_add_co_u32 v7, vcc_lo, s12, v5
	v_add_co_ci_u32_e64 v8, null, s13, v6, vcc_lo
	v_add_co_u32 v5, vcc_lo, s14, v5
	v_add_co_ci_u32_e64 v6, null, s15, v6, vcc_lo
	global_load_dword v1, v[7:8], off
	global_load_dword v6, v[5:6], off
	s_mov_b32 s67, exec_lo
	s_waitcnt vmcnt(1)
	v_add_nc_u32_e32 v5, v27, v1
	s_waitcnt vmcnt(0)
	v_subrev_nc_u32_e32 v1, s61, v6
	v_cmpx_lt_i32_e64 v5, v1
	s_cbranch_execz .LBB41_155
; %bb.153:                              ;   in Loop: Header=BB41_148 Depth=2
	v_ashrrev_i32_e32 v6, 31, v5
	s_mov_b32 s68, 0
	v_lshlrev_b64 v[8:9], 3, v[5:6]
	v_add_co_u32 v6, vcc_lo, s50, v8
	v_add_co_ci_u32_e64 v7, null, s51, v9, vcc_lo
	v_add_co_u32 v8, vcc_lo, s18, v8
	v_add_co_ci_u32_e64 v9, null, s19, v9, vcc_lo
	.p2align	6
.LBB41_154:                             ;   Parent Loop BB41_5 Depth=1
                                        ;     Parent Loop BB41_148 Depth=2
                                        ; =>    This Inner Loop Header: Depth=3
	global_load_dwordx2 v[10:11], v[6:7], off
	v_add_nc_u32_e32 v5, 64, v5
	v_add_co_u32 v6, vcc_lo, 0x200, v6
	v_add_co_ci_u32_e64 v7, null, 0, v7, vcc_lo
	v_cmp_ge_i32_e32 vcc_lo, v5, v1
	s_or_b32 s68, vcc_lo, s68
	s_waitcnt vmcnt(0)
	global_store_dwordx2 v[8:9], v[10:11], off
	v_add_co_u32 v8, s9, 0x200, v8
	v_add_co_ci_u32_e64 v9, null, 0, v9, s9
	s_andn2_b32 exec_lo, exec_lo, s68
	s_cbranch_execnz .LBB41_154
.LBB41_155:                             ;   in Loop: Header=BB41_148 Depth=2
	s_or_b32 exec_lo, exec_lo, s67
	s_and_b32 exec_lo, exec_lo, s8
	s_cbranch_execz .LBB41_147
; %bb.156:                              ;   in Loop: Header=BB41_148 Depth=2
	v_lshlrev_b64 v[4:5], 3, v[3:4]
	v_add_co_u32 v6, vcc_lo, s46, v4
	v_add_co_ci_u32_e64 v7, null, s47, v5, vcc_lo
	v_add_co_u32 v4, vcc_lo, s44, v4
	v_add_co_ci_u32_e64 v5, null, s45, v5, vcc_lo
	global_load_dwordx2 v[6:7], v[6:7], off
	s_waitcnt vmcnt(0)
	global_store_dwordx2 v[4:5], v[6:7], off
	s_branch .LBB41_147
.LBB41_157:                             ;   in Loop: Header=BB41_5 Depth=1
	s_or_b32 exec_lo, exec_lo, s10
	s_mov_b32 s10, -1
	s_and_b32 vcc_lo, exec_lo, s57
	s_mov_b32 s11, -1
	s_cbranch_vccz .LBB41_167
; %bb.158:                              ;   in Loop: Header=BB41_5 Depth=1
	s_and_b32 vcc_lo, exec_lo, s64
	s_mov_b32 s9, -1
                                        ; implicit-def: $sgpr11
	s_cbranch_vccz .LBB41_164
; %bb.159:                              ;   in Loop: Header=BB41_5 Depth=1
	s_and_b32 vcc_lo, exec_lo, s63
                                        ; implicit-def: $sgpr11
	s_cbranch_vccz .LBB41_161
; %bb.160:                              ;   in Loop: Header=BB41_5 Depth=1
	v_cmp_ge_f32_e64 s11, s48, v18
	s_mov_b32 s9, 0
.LBB41_161:                             ;   in Loop: Header=BB41_5 Depth=1
	s_andn2_b32 vcc_lo, exec_lo, s9
	s_cbranch_vccnz .LBB41_163
; %bb.162:                              ;   in Loop: Header=BB41_5 Depth=1
	v_cmp_ge_f32_e32 vcc_lo, s48, v22
	s_andn2_b32 s9, s11, exec_lo
	s_and_b32 s11, vcc_lo, exec_lo
	s_or_b32 s11, s9, s11
.LBB41_163:                             ;   in Loop: Header=BB41_5 Depth=1
	s_mov_b32 s9, 0
.LBB41_164:                             ;   in Loop: Header=BB41_5 Depth=1
	s_andn2_b32 vcc_lo, exec_lo, s9
	s_cbranch_vccnz .LBB41_166
; %bb.165:                              ;   in Loop: Header=BB41_5 Depth=1
	v_cmp_ge_f32_e32 vcc_lo, s48, v22
	v_cmp_ge_f32_e64 s9, s48, v18
	s_andn2_b32 s11, s11, exec_lo
	s_and_b32 s9, vcc_lo, s9
	s_and_b32 s9, s9, exec_lo
	s_or_b32 s11, s11, s9
.LBB41_166:                             ;   in Loop: Header=BB41_5 Depth=1
	s_xor_b32 s11, s11, -1
.LBB41_167:                             ;   in Loop: Header=BB41_5 Depth=1
	v_mov_b32_e32 v1, s65
	s_and_saveexec_b32 s9, s11
	s_cbranch_execz .LBB41_4
; %bb.168:                              ;   in Loop: Header=BB41_5 Depth=1
	s_add_i32 s65, s65, 1
	v_mov_b32_e32 v1, s35
	s_cmp_eq_u32 s65, s35
	s_cselect_b32 s10, -1, 0
	s_orn2_b32 s10, s10, exec_lo
	s_branch .LBB41_4
.LBB41_169:
	s_or_b32 exec_lo, exec_lo, s34
	s_or_b32 exec_lo, exec_lo, s58
	s_andn2_b32 vcc_lo, exec_lo, s57
	s_cbranch_vccnz .LBB41_2
.LBB41_170:
	v_or_b32_e32 v2, 32, v21
	v_xor_b32_e32 v3, 16, v21
	s_mov_b32 s0, exec_lo
	v_cmp_gt_i32_e32 vcc_lo, 32, v2
	v_cndmask_b32_e32 v2, v21, v2, vcc_lo
	v_cmp_gt_i32_e32 vcc_lo, 32, v3
	v_lshlrev_b32_e32 v2, 2, v2
	v_cndmask_b32_e32 v3, v21, v3, vcc_lo
	ds_bpermute_b32 v2, v2, v1
	v_lshlrev_b32_e32 v3, 2, v3
	s_waitcnt lgkmcnt(0)
	v_max_i32_e32 v1, v1, v2
	ds_bpermute_b32 v2, v3, v1
	v_xor_b32_e32 v3, 8, v21
	v_cmp_gt_i32_e32 vcc_lo, 32, v3
	v_cndmask_b32_e32 v3, v21, v3, vcc_lo
	v_lshlrev_b32_e32 v3, 2, v3
	s_waitcnt lgkmcnt(0)
	v_max_i32_e32 v1, v1, v2
	ds_bpermute_b32 v2, v3, v1
	v_xor_b32_e32 v3, 4, v21
	v_cmp_gt_i32_e32 vcc_lo, 32, v3
	v_cndmask_b32_e32 v3, v21, v3, vcc_lo
	;; [unrolled: 7-line block ×4, first 2 shown]
	s_waitcnt lgkmcnt(0)
	v_max_i32_e32 v1, v1, v2
	v_lshlrev_b32_e32 v2, 2, v3
	ds_bpermute_b32 v2, v2, v1
	v_cmpx_eq_u32_e32 63, v20
	s_cbranch_execz .LBB41_172
; %bb.171:
	v_lshlrev_b32_e32 v3, 2, v19
	s_waitcnt lgkmcnt(0)
	v_max_i32_e32 v1, v1, v2
	ds_write_b32 v3, v1 offset:64
.LBB41_172:
	s_or_b32 exec_lo, exec_lo, s0
	s_mov_b32 s0, exec_lo
	s_waitcnt lgkmcnt(0)
	s_waitcnt_vscnt null, 0x0
	s_barrier
	buffer_gl0_inv
	v_cmpx_gt_u32_e32 8, v0
	s_cbranch_execz .LBB41_174
; %bb.173:
	ds_read2_b32 v[1:2], v17 offset0:16 offset1:24
	s_waitcnt lgkmcnt(0)
	v_max_i32_e32 v1, v1, v2
	ds_write_b32 v17, v1 offset:64
.LBB41_174:
	s_or_b32 exec_lo, exec_lo, s0
	s_mov_b32 s0, exec_lo
	s_waitcnt lgkmcnt(0)
	s_barrier
	buffer_gl0_inv
	v_cmpx_gt_u32_e32 4, v0
	s_cbranch_execz .LBB41_176
; %bb.175:
	ds_read2_b32 v[1:2], v17 offset0:16 offset1:20
	s_waitcnt lgkmcnt(0)
	v_max_i32_e32 v1, v1, v2
	ds_write_b32 v17, v1 offset:64
.LBB41_176:
	s_or_b32 exec_lo, exec_lo, s0
	s_mov_b32 s0, exec_lo
	s_waitcnt lgkmcnt(0)
	s_barrier
	buffer_gl0_inv
	v_cmpx_gt_u32_e32 2, v0
	s_cbranch_execz .LBB41_178
; %bb.177:
	ds_read2_b32 v[1:2], v17 offset0:16 offset1:18
	s_waitcnt lgkmcnt(0)
	v_max_i32_e32 v1, v1, v2
	ds_write_b32 v17, v1 offset:64
.LBB41_178:
	s_or_b32 exec_lo, exec_lo, s0
	v_cmp_eq_u32_e32 vcc_lo, 0, v0
	s_waitcnt lgkmcnt(0)
	s_barrier
	buffer_gl0_inv
	s_and_saveexec_b32 s0, vcc_lo
	s_cbranch_execz .LBB41_180
; %bb.179:
	v_mov_b32_e32 v3, 0
	ds_read_b64 v[1:2], v3 offset:64
	s_waitcnt lgkmcnt(0)
	v_max_i32_e32 v1, v1, v2
	ds_write_b32 v3, v1 offset:64
.LBB41_180:
	s_or_b32 exec_lo, exec_lo, s0
	s_waitcnt lgkmcnt(0)
	s_barrier
	buffer_gl0_inv
	s_and_saveexec_b32 s0, vcc_lo
	s_cbranch_execz .LBB41_183
; %bb.181:
	v_mbcnt_lo_u32_b32 v1, exec_lo, 0
	v_cmp_eq_u32_e32 vcc_lo, 0, v1
	s_and_b32 exec_lo, exec_lo, vcc_lo
	s_cbranch_execz .LBB41_183
; %bb.182:
	v_mov_b32_e32 v1, 0
	s_load_dwordx2 s[2:3], s[4:5], 0x8
	ds_read_b32 v2, v1 offset:64
	s_waitcnt lgkmcnt(0)
	v_add_nc_u32_e32 v2, 1, v2
	global_atomic_smax v1, v2, s[2:3]
.LBB41_183:
	s_or_b32 exec_lo, exec_lo, s0
	v_cmp_eq_u32_e32 vcc_lo, 0, v0
	s_and_b32 s0, vcc_lo, s56
	s_and_saveexec_b32 s1, s0
	s_cbranch_execz .LBB41_190
.LBB41_184:
	v_mov_b32_e32 v0, 0x7fc00000
	s_mov_b32 s0, exec_lo
.LBB41_185:                             ; =>This Inner Loop Header: Depth=1
	s_ff1_i32_b32 s2, s0
	v_max_f32_e32 v0, v0, v0
	v_readlane_b32 s3, v22, s2
	s_lshl_b32 s2, 1, s2
	s_andn2_b32 s0, s0, s2
	s_cmp_lg_u32 s0, 0
	v_max_f32_e64 v1, s3, s3
	v_max_f32_e32 v0, v0, v1
	s_cbranch_scc1 .LBB41_185
; %bb.186:
	v_mbcnt_lo_u32_b32 v1, exec_lo, 0
	s_mov_b32 s2, 0
	s_mov_b32 s3, exec_lo
	v_cmpx_eq_u32_e32 0, v1
	s_xor_b32 s3, exec_lo, s3
	s_cbranch_execz .LBB41_190
; %bb.187:
	v_mov_b32_e32 v2, 0
	v_max_f32_e32 v3, v0, v0
	global_load_dword v1, v2, s[28:29]
.LBB41_188:                             ; =>This Inner Loop Header: Depth=1
	s_waitcnt vmcnt(0)
	v_max_f32_e32 v0, v1, v1
	v_max_f32_e32 v0, v0, v3
	global_atomic_cmpswap v0, v2, v[0:1], s[28:29] glc
	s_waitcnt vmcnt(0)
	v_cmp_eq_u32_e64 s0, v0, v1
	v_mov_b32_e32 v1, v0
	s_or_b32 s2, s0, s2
	s_andn2_b32 exec_lo, exec_lo, s2
	s_cbranch_execnz .LBB41_188
; %bb.189:
	s_or_b32 exec_lo, exec_lo, s2
.LBB41_190:
	s_or_b32 exec_lo, exec_lo, s1
	s_and_b32 s0, vcc_lo, s33
	s_and_saveexec_b32 s1, s0
	s_cbranch_execz .LBB41_196
; %bb.191:
	v_mov_b32_e32 v0, 0x7fc00000
	s_mov_b32 s0, exec_lo
.LBB41_192:                             ; =>This Inner Loop Header: Depth=1
	s_ff1_i32_b32 s1, s0
	v_max_f32_e32 v0, v0, v0
	v_readlane_b32 s2, v18, s1
	s_lshl_b32 s1, 1, s1
	s_andn2_b32 s0, s0, s1
	s_cmp_lg_u32 s0, 0
	v_max_f32_e64 v1, s2, s2
	v_max_f32_e32 v0, v0, v1
	s_cbranch_scc1 .LBB41_192
; %bb.193:
	v_mbcnt_lo_u32_b32 v1, exec_lo, 0
	s_mov_b32 s0, 0
	s_mov_b32 s1, exec_lo
	v_cmpx_eq_u32_e32 0, v1
	s_xor_b32 s1, exec_lo, s1
	s_cbranch_execz .LBB41_196
; %bb.194:
	v_mov_b32_e32 v2, 0
	v_max_f32_e32 v3, v0, v0
	global_load_dword v1, v2, s[30:31]
.LBB41_195:                             ; =>This Inner Loop Header: Depth=1
	s_waitcnt vmcnt(0)
	v_max_f32_e32 v0, v1, v1
	v_max_f32_e32 v0, v0, v3
	global_atomic_cmpswap v0, v2, v[0:1], s[30:31] glc
	s_waitcnt vmcnt(0)
	v_cmp_eq_u32_e32 vcc_lo, v0, v1
	v_mov_b32_e32 v1, v0
	s_or_b32 s0, vcc_lo, s0
	s_andn2_b32 exec_lo, exec_lo, s0
	s_cbranch_execnz .LBB41_195
.LBB41_196:
	s_endpgm
	.section	.rodata,"a",@progbits
	.p2align	6, 0x0
	.amdhsa_kernel _ZN9rocsparseL6kernelILi1024ELi64E21rocsparse_complex_numIfEiiEEvbbbT3_PS3_NS_15floating_traitsIT1_E6data_tES3_T2_PKS9_SB_PKS3_PKS6_21rocsparse_index_base_SB_SB_SD_PS6_SH_SG_SB_SB_SD_SH_SH_SG_SH_SH_PS8_SI_PKS8_
		.amdhsa_group_segment_fixed_size 128
		.amdhsa_private_segment_fixed_size 0
		.amdhsa_kernarg_size 208
		.amdhsa_user_sgpr_count 6
		.amdhsa_user_sgpr_private_segment_buffer 1
		.amdhsa_user_sgpr_dispatch_ptr 0
		.amdhsa_user_sgpr_queue_ptr 0
		.amdhsa_user_sgpr_kernarg_segment_ptr 1
		.amdhsa_user_sgpr_dispatch_id 0
		.amdhsa_user_sgpr_flat_scratch_init 0
		.amdhsa_user_sgpr_private_segment_size 0
		.amdhsa_wavefront_size32 1
		.amdhsa_uses_dynamic_stack 0
		.amdhsa_system_sgpr_private_segment_wavefront_offset 0
		.amdhsa_system_sgpr_workgroup_id_x 1
		.amdhsa_system_sgpr_workgroup_id_y 0
		.amdhsa_system_sgpr_workgroup_id_z 0
		.amdhsa_system_sgpr_workgroup_info 0
		.amdhsa_system_vgpr_workitem_id 0
		.amdhsa_next_free_vgpr 43
		.amdhsa_next_free_sgpr 79
		.amdhsa_reserve_vcc 1
		.amdhsa_reserve_flat_scratch 0
		.amdhsa_float_round_mode_32 0
		.amdhsa_float_round_mode_16_64 0
		.amdhsa_float_denorm_mode_32 3
		.amdhsa_float_denorm_mode_16_64 3
		.amdhsa_dx10_clamp 1
		.amdhsa_ieee_mode 1
		.amdhsa_fp16_overflow 0
		.amdhsa_workgroup_processor_mode 1
		.amdhsa_memory_ordered 1
		.amdhsa_forward_progress 1
		.amdhsa_shared_vgpr_count 0
		.amdhsa_exception_fp_ieee_invalid_op 0
		.amdhsa_exception_fp_denorm_src 0
		.amdhsa_exception_fp_ieee_div_zero 0
		.amdhsa_exception_fp_ieee_overflow 0
		.amdhsa_exception_fp_ieee_underflow 0
		.amdhsa_exception_fp_ieee_inexact 0
		.amdhsa_exception_int_div_zero 0
	.end_amdhsa_kernel
	.section	.text._ZN9rocsparseL6kernelILi1024ELi64E21rocsparse_complex_numIfEiiEEvbbbT3_PS3_NS_15floating_traitsIT1_E6data_tES3_T2_PKS9_SB_PKS3_PKS6_21rocsparse_index_base_SB_SB_SD_PS6_SH_SG_SB_SB_SD_SH_SH_SG_SH_SH_PS8_SI_PKS8_,"axG",@progbits,_ZN9rocsparseL6kernelILi1024ELi64E21rocsparse_complex_numIfEiiEEvbbbT3_PS3_NS_15floating_traitsIT1_E6data_tES3_T2_PKS9_SB_PKS3_PKS6_21rocsparse_index_base_SB_SB_SD_PS6_SH_SG_SB_SB_SD_SH_SH_SG_SH_SH_PS8_SI_PKS8_,comdat
.Lfunc_end41:
	.size	_ZN9rocsparseL6kernelILi1024ELi64E21rocsparse_complex_numIfEiiEEvbbbT3_PS3_NS_15floating_traitsIT1_E6data_tES3_T2_PKS9_SB_PKS3_PKS6_21rocsparse_index_base_SB_SB_SD_PS6_SH_SG_SB_SB_SD_SH_SH_SG_SH_SH_PS8_SI_PKS8_, .Lfunc_end41-_ZN9rocsparseL6kernelILi1024ELi64E21rocsparse_complex_numIfEiiEEvbbbT3_PS3_NS_15floating_traitsIT1_E6data_tES3_T2_PKS9_SB_PKS3_PKS6_21rocsparse_index_base_SB_SB_SD_PS6_SH_SG_SB_SB_SD_SH_SH_SG_SH_SH_PS8_SI_PKS8_
                                        ; -- End function
	.set _ZN9rocsparseL6kernelILi1024ELi64E21rocsparse_complex_numIfEiiEEvbbbT3_PS3_NS_15floating_traitsIT1_E6data_tES3_T2_PKS9_SB_PKS3_PKS6_21rocsparse_index_base_SB_SB_SD_PS6_SH_SG_SB_SB_SD_SH_SH_SG_SH_SH_PS8_SI_PKS8_.num_vgpr, 43
	.set _ZN9rocsparseL6kernelILi1024ELi64E21rocsparse_complex_numIfEiiEEvbbbT3_PS3_NS_15floating_traitsIT1_E6data_tES3_T2_PKS9_SB_PKS3_PKS6_21rocsparse_index_base_SB_SB_SD_PS6_SH_SG_SB_SB_SD_SH_SH_SG_SH_SH_PS8_SI_PKS8_.num_agpr, 0
	.set _ZN9rocsparseL6kernelILi1024ELi64E21rocsparse_complex_numIfEiiEEvbbbT3_PS3_NS_15floating_traitsIT1_E6data_tES3_T2_PKS9_SB_PKS3_PKS6_21rocsparse_index_base_SB_SB_SD_PS6_SH_SG_SB_SB_SD_SH_SH_SG_SH_SH_PS8_SI_PKS8_.numbered_sgpr, 79
	.set _ZN9rocsparseL6kernelILi1024ELi64E21rocsparse_complex_numIfEiiEEvbbbT3_PS3_NS_15floating_traitsIT1_E6data_tES3_T2_PKS9_SB_PKS3_PKS6_21rocsparse_index_base_SB_SB_SD_PS6_SH_SG_SB_SB_SD_SH_SH_SG_SH_SH_PS8_SI_PKS8_.num_named_barrier, 0
	.set _ZN9rocsparseL6kernelILi1024ELi64E21rocsparse_complex_numIfEiiEEvbbbT3_PS3_NS_15floating_traitsIT1_E6data_tES3_T2_PKS9_SB_PKS3_PKS6_21rocsparse_index_base_SB_SB_SD_PS6_SH_SG_SB_SB_SD_SH_SH_SG_SH_SH_PS8_SI_PKS8_.private_seg_size, 0
	.set _ZN9rocsparseL6kernelILi1024ELi64E21rocsparse_complex_numIfEiiEEvbbbT3_PS3_NS_15floating_traitsIT1_E6data_tES3_T2_PKS9_SB_PKS3_PKS6_21rocsparse_index_base_SB_SB_SD_PS6_SH_SG_SB_SB_SD_SH_SH_SG_SH_SH_PS8_SI_PKS8_.uses_vcc, 1
	.set _ZN9rocsparseL6kernelILi1024ELi64E21rocsparse_complex_numIfEiiEEvbbbT3_PS3_NS_15floating_traitsIT1_E6data_tES3_T2_PKS9_SB_PKS3_PKS6_21rocsparse_index_base_SB_SB_SD_PS6_SH_SG_SB_SB_SD_SH_SH_SG_SH_SH_PS8_SI_PKS8_.uses_flat_scratch, 0
	.set _ZN9rocsparseL6kernelILi1024ELi64E21rocsparse_complex_numIfEiiEEvbbbT3_PS3_NS_15floating_traitsIT1_E6data_tES3_T2_PKS9_SB_PKS3_PKS6_21rocsparse_index_base_SB_SB_SD_PS6_SH_SG_SB_SB_SD_SH_SH_SG_SH_SH_PS8_SI_PKS8_.has_dyn_sized_stack, 0
	.set _ZN9rocsparseL6kernelILi1024ELi64E21rocsparse_complex_numIfEiiEEvbbbT3_PS3_NS_15floating_traitsIT1_E6data_tES3_T2_PKS9_SB_PKS3_PKS6_21rocsparse_index_base_SB_SB_SD_PS6_SH_SG_SB_SB_SD_SH_SH_SG_SH_SH_PS8_SI_PKS8_.has_recursion, 0
	.set _ZN9rocsparseL6kernelILi1024ELi64E21rocsparse_complex_numIfEiiEEvbbbT3_PS3_NS_15floating_traitsIT1_E6data_tES3_T2_PKS9_SB_PKS3_PKS6_21rocsparse_index_base_SB_SB_SD_PS6_SH_SG_SB_SB_SD_SH_SH_SG_SH_SH_PS8_SI_PKS8_.has_indirect_call, 0
	.section	.AMDGPU.csdata,"",@progbits
; Kernel info:
; codeLenInByte = 8876
; TotalNumSgprs: 81
; NumVgprs: 43
; ScratchSize: 0
; MemoryBound: 0
; FloatMode: 240
; IeeeMode: 1
; LDSByteSize: 128 bytes/workgroup (compile time only)
; SGPRBlocks: 0
; VGPRBlocks: 5
; NumSGPRsForWavesPerEU: 81
; NumVGPRsForWavesPerEU: 43
; Occupancy: 16
; WaveLimiterHint : 1
; COMPUTE_PGM_RSRC2:SCRATCH_EN: 0
; COMPUTE_PGM_RSRC2:USER_SGPR: 6
; COMPUTE_PGM_RSRC2:TRAP_HANDLER: 0
; COMPUTE_PGM_RSRC2:TGID_X_EN: 1
; COMPUTE_PGM_RSRC2:TGID_Y_EN: 0
; COMPUTE_PGM_RSRC2:TGID_Z_EN: 0
; COMPUTE_PGM_RSRC2:TIDIG_COMP_CNT: 0
	.section	.text._ZN9rocsparseL14kernel_freerunILi1024ELi1E21rocsparse_complex_numIdEiiEEvT3_S3_T2_PKS4_S6_PKS3_PKT1_21rocsparse_index_base_S6_S6_S8_PS9_SD_SC_S6_S6_S8_SD_SD_SC_SD_SD_,"axG",@progbits,_ZN9rocsparseL14kernel_freerunILi1024ELi1E21rocsparse_complex_numIdEiiEEvT3_S3_T2_PKS4_S6_PKS3_PKT1_21rocsparse_index_base_S6_S6_S8_PS9_SD_SC_S6_S6_S8_SD_SD_SC_SD_SD_,comdat
	.globl	_ZN9rocsparseL14kernel_freerunILi1024ELi1E21rocsparse_complex_numIdEiiEEvT3_S3_T2_PKS4_S6_PKS3_PKT1_21rocsparse_index_base_S6_S6_S8_PS9_SD_SC_S6_S6_S8_SD_SD_SC_SD_SD_ ; -- Begin function _ZN9rocsparseL14kernel_freerunILi1024ELi1E21rocsparse_complex_numIdEiiEEvT3_S3_T2_PKS4_S6_PKS3_PKT1_21rocsparse_index_base_S6_S6_S8_PS9_SD_SC_S6_S6_S8_SD_SD_SC_SD_SD_
	.p2align	8
	.type	_ZN9rocsparseL14kernel_freerunILi1024ELi1E21rocsparse_complex_numIdEiiEEvT3_S3_T2_PKS4_S6_PKS3_PKT1_21rocsparse_index_base_S6_S6_S8_PS9_SD_SC_S6_S6_S8_SD_SD_SC_SD_SD_,@function
_ZN9rocsparseL14kernel_freerunILi1024ELi1E21rocsparse_complex_numIdEiiEEvT3_S3_T2_PKS4_S6_PKS3_PKT1_21rocsparse_index_base_S6_S6_S8_PS9_SD_SC_S6_S6_S8_SD_SD_SC_SD_SD_: ; @_ZN9rocsparseL14kernel_freerunILi1024ELi1E21rocsparse_complex_numIdEiiEEvT3_S3_T2_PKS4_S6_PKS3_PKT1_21rocsparse_index_base_S6_S6_S8_PS9_SD_SC_S6_S6_S8_SD_SD_SC_SD_SD_
; %bb.0:
	s_load_dwordx2 s[34:35], s[4:5], 0x0
	s_lshl_b32 s40, s6, 10
	s_mov_b32 s33, 0
	v_or_b32_e32 v4, s40, v0
	s_waitcnt lgkmcnt(0)
	v_cmp_gt_i32_e32 vcc_lo, s35, v4
	s_cmp_gt_i32 s34, 0
	s_cselect_b32 s0, -1, 0
	s_and_b32 s0, vcc_lo, s0
	s_and_saveexec_b32 s1, s0
	s_cbranch_execz .LBB42_68
; %bb.1:
	s_clause 0x1
	s_load_dwordx8 s[8:15], s[4:5], 0x38
	s_load_dwordx8 s[16:23], s[4:5], 0x10
	v_ashrrev_i32_e32 v5, 31, v4
	s_addk_i32 s40, 0x400
	v_cmp_gt_u32_e64 s0, s40, v4
	v_lshlrev_b64 v[0:1], 2, v[4:5]
	s_waitcnt lgkmcnt(0)
	v_add_co_u32 v2, vcc_lo, s8, v0
	v_add_co_ci_u32_e64 v3, null, s9, v1, vcc_lo
	v_add_co_u32 v5, vcc_lo, s10, v0
	v_add_co_ci_u32_e64 v6, null, s11, v1, vcc_lo
	global_load_dword v7, v[2:3], off
	v_add_co_u32 v2, vcc_lo, s16, v0
	v_add_co_ci_u32_e64 v3, null, s17, v1, vcc_lo
	v_add_co_u32 v0, vcc_lo, s18, v0
	v_add_co_ci_u32_e64 v1, null, s19, v1, vcc_lo
	global_load_dword v8, v[5:6], off
	global_load_dword v2, v[2:3], off
	;; [unrolled: 1-line block ×3, first 2 shown]
	s_clause 0x6
	s_load_dword s38, s[4:5], 0x60
	s_load_dword s39, s[4:5], 0x30
	s_load_dwordx2 s[6:7], s[4:5], 0x58
	s_load_dwordx4 s[16:19], s[4:5], 0x98
	s_load_dwordx8 s[24:31], s[4:5], 0x68
	s_load_dwordx2 s[36:37], s[4:5], 0x88
	s_load_dword s4, s[4:5], 0x90
	s_waitcnt vmcnt(3) lgkmcnt(0)
	v_subrev_nc_u32_e32 v5, s38, v7
	v_ashrrev_i32_e32 v6, 31, v5
	s_waitcnt vmcnt(2)
	v_sub_nc_u32_e32 v24, v8, v7
	s_waitcnt vmcnt(1)
	v_subrev_nc_u32_e32 v25, s39, v2
	v_lshlrev_b64 v[0:1], 2, v[5:6]
	s_waitcnt vmcnt(0)
	v_subrev_nc_u32_e32 v26, s39, v3
	v_cmp_lt_i32_e64 s1, v2, v3
	v_lshlrev_b64 v[2:3], 4, v[5:6]
	v_cmp_lt_i32_e64 s2, 0, v24
	v_mov_b32_e32 v7, 0
	v_add_co_u32 v27, vcc_lo, s12, v0
	v_add_co_ci_u32_e64 v28, null, s13, v1, vcc_lo
	v_add_co_u32 v29, vcc_lo, s14, v2
	v_add_co_ci_u32_e64 v30, null, s15, v3, vcc_lo
	s_branch .LBB42_3
.LBB42_2:                               ;   in Loop: Header=BB42_3 Depth=1
	s_or_b32 exec_lo, exec_lo, s5
	s_add_i32 s33, s33, 1
	s_cmp_eq_u32 s33, s34
	s_cbranch_scc1 .LBB42_68
.LBB42_3:                               ; =>This Loop Header: Depth=1
                                        ;     Child Loop BB42_6 Depth 2
                                        ;       Child Loop BB42_10 Depth 3
                                        ;       Child Loop BB42_40 Depth 3
	;; [unrolled: 1-line block ×3, first 2 shown]
                                        ;     Child Loop BB42_61 Depth 2
                                        ;       Child Loop BB42_64 Depth 3
                                        ;       Child Loop BB42_67 Depth 3
	s_and_saveexec_b32 s5, s1
	s_cbranch_execz .LBB42_57
; %bb.4:                                ;   in Loop: Header=BB42_3 Depth=1
	v_mov_b32_e32 v8, v25
	s_mov_b32 s41, 0
	s_branch .LBB42_6
.LBB42_5:                               ;   in Loop: Header=BB42_6 Depth=2
	s_or_b32 exec_lo, exec_lo, s42
	v_add_nc_u32_e32 v8, 1, v8
	v_cmp_ge_i32_e32 vcc_lo, v8, v26
	s_or_b32 s41, vcc_lo, s41
	s_andn2_b32 exec_lo, exec_lo, s41
	s_cbranch_execz .LBB42_57
.LBB42_6:                               ;   Parent Loop BB42_3 Depth=1
                                        ; =>  This Loop Header: Depth=2
                                        ;       Child Loop BB42_10 Depth 3
                                        ;       Child Loop BB42_40 Depth 3
	;; [unrolled: 1-line block ×3, first 2 shown]
	v_ashrrev_i32_e32 v9, 31, v8
	v_mov_b32_e32 v6, 0
	v_lshlrev_b64 v[0:1], 2, v[8:9]
	v_mov_b32_e32 v15, v6
	v_add_co_u32 v0, vcc_lo, s20, v0
	v_add_co_ci_u32_e64 v1, null, s21, v1, vcc_lo
	global_load_dword v0, v[0:1], off
	s_waitcnt vmcnt(0)
	v_subrev_nc_u32_e32 v10, s39, v0
	v_ashrrev_i32_e32 v11, 31, v10
	v_lshlrev_b64 v[0:1], 2, v[10:11]
	v_add_co_u32 v2, vcc_lo, s24, v0
	v_add_co_ci_u32_e64 v3, null, s25, v1, vcc_lo
	v_add_co_u32 v0, vcc_lo, s26, v0
	v_add_co_ci_u32_e64 v1, null, s27, v1, vcc_lo
	global_load_dword v12, v[2:3], off
	global_load_dword v13, v[0:1], off
	v_mov_b32_e32 v0, 0
	v_mov_b32_e32 v2, 0
	;; [unrolled: 1-line block ×4, first 2 shown]
	s_waitcnt vmcnt(1)
	v_subrev_nc_u32_e32 v14, s4, v12
	s_waitcnt vmcnt(0)
	v_sub_nc_u32_e32 v31, v13, v12
	s_and_saveexec_b32 s42, s2
	s_cbranch_execz .LBB42_14
; %bb.7:                                ;   in Loop: Header=BB42_6 Depth=2
	v_ashrrev_i32_e32 v15, 31, v14
	v_mov_b32_e32 v0, 0
	v_mov_b32_e32 v1, 0
	;; [unrolled: 1-line block ×3, first 2 shown]
	s_mov_b32 s43, 0
	v_lshlrev_b64 v[2:3], 2, v[14:15]
	v_lshlrev_b64 v[15:16], 4, v[14:15]
                                        ; implicit-def: $sgpr44
	v_add_co_u32 v12, vcc_lo, s28, v2
	v_add_co_ci_u32_e64 v13, null, s29, v3, vcc_lo
	v_add_co_u32 v17, vcc_lo, s30, v15
	v_mov_b32_e32 v2, 0
	v_add_co_ci_u32_e64 v18, null, s31, v16, vcc_lo
	v_mov_b32_e32 v15, 0
	v_mov_b32_e32 v3, 0
	s_branch .LBB42_10
.LBB42_8:                               ;   in Loop: Header=BB42_10 Depth=3
	s_or_b32 exec_lo, exec_lo, s3
	v_cmp_le_i32_e32 vcc_lo, v19, v20
	v_cmp_ge_i32_e64 s3, v19, v20
	v_add_co_ci_u32_e64 v6, null, 0, v6, vcc_lo
	v_add_co_ci_u32_e64 v15, null, 0, v15, s3
	s_andn2_b32 s3, s44, exec_lo
	v_cmp_ge_i32_e32 vcc_lo, v6, v24
	s_and_b32 s44, vcc_lo, exec_lo
	s_or_b32 s44, s3, s44
.LBB42_9:                               ;   in Loop: Header=BB42_10 Depth=3
	s_or_b32 exec_lo, exec_lo, s45
	s_and_b32 s3, exec_lo, s44
	s_or_b32 s43, s3, s43
	s_andn2_b32 exec_lo, exec_lo, s43
	s_cbranch_execz .LBB42_13
.LBB42_10:                              ;   Parent Loop BB42_3 Depth=1
                                        ;     Parent Loop BB42_6 Depth=2
                                        ; =>    This Inner Loop Header: Depth=3
	s_or_b32 s44, s44, exec_lo
	s_mov_b32 s45, exec_lo
	v_cmpx_lt_i32_e64 v15, v31
	s_cbranch_execz .LBB42_9
; %bb.11:                               ;   in Loop: Header=BB42_10 Depth=3
	v_mov_b32_e32 v16, v7
	v_lshlrev_b64 v[19:20], 2, v[6:7]
	s_mov_b32 s3, exec_lo
	v_lshlrev_b64 v[21:22], 2, v[15:16]
	v_add_co_u32 v19, vcc_lo, v27, v19
	v_add_co_ci_u32_e64 v20, null, v28, v20, vcc_lo
	v_add_co_u32 v21, vcc_lo, v12, v21
	v_add_co_ci_u32_e64 v22, null, v13, v22, vcc_lo
	global_load_dword v19, v[19:20], off
	global_load_dword v20, v[21:22], off
	s_waitcnt vmcnt(1)
	v_subrev_nc_u32_e32 v19, s38, v19
	s_waitcnt vmcnt(0)
	v_subrev_nc_u32_e32 v20, s4, v20
	v_cmpx_eq_u32_e64 v19, v20
	s_cbranch_execz .LBB42_8
; %bb.12:                               ;   in Loop: Header=BB42_10 Depth=3
	v_lshlrev_b64 v[21:22], 4, v[6:7]
	v_lshlrev_b64 v[32:33], 4, v[15:16]
	v_add_co_u32 v21, vcc_lo, v29, v21
	v_add_co_ci_u32_e64 v22, null, v30, v22, vcc_lo
	v_add_co_u32 v36, vcc_lo, v17, v32
	v_add_co_ci_u32_e64 v37, null, v18, v33, vcc_lo
	global_load_dwordx4 v[32:35], v[21:22], off
	global_load_dwordx4 v[36:39], v[36:37], off
	s_waitcnt vmcnt(0)
	v_fma_f64 v[0:1], v[32:33], v[36:37], v[0:1]
	v_fma_f64 v[2:3], v[34:35], v[36:37], v[2:3]
	v_fma_f64 v[0:1], -v[34:35], v[38:39], v[0:1]
	v_fma_f64 v[2:3], v[32:33], v[38:39], v[2:3]
	s_branch .LBB42_8
.LBB42_13:                              ;   in Loop: Header=BB42_6 Depth=2
	s_or_b32 exec_lo, exec_lo, s43
.LBB42_14:                              ;   in Loop: Header=BB42_6 Depth=2
	s_or_b32 exec_lo, exec_lo, s42
	v_lshlrev_b64 v[12:13], 4, v[8:9]
	v_cmp_le_i32_e64 s3, v4, v10
	s_mov_b32 s42, exec_lo
	v_add_co_u32 v12, vcc_lo, s22, v12
	v_add_co_ci_u32_e64 v13, null, s23, v13, vcc_lo
	global_load_dwordx4 v[16:19], v[12:13], off
	s_waitcnt vmcnt(0)
	v_add_f64 v[16:17], v[16:17], -v[0:1]
	v_add_f64 v[12:13], v[18:19], -v[2:3]
	v_cmpx_gt_i32_e64 v4, v10
	s_cbranch_execz .LBB42_24
; %bb.15:                               ;   in Loop: Header=BB42_6 Depth=2
	v_lshlrev_b64 v[0:1], 4, v[10:11]
	s_mov_b32 s43, exec_lo
                                        ; implicit-def: $vgpr22_vgpr23
	v_add_co_u32 v0, vcc_lo, s16, v0
	v_add_co_ci_u32_e64 v1, null, s17, v1, vcc_lo
	global_load_dwordx4 v[0:3], v[0:1], off
	s_waitcnt vmcnt(0)
	v_cmp_gt_f64_e32 vcc_lo, 0, v[0:1]
	v_xor_b32_e32 v9, 0x80000000, v1
	v_xor_b32_e32 v20, 0x80000000, v3
	v_mov_b32_e32 v18, v0
	v_cndmask_b32_e32 v19, v1, v9, vcc_lo
	v_cmp_gt_f64_e32 vcc_lo, 0, v[2:3]
	v_cndmask_b32_e32 v21, v3, v20, vcc_lo
	v_mov_b32_e32 v20, v2
	v_cmpx_ngt_f64_e32 v[18:19], v[20:21]
	s_xor_b32 s43, exec_lo, s43
	s_cbranch_execz .LBB42_19
; %bb.16:                               ;   in Loop: Header=BB42_6 Depth=2
	v_mov_b32_e32 v22, 0
	v_mov_b32_e32 v23, 0
	s_mov_b32 s44, exec_lo
	v_cmpx_neq_f64_e32 0, v[2:3]
	s_cbranch_execz .LBB42_18
; %bb.17:                               ;   in Loop: Header=BB42_6 Depth=2
	v_div_scale_f64 v[22:23], null, v[20:21], v[20:21], v[18:19]
	v_div_scale_f64 v[36:37], vcc_lo, v[18:19], v[20:21], v[18:19]
	v_rcp_f64_e32 v[32:33], v[22:23]
	v_fma_f64 v[34:35], -v[22:23], v[32:33], 1.0
	v_fma_f64 v[32:33], v[32:33], v[34:35], v[32:33]
	v_fma_f64 v[34:35], -v[22:23], v[32:33], 1.0
	v_fma_f64 v[32:33], v[32:33], v[34:35], v[32:33]
	v_mul_f64 v[34:35], v[36:37], v[32:33]
	v_fma_f64 v[22:23], -v[22:23], v[34:35], v[36:37]
	v_div_fmas_f64 v[22:23], v[22:23], v[32:33], v[34:35]
	v_div_fixup_f64 v[18:19], v[22:23], v[20:21], v[18:19]
	v_fma_f64 v[18:19], v[18:19], v[18:19], 1.0
	v_cmp_gt_f64_e32 vcc_lo, 0x10000000, v[18:19]
	v_cndmask_b32_e64 v9, 0, 0x100, vcc_lo
	v_ldexp_f64 v[18:19], v[18:19], v9
	v_cndmask_b32_e64 v9, 0, 0xffffff80, vcc_lo
	v_rsq_f64_e32 v[22:23], v[18:19]
	v_cmp_class_f64_e64 vcc_lo, v[18:19], 0x260
	v_mul_f64 v[32:33], v[18:19], v[22:23]
	v_mul_f64 v[22:23], v[22:23], 0.5
	v_fma_f64 v[34:35], -v[22:23], v[32:33], 0.5
	v_fma_f64 v[32:33], v[32:33], v[34:35], v[32:33]
	v_fma_f64 v[22:23], v[22:23], v[34:35], v[22:23]
	v_fma_f64 v[34:35], -v[32:33], v[32:33], v[18:19]
	v_fma_f64 v[32:33], v[34:35], v[22:23], v[32:33]
	v_fma_f64 v[34:35], -v[32:33], v[32:33], v[18:19]
	v_fma_f64 v[22:23], v[34:35], v[22:23], v[32:33]
	v_ldexp_f64 v[22:23], v[22:23], v9
	v_cndmask_b32_e32 v19, v23, v19, vcc_lo
	v_cndmask_b32_e32 v18, v22, v18, vcc_lo
	v_mul_f64 v[22:23], v[20:21], v[18:19]
.LBB42_18:                              ;   in Loop: Header=BB42_6 Depth=2
	s_or_b32 exec_lo, exec_lo, s44
                                        ; implicit-def: $vgpr18_vgpr19
                                        ; implicit-def: $vgpr20_vgpr21
.LBB42_19:                              ;   in Loop: Header=BB42_6 Depth=2
	s_andn2_saveexec_b32 s43, s43
	s_cbranch_execz .LBB42_21
; %bb.20:                               ;   in Loop: Header=BB42_6 Depth=2
	v_div_scale_f64 v[22:23], null, v[18:19], v[18:19], v[20:21]
	v_div_scale_f64 v[36:37], vcc_lo, v[20:21], v[18:19], v[20:21]
	v_rcp_f64_e32 v[32:33], v[22:23]
	v_fma_f64 v[34:35], -v[22:23], v[32:33], 1.0
	v_fma_f64 v[32:33], v[32:33], v[34:35], v[32:33]
	v_fma_f64 v[34:35], -v[22:23], v[32:33], 1.0
	v_fma_f64 v[32:33], v[32:33], v[34:35], v[32:33]
	v_mul_f64 v[34:35], v[36:37], v[32:33]
	v_fma_f64 v[22:23], -v[22:23], v[34:35], v[36:37]
	v_div_fmas_f64 v[22:23], v[22:23], v[32:33], v[34:35]
	v_div_fixup_f64 v[20:21], v[22:23], v[18:19], v[20:21]
	v_fma_f64 v[20:21], v[20:21], v[20:21], 1.0
	v_cmp_gt_f64_e32 vcc_lo, 0x10000000, v[20:21]
	v_cndmask_b32_e64 v9, 0, 0x100, vcc_lo
	v_ldexp_f64 v[20:21], v[20:21], v9
	v_cndmask_b32_e64 v9, 0, 0xffffff80, vcc_lo
	v_rsq_f64_e32 v[22:23], v[20:21]
	v_cmp_class_f64_e64 vcc_lo, v[20:21], 0x260
	v_mul_f64 v[32:33], v[20:21], v[22:23]
	v_mul_f64 v[22:23], v[22:23], 0.5
	v_fma_f64 v[34:35], -v[22:23], v[32:33], 0.5
	v_fma_f64 v[32:33], v[32:33], v[34:35], v[32:33]
	v_fma_f64 v[22:23], v[22:23], v[34:35], v[22:23]
	v_fma_f64 v[34:35], -v[32:33], v[32:33], v[20:21]
	v_fma_f64 v[32:33], v[34:35], v[22:23], v[32:33]
	v_fma_f64 v[34:35], -v[32:33], v[32:33], v[20:21]
	v_fma_f64 v[22:23], v[34:35], v[22:23], v[32:33]
	v_ldexp_f64 v[22:23], v[22:23], v9
	v_cndmask_b32_e32 v21, v23, v21, vcc_lo
	v_cndmask_b32_e32 v20, v22, v20, vcc_lo
	v_mul_f64 v[22:23], v[18:19], v[20:21]
.LBB42_21:                              ;   in Loop: Header=BB42_6 Depth=2
	s_or_b32 exec_lo, exec_lo, s43
	v_mov_b32_e32 v18, 0
	v_mov_b32_e32 v20, 0
	;; [unrolled: 1-line block ×4, first 2 shown]
	s_mov_b32 s43, exec_lo
	v_cmpx_lt_f64_e32 0, v[22:23]
	s_cbranch_execz .LBB42_23
; %bb.22:                               ;   in Loop: Header=BB42_6 Depth=2
	v_mul_f64 v[18:19], v[2:3], v[2:3]
	v_fma_f64 v[18:19], v[0:1], v[0:1], v[18:19]
	v_div_scale_f64 v[20:21], null, v[18:19], v[18:19], 1.0
	v_div_scale_f64 v[34:35], vcc_lo, 1.0, v[18:19], 1.0
	v_rcp_f64_e32 v[22:23], v[20:21]
	v_fma_f64 v[32:33], -v[20:21], v[22:23], 1.0
	v_fma_f64 v[22:23], v[22:23], v[32:33], v[22:23]
	v_fma_f64 v[32:33], -v[20:21], v[22:23], 1.0
	v_fma_f64 v[22:23], v[22:23], v[32:33], v[22:23]
	v_mul_f64 v[32:33], v[34:35], v[22:23]
	v_fma_f64 v[20:21], -v[20:21], v[32:33], v[34:35]
	v_mul_f64 v[34:35], v[12:13], v[2:3]
	v_mul_f64 v[2:3], v[2:3], -v[16:17]
	v_div_fmas_f64 v[20:21], v[20:21], v[22:23], v[32:33]
	v_fma_f64 v[16:17], v[16:17], v[0:1], v[34:35]
	v_fma_f64 v[0:1], v[12:13], v[0:1], v[2:3]
	v_div_fixup_f64 v[20:21], v[20:21], v[18:19], 1.0
	v_mul_f64 v[18:19], v[16:17], v[20:21]
	v_mul_f64 v[20:21], v[0:1], v[20:21]
.LBB42_23:                              ;   in Loop: Header=BB42_6 Depth=2
	s_or_b32 exec_lo, exec_lo, s43
	v_mov_b32_e32 v16, v18
	v_mov_b32_e32 v12, v20
	v_mov_b32_e32 v17, v19
	v_mov_b32_e32 v13, v21
.LBB42_24:                              ;   in Loop: Header=BB42_6 Depth=2
	s_or_b32 exec_lo, exec_lo, s42
	v_cmp_gt_f64_e32 vcc_lo, 0, v[16:17]
	v_xor_b32_e32 v1, 0x80000000, v17
	v_xor_b32_e32 v2, 0x80000000, v13
	v_mov_b32_e32 v0, v16
	s_mov_b32 s42, exec_lo
                                        ; implicit-def: $vgpr18_vgpr19
	v_cndmask_b32_e32 v1, v17, v1, vcc_lo
	v_cmp_gt_f64_e32 vcc_lo, 0, v[12:13]
	v_cndmask_b32_e32 v3, v13, v2, vcc_lo
	v_mov_b32_e32 v2, v12
	v_cmpx_ngt_f64_e32 v[0:1], v[2:3]
	s_xor_b32 s42, exec_lo, s42
	s_cbranch_execnz .LBB42_27
; %bb.25:                               ;   in Loop: Header=BB42_6 Depth=2
	s_andn2_saveexec_b32 s42, s42
	s_cbranch_execnz .LBB42_30
.LBB42_26:                              ;   in Loop: Header=BB42_6 Depth=2
	s_or_b32 exec_lo, exec_lo, s42
	v_cmp_class_f64_e64 s43, v[18:19], 0x1f8
	s_and_saveexec_b32 s42, s43
	s_cbranch_execz .LBB42_5
	s_branch .LBB42_31
.LBB42_27:                              ;   in Loop: Header=BB42_6 Depth=2
	v_mov_b32_e32 v18, 0
	v_mov_b32_e32 v19, 0
	s_mov_b32 s43, exec_lo
	v_cmpx_neq_f64_e32 0, v[12:13]
	s_cbranch_execz .LBB42_29
; %bb.28:                               ;   in Loop: Header=BB42_6 Depth=2
	v_div_scale_f64 v[18:19], null, v[2:3], v[2:3], v[0:1]
	v_div_scale_f64 v[32:33], vcc_lo, v[0:1], v[2:3], v[0:1]
	v_rcp_f64_e32 v[20:21], v[18:19]
	v_fma_f64 v[22:23], -v[18:19], v[20:21], 1.0
	v_fma_f64 v[20:21], v[20:21], v[22:23], v[20:21]
	v_fma_f64 v[22:23], -v[18:19], v[20:21], 1.0
	v_fma_f64 v[20:21], v[20:21], v[22:23], v[20:21]
	v_mul_f64 v[22:23], v[32:33], v[20:21]
	v_fma_f64 v[18:19], -v[18:19], v[22:23], v[32:33]
	v_div_fmas_f64 v[18:19], v[18:19], v[20:21], v[22:23]
	v_div_fixup_f64 v[0:1], v[18:19], v[2:3], v[0:1]
	v_fma_f64 v[0:1], v[0:1], v[0:1], 1.0
	v_cmp_gt_f64_e32 vcc_lo, 0x10000000, v[0:1]
	v_cndmask_b32_e64 v9, 0, 0x100, vcc_lo
	v_ldexp_f64 v[0:1], v[0:1], v9
	v_cndmask_b32_e64 v9, 0, 0xffffff80, vcc_lo
	v_rsq_f64_e32 v[18:19], v[0:1]
	v_cmp_class_f64_e64 vcc_lo, v[0:1], 0x260
	v_mul_f64 v[20:21], v[0:1], v[18:19]
	v_mul_f64 v[18:19], v[18:19], 0.5
	v_fma_f64 v[22:23], -v[18:19], v[20:21], 0.5
	v_fma_f64 v[20:21], v[20:21], v[22:23], v[20:21]
	v_fma_f64 v[18:19], v[18:19], v[22:23], v[18:19]
	v_fma_f64 v[22:23], -v[20:21], v[20:21], v[0:1]
	v_fma_f64 v[20:21], v[22:23], v[18:19], v[20:21]
	v_fma_f64 v[22:23], -v[20:21], v[20:21], v[0:1]
	v_fma_f64 v[18:19], v[22:23], v[18:19], v[20:21]
	v_ldexp_f64 v[18:19], v[18:19], v9
	v_cndmask_b32_e32 v1, v19, v1, vcc_lo
	v_cndmask_b32_e32 v0, v18, v0, vcc_lo
	v_mul_f64 v[18:19], v[2:3], v[0:1]
.LBB42_29:                              ;   in Loop: Header=BB42_6 Depth=2
	s_or_b32 exec_lo, exec_lo, s43
                                        ; implicit-def: $vgpr0_vgpr1
                                        ; implicit-def: $vgpr2_vgpr3
	s_andn2_saveexec_b32 s42, s42
	s_cbranch_execz .LBB42_26
.LBB42_30:                              ;   in Loop: Header=BB42_6 Depth=2
	v_div_scale_f64 v[18:19], null, v[0:1], v[0:1], v[2:3]
	v_div_scale_f64 v[32:33], vcc_lo, v[2:3], v[0:1], v[2:3]
	v_rcp_f64_e32 v[20:21], v[18:19]
	v_fma_f64 v[22:23], -v[18:19], v[20:21], 1.0
	v_fma_f64 v[20:21], v[20:21], v[22:23], v[20:21]
	v_fma_f64 v[22:23], -v[18:19], v[20:21], 1.0
	v_fma_f64 v[20:21], v[20:21], v[22:23], v[20:21]
	v_mul_f64 v[22:23], v[32:33], v[20:21]
	v_fma_f64 v[18:19], -v[18:19], v[22:23], v[32:33]
	v_div_fmas_f64 v[18:19], v[18:19], v[20:21], v[22:23]
	v_div_fixup_f64 v[2:3], v[18:19], v[0:1], v[2:3]
	v_fma_f64 v[2:3], v[2:3], v[2:3], 1.0
	v_cmp_gt_f64_e32 vcc_lo, 0x10000000, v[2:3]
	v_cndmask_b32_e64 v9, 0, 0x100, vcc_lo
	v_ldexp_f64 v[2:3], v[2:3], v9
	v_cndmask_b32_e64 v9, 0, 0xffffff80, vcc_lo
	v_rsq_f64_e32 v[18:19], v[2:3]
	v_cmp_class_f64_e64 vcc_lo, v[2:3], 0x260
	v_mul_f64 v[20:21], v[2:3], v[18:19]
	v_mul_f64 v[18:19], v[18:19], 0.5
	v_fma_f64 v[22:23], -v[18:19], v[20:21], 0.5
	v_fma_f64 v[20:21], v[20:21], v[22:23], v[20:21]
	v_fma_f64 v[18:19], v[18:19], v[22:23], v[18:19]
	v_fma_f64 v[22:23], -v[20:21], v[20:21], v[2:3]
	v_fma_f64 v[20:21], v[22:23], v[18:19], v[20:21]
	v_fma_f64 v[22:23], -v[20:21], v[20:21], v[2:3]
	v_fma_f64 v[18:19], v[22:23], v[18:19], v[20:21]
	v_ldexp_f64 v[18:19], v[18:19], v9
	v_cndmask_b32_e32 v3, v19, v3, vcc_lo
	v_cndmask_b32_e32 v2, v18, v2, vcc_lo
	v_mul_f64 v[18:19], v[0:1], v[2:3]
	s_or_b32 exec_lo, exec_lo, s42
	v_cmp_class_f64_e64 s43, v[18:19], 0x1f8
	s_and_saveexec_b32 s42, s43
	s_cbranch_execz .LBB42_5
.LBB42_31:                              ;   in Loop: Header=BB42_6 Depth=2
	s_mov_b32 s43, 0
                                        ; implicit-def: $vgpr0_vgpr1
	s_and_saveexec_b32 s44, s3
	s_xor_b32 s3, exec_lo, s44
	s_cbranch_execnz .LBB42_34
; %bb.32:                               ;   in Loop: Header=BB42_6 Depth=2
	s_andn2_saveexec_b32 s3, s3
	s_cbranch_execnz .LBB42_47
.LBB42_33:                              ;   in Loop: Header=BB42_6 Depth=2
	s_or_b32 exec_lo, exec_lo, s3
	s_and_b32 exec_lo, exec_lo, s43
	s_cbranch_execz .LBB42_5
	s_branch .LBB42_56
.LBB42_34:                              ;   in Loop: Header=BB42_6 Depth=2
	s_mov_b32 s44, exec_lo
                                        ; implicit-def: $vgpr0_vgpr1
	v_cmpx_ge_i32_e64 v4, v10
	s_xor_b32 s44, exec_lo, s44
	s_cbranch_execz .LBB42_36
; %bb.35:                               ;   in Loop: Header=BB42_6 Depth=2
	v_lshlrev_b64 v[0:1], 4, v[10:11]
	s_mov_b32 s43, exec_lo
                                        ; implicit-def: $vgpr15
                                        ; implicit-def: $vgpr31
                                        ; implicit-def: $vgpr14
	v_add_co_u32 v0, vcc_lo, s18, v0
	v_add_co_ci_u32_e64 v1, null, s19, v1, vcc_lo
	global_store_dwordx2 v[0:1], v[16:17], off
                                        ; implicit-def: $vgpr16_vgpr17
.LBB42_36:                              ;   in Loop: Header=BB42_6 Depth=2
	s_andn2_saveexec_b32 s44, s44
	s_cbranch_execz .LBB42_46
; %bb.37:                               ;   in Loop: Header=BB42_6 Depth=2
	s_mov_b32 s46, s43
	s_mov_b32 s45, exec_lo
                                        ; implicit-def: $vgpr0_vgpr1
	v_cmpx_lt_i32_e64 v15, v31
	s_cbranch_execz .LBB42_45
; %bb.38:                               ;   in Loop: Header=BB42_6 Depth=2
	s_mov_b32 s47, 0
                                        ; implicit-def: $sgpr46
                                        ; implicit-def: $sgpr49
                                        ; implicit-def: $sgpr48
	s_inst_prefetch 0x1
	s_branch .LBB42_40
	.p2align	6
.LBB42_39:                              ;   in Loop: Header=BB42_40 Depth=3
	s_or_b32 exec_lo, exec_lo, s50
	s_and_b32 s50, exec_lo, s49
	s_or_b32 s47, s50, s47
	s_andn2_b32 s46, s46, exec_lo
	s_and_b32 s50, s48, exec_lo
	s_or_b32 s46, s46, s50
	s_andn2_b32 exec_lo, exec_lo, s47
	s_cbranch_execz .LBB42_42
.LBB42_40:                              ;   Parent Loop BB42_3 Depth=1
                                        ;     Parent Loop BB42_6 Depth=2
                                        ; =>    This Inner Loop Header: Depth=3
	v_add_nc_u32_e32 v2, v14, v15
	s_or_b32 s48, s48, exec_lo
	s_or_b32 s49, s49, exec_lo
	s_mov_b32 s50, exec_lo
	v_ashrrev_i32_e32 v3, 31, v2
	v_lshlrev_b64 v[0:1], 2, v[2:3]
	v_add_co_u32 v0, vcc_lo, s28, v0
	v_add_co_ci_u32_e64 v1, null, s29, v1, vcc_lo
	global_load_dword v0, v[0:1], off
	s_waitcnt vmcnt(0)
	v_subrev_nc_u32_e32 v0, s4, v0
	v_cmpx_ne_u32_e64 v0, v4
	s_cbranch_execz .LBB42_39
; %bb.41:                               ;   in Loop: Header=BB42_40 Depth=3
	v_add_nc_u32_e32 v15, 1, v15
	s_andn2_b32 s49, s49, exec_lo
	s_andn2_b32 s48, s48, exec_lo
	v_cmp_ge_i32_e32 vcc_lo, v15, v31
	s_and_b32 s51, vcc_lo, exec_lo
	s_or_b32 s49, s49, s51
	s_branch .LBB42_39
.LBB42_42:                              ;   in Loop: Header=BB42_6 Depth=2
	s_inst_prefetch 0x2
	s_or_b32 exec_lo, exec_lo, s47
	s_mov_b32 s47, s43
                                        ; implicit-def: $vgpr0_vgpr1
	s_and_saveexec_b32 s48, s46
	s_xor_b32 s46, exec_lo, s48
	s_cbranch_execz .LBB42_44
; %bb.43:                               ;   in Loop: Header=BB42_6 Depth=2
	v_lshlrev_b64 v[0:1], 4, v[2:3]
	s_or_b32 s47, s43, exec_lo
	v_add_co_u32 v0, vcc_lo, s36, v0
	v_add_co_ci_u32_e64 v1, null, s37, v1, vcc_lo
	global_store_dwordx2 v[0:1], v[16:17], off
.LBB42_44:                              ;   in Loop: Header=BB42_6 Depth=2
	s_or_b32 exec_lo, exec_lo, s46
	s_andn2_b32 s46, s43, exec_lo
	s_and_b32 s47, s47, exec_lo
	s_or_b32 s46, s46, s47
.LBB42_45:                              ;   in Loop: Header=BB42_6 Depth=2
	s_or_b32 exec_lo, exec_lo, s45
	s_andn2_b32 s43, s43, exec_lo
	s_and_b32 s45, s46, exec_lo
	s_or_b32 s43, s43, s45
.LBB42_46:                              ;   in Loop: Header=BB42_6 Depth=2
	s_or_b32 exec_lo, exec_lo, s44
	s_and_b32 s43, s43, exec_lo
                                        ; implicit-def: $vgpr16_vgpr17
                                        ; implicit-def: $vgpr10_vgpr11
	s_andn2_saveexec_b32 s3, s3
	s_cbranch_execz .LBB42_33
.LBB42_47:                              ;   in Loop: Header=BB42_6 Depth=2
	s_mov_b32 s45, s43
	s_mov_b32 s44, exec_lo
                                        ; implicit-def: $vgpr0_vgpr1
	v_cmpx_lt_i32_e64 v6, v24
	s_cbranch_execz .LBB42_55
; %bb.48:                               ;   in Loop: Header=BB42_6 Depth=2
	s_mov_b32 s46, 0
                                        ; implicit-def: $sgpr45
                                        ; implicit-def: $sgpr48
                                        ; implicit-def: $sgpr47
	s_inst_prefetch 0x1
	s_branch .LBB42_50
	.p2align	6
.LBB42_49:                              ;   in Loop: Header=BB42_50 Depth=3
	s_or_b32 exec_lo, exec_lo, s49
	s_and_b32 s49, exec_lo, s48
	s_or_b32 s46, s49, s46
	s_andn2_b32 s45, s45, exec_lo
	s_and_b32 s49, s47, exec_lo
	s_or_b32 s45, s45, s49
	s_andn2_b32 exec_lo, exec_lo, s46
	s_cbranch_execz .LBB42_52
.LBB42_50:                              ;   Parent Loop BB42_3 Depth=1
                                        ;     Parent Loop BB42_6 Depth=2
                                        ; =>    This Inner Loop Header: Depth=3
	v_add_nc_u32_e32 v2, v5, v6
	s_or_b32 s47, s47, exec_lo
	s_or_b32 s48, s48, exec_lo
	s_mov_b32 s49, exec_lo
	v_ashrrev_i32_e32 v3, 31, v2
	v_lshlrev_b64 v[0:1], 2, v[2:3]
	v_add_co_u32 v0, vcc_lo, s12, v0
	v_add_co_ci_u32_e64 v1, null, s13, v1, vcc_lo
	global_load_dword v0, v[0:1], off
	s_waitcnt vmcnt(0)
	v_subrev_nc_u32_e32 v0, s38, v0
	v_cmpx_ne_u32_e64 v0, v10
	s_cbranch_execz .LBB42_49
; %bb.51:                               ;   in Loop: Header=BB42_50 Depth=3
	v_add_nc_u32_e32 v6, 1, v6
	s_andn2_b32 s48, s48, exec_lo
	s_andn2_b32 s47, s47, exec_lo
	v_cmp_ge_i32_e32 vcc_lo, v6, v24
	s_and_b32 s50, vcc_lo, exec_lo
	s_or_b32 s48, s48, s50
	s_branch .LBB42_49
.LBB42_52:                              ;   in Loop: Header=BB42_6 Depth=2
	s_inst_prefetch 0x2
	s_or_b32 exec_lo, exec_lo, s46
	s_mov_b32 s46, s43
                                        ; implicit-def: $vgpr0_vgpr1
	s_and_saveexec_b32 s47, s45
	s_xor_b32 s45, exec_lo, s47
	s_cbranch_execz .LBB42_54
; %bb.53:                               ;   in Loop: Header=BB42_6 Depth=2
	v_lshlrev_b64 v[0:1], 4, v[2:3]
	s_or_b32 s46, s43, exec_lo
	v_add_co_u32 v0, vcc_lo, s6, v0
	v_add_co_ci_u32_e64 v1, null, s7, v1, vcc_lo
	global_store_dwordx2 v[0:1], v[16:17], off
.LBB42_54:                              ;   in Loop: Header=BB42_6 Depth=2
	s_or_b32 exec_lo, exec_lo, s45
	s_andn2_b32 s45, s43, exec_lo
	s_and_b32 s46, s46, exec_lo
	s_or_b32 s45, s45, s46
.LBB42_55:                              ;   in Loop: Header=BB42_6 Depth=2
	s_or_b32 exec_lo, exec_lo, s44
	s_andn2_b32 s43, s43, exec_lo
	s_and_b32 s44, s45, exec_lo
	s_or_b32 s43, s43, s44
	s_or_b32 exec_lo, exec_lo, s3
	s_and_b32 exec_lo, exec_lo, s43
	s_cbranch_execz .LBB42_5
.LBB42_56:                              ;   in Loop: Header=BB42_6 Depth=2
	global_store_dwordx2 v[0:1], v[12:13], off offset:8
	s_branch .LBB42_5
.LBB42_57:                              ;   in Loop: Header=BB42_3 Depth=1
	s_or_b32 exec_lo, exec_lo, s5
	s_and_saveexec_b32 s5, s0
	s_cbranch_execz .LBB42_2
; %bb.58:                               ;   in Loop: Header=BB42_3 Depth=1
	v_mov_b32_e32 v0, v4
	s_mov_b32 s41, 0
	s_branch .LBB42_61
.LBB42_59:                              ;   in Loop: Header=BB42_61 Depth=2
	s_or_b32 exec_lo, exec_lo, s43
	v_lshlrev_b64 v[1:2], 4, v[0:1]
	v_add_co_u32 v8, vcc_lo, s18, v1
	v_add_co_ci_u32_e64 v9, null, s19, v2, vcc_lo
	v_add_co_u32 v1, vcc_lo, s16, v1
	v_add_co_ci_u32_e64 v2, null, s17, v2, vcc_lo
	global_load_dwordx4 v[8:11], v[8:9], off
	s_waitcnt vmcnt(0)
	global_store_dwordx4 v[1:2], v[8:11], off
.LBB42_60:                              ;   in Loop: Header=BB42_61 Depth=2
	s_or_b32 exec_lo, exec_lo, s42
	v_add_nc_u32_e32 v0, 0x400, v0
	v_cmp_le_u32_e32 vcc_lo, s40, v0
	s_or_b32 s41, vcc_lo, s41
	s_andn2_b32 exec_lo, exec_lo, s41
	s_cbranch_execz .LBB42_2
.LBB42_61:                              ;   Parent Loop BB42_3 Depth=1
                                        ; =>  This Loop Header: Depth=2
                                        ;       Child Loop BB42_64 Depth 3
                                        ;       Child Loop BB42_67 Depth 3
	s_mov_b32 s42, exec_lo
	v_cmpx_gt_i32_e64 s35, v0
	s_cbranch_execz .LBB42_60
; %bb.62:                               ;   in Loop: Header=BB42_61 Depth=2
	v_ashrrev_i32_e32 v1, 31, v0
	s_mov_b32 s43, exec_lo
	v_lshlrev_b64 v[2:3], 2, v[0:1]
	v_add_co_u32 v8, vcc_lo, s8, v2
	v_add_co_ci_u32_e64 v9, null, s9, v3, vcc_lo
	v_add_co_u32 v10, vcc_lo, s10, v2
	v_add_co_ci_u32_e64 v11, null, s11, v3, vcc_lo
	global_load_dword v8, v[8:9], off
	global_load_dword v6, v[10:11], off
	s_waitcnt vmcnt(0)
	v_cmpx_lt_i32_e64 v8, v6
	s_cbranch_execz .LBB42_65
; %bb.63:                               ;   in Loop: Header=BB42_61 Depth=2
	v_subrev_nc_u32_e32 v8, s38, v8
	v_subrev_nc_u32_e32 v6, s38, v6
	s_mov_b32 s44, 0
	v_ashrrev_i32_e32 v9, 31, v8
	v_lshlrev_b64 v[11:12], 4, v[8:9]
	v_add_co_u32 v9, vcc_lo, s14, v11
	v_add_co_ci_u32_e64 v10, null, s15, v12, vcc_lo
	v_add_co_u32 v11, vcc_lo, s6, v11
	v_add_co_ci_u32_e64 v12, null, s7, v12, vcc_lo
	.p2align	6
.LBB42_64:                              ;   Parent Loop BB42_3 Depth=1
                                        ;     Parent Loop BB42_61 Depth=2
                                        ; =>    This Inner Loop Header: Depth=3
	global_load_dwordx4 v[13:16], v[11:12], off
	v_add_nc_u32_e32 v8, 1, v8
	v_add_co_u32 v11, vcc_lo, v11, 16
	v_add_co_ci_u32_e64 v12, null, 0, v12, vcc_lo
	v_cmp_ge_i32_e32 vcc_lo, v8, v6
	s_or_b32 s44, vcc_lo, s44
	s_waitcnt vmcnt(0)
	global_store_dwordx4 v[9:10], v[13:16], off
	v_add_co_u32 v9, s3, v9, 16
	v_add_co_ci_u32_e64 v10, null, 0, v10, s3
	s_andn2_b32 exec_lo, exec_lo, s44
	s_cbranch_execnz .LBB42_64
.LBB42_65:                              ;   in Loop: Header=BB42_61 Depth=2
	s_or_b32 exec_lo, exec_lo, s43
	v_add_co_u32 v8, vcc_lo, s24, v2
	v_add_co_ci_u32_e64 v9, null, s25, v3, vcc_lo
	v_add_co_u32 v10, vcc_lo, s26, v2
	v_add_co_ci_u32_e64 v11, null, s27, v3, vcc_lo
	global_load_dword v2, v[8:9], off
	global_load_dword v6, v[10:11], off
	s_mov_b32 s43, exec_lo
	s_waitcnt vmcnt(0)
	v_cmpx_lt_i32_e64 v2, v6
	s_cbranch_execz .LBB42_59
; %bb.66:                               ;   in Loop: Header=BB42_61 Depth=2
	v_subrev_nc_u32_e32 v2, s4, v2
	s_mov_b32 s44, 0
	v_ashrrev_i32_e32 v3, 31, v2
	v_lshlrev_b64 v[10:11], 4, v[2:3]
	v_subrev_nc_u32_e32 v3, s4, v6
	v_add_co_u32 v8, vcc_lo, s30, v10
	v_add_co_ci_u32_e64 v9, null, s31, v11, vcc_lo
	v_add_co_u32 v10, vcc_lo, s36, v10
	v_add_co_ci_u32_e64 v11, null, s37, v11, vcc_lo
	.p2align	6
.LBB42_67:                              ;   Parent Loop BB42_3 Depth=1
                                        ;     Parent Loop BB42_61 Depth=2
                                        ; =>    This Inner Loop Header: Depth=3
	global_load_dwordx4 v[12:15], v[10:11], off
	v_add_nc_u32_e32 v2, 1, v2
	v_add_co_u32 v10, vcc_lo, v10, 16
	v_add_co_ci_u32_e64 v11, null, 0, v11, vcc_lo
	v_cmp_ge_i32_e32 vcc_lo, v2, v3
	s_or_b32 s44, vcc_lo, s44
	s_waitcnt vmcnt(0)
	global_store_dwordx4 v[8:9], v[12:15], off
	v_add_co_u32 v8, s3, v8, 16
	v_add_co_ci_u32_e64 v9, null, 0, v9, s3
	s_andn2_b32 exec_lo, exec_lo, s44
	s_cbranch_execnz .LBB42_67
	s_branch .LBB42_59
.LBB42_68:
	s_endpgm
	.section	.rodata,"a",@progbits
	.p2align	6, 0x0
	.amdhsa_kernel _ZN9rocsparseL14kernel_freerunILi1024ELi1E21rocsparse_complex_numIdEiiEEvT3_S3_T2_PKS4_S6_PKS3_PKT1_21rocsparse_index_base_S6_S6_S8_PS9_SD_SC_S6_S6_S8_SD_SD_SC_SD_SD_
		.amdhsa_group_segment_fixed_size 0
		.amdhsa_private_segment_fixed_size 0
		.amdhsa_kernarg_size 168
		.amdhsa_user_sgpr_count 6
		.amdhsa_user_sgpr_private_segment_buffer 1
		.amdhsa_user_sgpr_dispatch_ptr 0
		.amdhsa_user_sgpr_queue_ptr 0
		.amdhsa_user_sgpr_kernarg_segment_ptr 1
		.amdhsa_user_sgpr_dispatch_id 0
		.amdhsa_user_sgpr_flat_scratch_init 0
		.amdhsa_user_sgpr_private_segment_size 0
		.amdhsa_wavefront_size32 1
		.amdhsa_uses_dynamic_stack 0
		.amdhsa_system_sgpr_private_segment_wavefront_offset 0
		.amdhsa_system_sgpr_workgroup_id_x 1
		.amdhsa_system_sgpr_workgroup_id_y 0
		.amdhsa_system_sgpr_workgroup_id_z 0
		.amdhsa_system_sgpr_workgroup_info 0
		.amdhsa_system_vgpr_workitem_id 0
		.amdhsa_next_free_vgpr 40
		.amdhsa_next_free_sgpr 52
		.amdhsa_reserve_vcc 1
		.amdhsa_reserve_flat_scratch 0
		.amdhsa_float_round_mode_32 0
		.amdhsa_float_round_mode_16_64 0
		.amdhsa_float_denorm_mode_32 3
		.amdhsa_float_denorm_mode_16_64 3
		.amdhsa_dx10_clamp 1
		.amdhsa_ieee_mode 1
		.amdhsa_fp16_overflow 0
		.amdhsa_workgroup_processor_mode 1
		.amdhsa_memory_ordered 1
		.amdhsa_forward_progress 1
		.amdhsa_shared_vgpr_count 0
		.amdhsa_exception_fp_ieee_invalid_op 0
		.amdhsa_exception_fp_denorm_src 0
		.amdhsa_exception_fp_ieee_div_zero 0
		.amdhsa_exception_fp_ieee_overflow 0
		.amdhsa_exception_fp_ieee_underflow 0
		.amdhsa_exception_fp_ieee_inexact 0
		.amdhsa_exception_int_div_zero 0
	.end_amdhsa_kernel
	.section	.text._ZN9rocsparseL14kernel_freerunILi1024ELi1E21rocsparse_complex_numIdEiiEEvT3_S3_T2_PKS4_S6_PKS3_PKT1_21rocsparse_index_base_S6_S6_S8_PS9_SD_SC_S6_S6_S8_SD_SD_SC_SD_SD_,"axG",@progbits,_ZN9rocsparseL14kernel_freerunILi1024ELi1E21rocsparse_complex_numIdEiiEEvT3_S3_T2_PKS4_S6_PKS3_PKT1_21rocsparse_index_base_S6_S6_S8_PS9_SD_SC_S6_S6_S8_SD_SD_SC_SD_SD_,comdat
.Lfunc_end42:
	.size	_ZN9rocsparseL14kernel_freerunILi1024ELi1E21rocsparse_complex_numIdEiiEEvT3_S3_T2_PKS4_S6_PKS3_PKT1_21rocsparse_index_base_S6_S6_S8_PS9_SD_SC_S6_S6_S8_SD_SD_SC_SD_SD_, .Lfunc_end42-_ZN9rocsparseL14kernel_freerunILi1024ELi1E21rocsparse_complex_numIdEiiEEvT3_S3_T2_PKS4_S6_PKS3_PKT1_21rocsparse_index_base_S6_S6_S8_PS9_SD_SC_S6_S6_S8_SD_SD_SC_SD_SD_
                                        ; -- End function
	.set _ZN9rocsparseL14kernel_freerunILi1024ELi1E21rocsparse_complex_numIdEiiEEvT3_S3_T2_PKS4_S6_PKS3_PKT1_21rocsparse_index_base_S6_S6_S8_PS9_SD_SC_S6_S6_S8_SD_SD_SC_SD_SD_.num_vgpr, 40
	.set _ZN9rocsparseL14kernel_freerunILi1024ELi1E21rocsparse_complex_numIdEiiEEvT3_S3_T2_PKS4_S6_PKS3_PKT1_21rocsparse_index_base_S6_S6_S8_PS9_SD_SC_S6_S6_S8_SD_SD_SC_SD_SD_.num_agpr, 0
	.set _ZN9rocsparseL14kernel_freerunILi1024ELi1E21rocsparse_complex_numIdEiiEEvT3_S3_T2_PKS4_S6_PKS3_PKT1_21rocsparse_index_base_S6_S6_S8_PS9_SD_SC_S6_S6_S8_SD_SD_SC_SD_SD_.numbered_sgpr, 52
	.set _ZN9rocsparseL14kernel_freerunILi1024ELi1E21rocsparse_complex_numIdEiiEEvT3_S3_T2_PKS4_S6_PKS3_PKT1_21rocsparse_index_base_S6_S6_S8_PS9_SD_SC_S6_S6_S8_SD_SD_SC_SD_SD_.num_named_barrier, 0
	.set _ZN9rocsparseL14kernel_freerunILi1024ELi1E21rocsparse_complex_numIdEiiEEvT3_S3_T2_PKS4_S6_PKS3_PKT1_21rocsparse_index_base_S6_S6_S8_PS9_SD_SC_S6_S6_S8_SD_SD_SC_SD_SD_.private_seg_size, 0
	.set _ZN9rocsparseL14kernel_freerunILi1024ELi1E21rocsparse_complex_numIdEiiEEvT3_S3_T2_PKS4_S6_PKS3_PKT1_21rocsparse_index_base_S6_S6_S8_PS9_SD_SC_S6_S6_S8_SD_SD_SC_SD_SD_.uses_vcc, 1
	.set _ZN9rocsparseL14kernel_freerunILi1024ELi1E21rocsparse_complex_numIdEiiEEvT3_S3_T2_PKS4_S6_PKS3_PKT1_21rocsparse_index_base_S6_S6_S8_PS9_SD_SC_S6_S6_S8_SD_SD_SC_SD_SD_.uses_flat_scratch, 0
	.set _ZN9rocsparseL14kernel_freerunILi1024ELi1E21rocsparse_complex_numIdEiiEEvT3_S3_T2_PKS4_S6_PKS3_PKT1_21rocsparse_index_base_S6_S6_S8_PS9_SD_SC_S6_S6_S8_SD_SD_SC_SD_SD_.has_dyn_sized_stack, 0
	.set _ZN9rocsparseL14kernel_freerunILi1024ELi1E21rocsparse_complex_numIdEiiEEvT3_S3_T2_PKS4_S6_PKS3_PKT1_21rocsparse_index_base_S6_S6_S8_PS9_SD_SC_S6_S6_S8_SD_SD_SC_SD_SD_.has_recursion, 0
	.set _ZN9rocsparseL14kernel_freerunILi1024ELi1E21rocsparse_complex_numIdEiiEEvT3_S3_T2_PKS4_S6_PKS3_PKT1_21rocsparse_index_base_S6_S6_S8_PS9_SD_SC_S6_S6_S8_SD_SD_SC_SD_SD_.has_indirect_call, 0
	.section	.AMDGPU.csdata,"",@progbits
; Kernel info:
; codeLenInByte = 3856
; TotalNumSgprs: 54
; NumVgprs: 40
; ScratchSize: 0
; MemoryBound: 1
; FloatMode: 240
; IeeeMode: 1
; LDSByteSize: 0 bytes/workgroup (compile time only)
; SGPRBlocks: 0
; VGPRBlocks: 4
; NumSGPRsForWavesPerEU: 54
; NumVGPRsForWavesPerEU: 40
; Occupancy: 16
; WaveLimiterHint : 1
; COMPUTE_PGM_RSRC2:SCRATCH_EN: 0
; COMPUTE_PGM_RSRC2:USER_SGPR: 6
; COMPUTE_PGM_RSRC2:TRAP_HANDLER: 0
; COMPUTE_PGM_RSRC2:TGID_X_EN: 1
; COMPUTE_PGM_RSRC2:TGID_Y_EN: 0
; COMPUTE_PGM_RSRC2:TGID_Z_EN: 0
; COMPUTE_PGM_RSRC2:TIDIG_COMP_CNT: 0
	.section	.text._ZN9rocsparseL14kernel_freerunILi1024ELi2E21rocsparse_complex_numIdEiiEEvT3_S3_T2_PKS4_S6_PKS3_PKT1_21rocsparse_index_base_S6_S6_S8_PS9_SD_SC_S6_S6_S8_SD_SD_SC_SD_SD_,"axG",@progbits,_ZN9rocsparseL14kernel_freerunILi1024ELi2E21rocsparse_complex_numIdEiiEEvT3_S3_T2_PKS4_S6_PKS3_PKT1_21rocsparse_index_base_S6_S6_S8_PS9_SD_SC_S6_S6_S8_SD_SD_SC_SD_SD_,comdat
	.globl	_ZN9rocsparseL14kernel_freerunILi1024ELi2E21rocsparse_complex_numIdEiiEEvT3_S3_T2_PKS4_S6_PKS3_PKT1_21rocsparse_index_base_S6_S6_S8_PS9_SD_SC_S6_S6_S8_SD_SD_SC_SD_SD_ ; -- Begin function _ZN9rocsparseL14kernel_freerunILi1024ELi2E21rocsparse_complex_numIdEiiEEvT3_S3_T2_PKS4_S6_PKS3_PKT1_21rocsparse_index_base_S6_S6_S8_PS9_SD_SC_S6_S6_S8_SD_SD_SC_SD_SD_
	.p2align	8
	.type	_ZN9rocsparseL14kernel_freerunILi1024ELi2E21rocsparse_complex_numIdEiiEEvT3_S3_T2_PKS4_S6_PKS3_PKT1_21rocsparse_index_base_S6_S6_S8_PS9_SD_SC_S6_S6_S8_SD_SD_SC_SD_SD_,@function
_ZN9rocsparseL14kernel_freerunILi1024ELi2E21rocsparse_complex_numIdEiiEEvT3_S3_T2_PKS4_S6_PKS3_PKT1_21rocsparse_index_base_S6_S6_S8_PS9_SD_SC_S6_S6_S8_SD_SD_SC_SD_SD_: ; @_ZN9rocsparseL14kernel_freerunILi1024ELi2E21rocsparse_complex_numIdEiiEEvT3_S3_T2_PKS4_S6_PKS3_PKT1_21rocsparse_index_base_S6_S6_S8_PS9_SD_SC_S6_S6_S8_SD_SD_SC_SD_SD_
; %bb.0:
	s_load_dwordx2 s[34:35], s[4:5], 0x0
	v_lshrrev_b32_e32 v1, 1, v0
	s_lshl_b32 s0, s6, 10
	s_mov_b32 s33, 0
	v_or_b32_e32 v24, s0, v1
	s_waitcnt lgkmcnt(0)
	v_cmp_gt_i32_e32 vcc_lo, s35, v24
	s_cmp_gt_i32 s34, 0
	s_cselect_b32 s1, -1, 0
	s_and_b32 s1, vcc_lo, s1
	s_and_saveexec_b32 s2, s1
	s_cbranch_execz .LBB43_72
; %bb.1:
	s_clause 0x8
	s_load_dword s42, s[4:5], 0x30
	s_load_dword s43, s[4:5], 0x60
	;; [unrolled: 1-line block ×3, first 2 shown]
	s_load_dwordx2 s[6:7], s[4:5], 0x88
	s_load_dwordx2 s[40:41], s[4:5], 0x58
	s_load_dwordx4 s[36:39], s[4:5], 0x98
	s_load_dwordx8 s[8:15], s[4:5], 0x68
	s_load_dwordx8 s[16:23], s[4:5], 0x38
	;; [unrolled: 1-line block ×3, first 2 shown]
	v_and_b32_e32 v0, 1, v0
	s_add_i32 s4, s0, 0x400
	v_mov_b32_e32 v5, 0
	v_cmp_gt_u32_e64 s0, s4, v24
	v_cmp_eq_u32_e64 s1, 0, v0
	s_waitcnt lgkmcnt(0)
	v_subrev_nc_u32_e32 v25, s42, v0
	v_subrev_nc_u32_e32 v26, s43, v0
	v_subrev_nc_u32_e32 v27, s44, v0
	s_branch .LBB43_3
.LBB43_2:                               ;   in Loop: Header=BB43_3 Depth=1
	s_or_b32 exec_lo, exec_lo, s3
	s_add_i32 s33, s33, 1
	s_cmp_eq_u32 s33, s34
	s_cbranch_scc1 .LBB43_72
.LBB43_3:                               ; =>This Loop Header: Depth=1
                                        ;     Child Loop BB43_5 Depth 2
                                        ;       Child Loop BB43_9 Depth 3
                                        ;         Child Loop BB43_13 Depth 4
                                        ;         Child Loop BB43_43 Depth 4
	;; [unrolled: 1-line block ×3, first 2 shown]
                                        ;     Child Loop BB43_63 Depth 2
                                        ;       Child Loop BB43_66 Depth 3
                                        ;       Child Loop BB43_69 Depth 3
	s_mov_b32 s2, 0
	s_mov_b32 s5, -1
	s_branch .LBB43_5
.LBB43_4:                               ;   in Loop: Header=BB43_5 Depth=2
	s_or_b32 exec_lo, exec_lo, s45
	s_xor_b32 s3, s5, -1
	s_movk_i32 s2, 0x200
	s_and_b32 vcc_lo, exec_lo, s3
	s_mov_b32 s5, 0
	s_cbranch_vccnz .LBB43_60
.LBB43_5:                               ;   Parent Loop BB43_3 Depth=1
                                        ; =>  This Loop Header: Depth=2
                                        ;       Child Loop BB43_9 Depth 3
                                        ;         Child Loop BB43_13 Depth 4
                                        ;         Child Loop BB43_43 Depth 4
	;; [unrolled: 1-line block ×3, first 2 shown]
	v_or_b32_e32 v6, s2, v24
	s_mov_b32 s45, exec_lo
	v_cmpx_gt_i32_e64 s35, v6
	s_cbranch_execz .LBB43_4
; %bb.6:                                ;   in Loop: Header=BB43_5 Depth=2
	v_ashrrev_i32_e32 v7, 31, v6
	v_lshlrev_b64 v[0:1], 2, v[6:7]
	v_add_co_u32 v2, vcc_lo, s24, v0
	v_add_co_ci_u32_e64 v3, null, s25, v1, vcc_lo
	v_add_co_u32 v7, vcc_lo, s26, v0
	v_add_co_ci_u32_e64 v8, null, s27, v1, vcc_lo
	global_load_dword v2, v[2:3], off
	global_load_dword v3, v[7:8], off
	s_waitcnt vmcnt(1)
	v_add_nc_u32_e32 v7, v25, v2
	s_waitcnt vmcnt(0)
	v_subrev_nc_u32_e32 v28, s42, v3
	v_cmp_lt_i32_e32 vcc_lo, v7, v28
	s_and_b32 exec_lo, exec_lo, vcc_lo
	s_cbranch_execz .LBB43_4
; %bb.7:                                ;   in Loop: Header=BB43_5 Depth=2
	v_add_co_u32 v2, vcc_lo, s16, v0
	v_add_co_ci_u32_e64 v3, null, s17, v1, vcc_lo
	v_add_co_u32 v0, vcc_lo, s18, v0
	v_add_co_ci_u32_e64 v1, null, s19, v1, vcc_lo
	global_load_dword v2, v[2:3], off
	s_mov_b32 s46, 0
	global_load_dword v3, v[0:1], off
	s_waitcnt vmcnt(1)
	v_subrev_nc_u32_e32 v9, s43, v2
	s_waitcnt vmcnt(0)
	v_sub_nc_u32_e32 v29, v3, v2
	v_ashrrev_i32_e32 v10, 31, v9
	v_cmp_lt_i32_e64 s2, 0, v29
	v_lshlrev_b64 v[0:1], 2, v[9:10]
	v_lshlrev_b64 v[2:3], 4, v[9:10]
	v_add_co_u32 v30, vcc_lo, s20, v0
	v_add_co_ci_u32_e64 v31, null, s21, v1, vcc_lo
	v_add_co_u32 v32, vcc_lo, s22, v2
	v_add_co_ci_u32_e64 v33, null, s23, v3, vcc_lo
	s_branch .LBB43_9
.LBB43_8:                               ;   in Loop: Header=BB43_9 Depth=3
	s_or_b32 exec_lo, exec_lo, s47
	v_add_nc_u32_e32 v7, 2, v7
	v_cmp_ge_i32_e32 vcc_lo, v7, v28
	s_or_b32 s46, vcc_lo, s46
	s_andn2_b32 exec_lo, exec_lo, s46
	s_cbranch_execz .LBB43_4
.LBB43_9:                               ;   Parent Loop BB43_3 Depth=1
                                        ;     Parent Loop BB43_5 Depth=2
                                        ; =>    This Loop Header: Depth=3
                                        ;         Child Loop BB43_13 Depth 4
                                        ;         Child Loop BB43_43 Depth 4
	;; [unrolled: 1-line block ×3, first 2 shown]
	v_ashrrev_i32_e32 v8, 31, v7
	v_mov_b32_e32 v4, 0
	v_lshlrev_b64 v[0:1], 2, v[7:8]
	v_mov_b32_e32 v15, v4
	v_add_co_u32 v0, vcc_lo, s28, v0
	v_add_co_ci_u32_e64 v1, null, s29, v1, vcc_lo
	global_load_dword v0, v[0:1], off
	s_waitcnt vmcnt(0)
	v_subrev_nc_u32_e32 v10, s42, v0
	v_ashrrev_i32_e32 v11, 31, v10
	v_lshlrev_b64 v[0:1], 2, v[10:11]
	v_add_co_u32 v2, vcc_lo, s8, v0
	v_add_co_ci_u32_e64 v3, null, s9, v1, vcc_lo
	v_add_co_u32 v0, vcc_lo, s10, v0
	v_add_co_ci_u32_e64 v1, null, s11, v1, vcc_lo
	global_load_dword v12, v[2:3], off
	global_load_dword v13, v[0:1], off
	v_mov_b32_e32 v0, 0
	v_mov_b32_e32 v2, 0
	;; [unrolled: 1-line block ×4, first 2 shown]
	s_waitcnt vmcnt(1)
	v_subrev_nc_u32_e32 v14, s44, v12
	s_waitcnt vmcnt(0)
	v_sub_nc_u32_e32 v34, v13, v12
	s_and_saveexec_b32 s47, s2
	s_cbranch_execz .LBB43_17
; %bb.10:                               ;   in Loop: Header=BB43_9 Depth=3
	v_ashrrev_i32_e32 v15, 31, v14
	v_mov_b32_e32 v0, 0
	v_mov_b32_e32 v1, 0
	;; [unrolled: 1-line block ×3, first 2 shown]
	s_mov_b32 s48, 0
	v_lshlrev_b64 v[2:3], 2, v[14:15]
	v_lshlrev_b64 v[15:16], 4, v[14:15]
                                        ; implicit-def: $sgpr49
	v_add_co_u32 v12, vcc_lo, s12, v2
	v_add_co_ci_u32_e64 v13, null, s13, v3, vcc_lo
	v_add_co_u32 v17, vcc_lo, s14, v15
	v_mov_b32_e32 v2, 0
	v_add_co_ci_u32_e64 v18, null, s15, v16, vcc_lo
	v_mov_b32_e32 v15, 0
	v_mov_b32_e32 v3, 0
	s_branch .LBB43_13
.LBB43_11:                              ;   in Loop: Header=BB43_13 Depth=4
	s_or_b32 exec_lo, exec_lo, s3
	v_cmp_le_i32_e32 vcc_lo, v19, v20
	v_cmp_ge_i32_e64 s3, v19, v20
	v_add_co_ci_u32_e64 v4, null, 0, v4, vcc_lo
	v_add_co_ci_u32_e64 v15, null, 0, v15, s3
	s_andn2_b32 s3, s49, exec_lo
	v_cmp_ge_i32_e32 vcc_lo, v4, v29
	s_and_b32 s49, vcc_lo, exec_lo
	s_or_b32 s49, s3, s49
.LBB43_12:                              ;   in Loop: Header=BB43_13 Depth=4
	s_or_b32 exec_lo, exec_lo, s50
	s_and_b32 s3, exec_lo, s49
	s_or_b32 s48, s3, s48
	s_andn2_b32 exec_lo, exec_lo, s48
	s_cbranch_execz .LBB43_16
.LBB43_13:                              ;   Parent Loop BB43_3 Depth=1
                                        ;     Parent Loop BB43_5 Depth=2
                                        ;       Parent Loop BB43_9 Depth=3
                                        ; =>      This Inner Loop Header: Depth=4
	s_or_b32 s49, s49, exec_lo
	s_mov_b32 s50, exec_lo
	v_cmpx_lt_i32_e64 v15, v34
	s_cbranch_execz .LBB43_12
; %bb.14:                               ;   in Loop: Header=BB43_13 Depth=4
	v_mov_b32_e32 v16, v5
	v_lshlrev_b64 v[19:20], 2, v[4:5]
	s_mov_b32 s3, exec_lo
	v_lshlrev_b64 v[21:22], 2, v[15:16]
	v_add_co_u32 v19, vcc_lo, v30, v19
	v_add_co_ci_u32_e64 v20, null, v31, v20, vcc_lo
	v_add_co_u32 v21, vcc_lo, v12, v21
	v_add_co_ci_u32_e64 v22, null, v13, v22, vcc_lo
	global_load_dword v19, v[19:20], off
	global_load_dword v20, v[21:22], off
	s_waitcnt vmcnt(1)
	v_subrev_nc_u32_e32 v19, s43, v19
	s_waitcnt vmcnt(0)
	v_subrev_nc_u32_e32 v20, s44, v20
	v_cmpx_eq_u32_e64 v19, v20
	s_cbranch_execz .LBB43_11
; %bb.15:                               ;   in Loop: Header=BB43_13 Depth=4
	v_lshlrev_b64 v[21:22], 4, v[4:5]
	v_lshlrev_b64 v[35:36], 4, v[15:16]
	v_add_co_u32 v21, vcc_lo, v32, v21
	v_add_co_ci_u32_e64 v22, null, v33, v22, vcc_lo
	v_add_co_u32 v39, vcc_lo, v17, v35
	v_add_co_ci_u32_e64 v40, null, v18, v36, vcc_lo
	global_load_dwordx4 v[35:38], v[21:22], off
	global_load_dwordx4 v[39:42], v[39:40], off
	s_waitcnt vmcnt(0)
	v_fma_f64 v[0:1], v[35:36], v[39:40], v[0:1]
	v_fma_f64 v[2:3], v[37:38], v[39:40], v[2:3]
	v_fma_f64 v[0:1], -v[37:38], v[41:42], v[0:1]
	v_fma_f64 v[2:3], v[35:36], v[41:42], v[2:3]
	s_branch .LBB43_11
.LBB43_16:                              ;   in Loop: Header=BB43_9 Depth=3
	s_or_b32 exec_lo, exec_lo, s48
.LBB43_17:                              ;   in Loop: Header=BB43_9 Depth=3
	s_or_b32 exec_lo, exec_lo, s47
	v_lshlrev_b64 v[12:13], 4, v[7:8]
	v_cmp_le_i32_e64 s3, v6, v10
	s_mov_b32 s47, exec_lo
	v_add_co_u32 v12, vcc_lo, s30, v12
	v_add_co_ci_u32_e64 v13, null, s31, v13, vcc_lo
	global_load_dwordx4 v[16:19], v[12:13], off
	s_waitcnt vmcnt(0)
	v_add_f64 v[16:17], v[16:17], -v[0:1]
	v_add_f64 v[12:13], v[18:19], -v[2:3]
	v_cmpx_gt_i32_e64 v6, v10
	s_cbranch_execz .LBB43_27
; %bb.18:                               ;   in Loop: Header=BB43_9 Depth=3
	v_lshlrev_b64 v[0:1], 4, v[10:11]
	s_mov_b32 s48, exec_lo
                                        ; implicit-def: $vgpr22_vgpr23
	v_add_co_u32 v0, vcc_lo, s36, v0
	v_add_co_ci_u32_e64 v1, null, s37, v1, vcc_lo
	global_load_dwordx4 v[0:3], v[0:1], off
	s_waitcnt vmcnt(0)
	v_cmp_gt_f64_e32 vcc_lo, 0, v[0:1]
	v_xor_b32_e32 v8, 0x80000000, v1
	v_xor_b32_e32 v20, 0x80000000, v3
	v_mov_b32_e32 v18, v0
	v_cndmask_b32_e32 v19, v1, v8, vcc_lo
	v_cmp_gt_f64_e32 vcc_lo, 0, v[2:3]
	v_cndmask_b32_e32 v21, v3, v20, vcc_lo
	v_mov_b32_e32 v20, v2
	v_cmpx_ngt_f64_e32 v[18:19], v[20:21]
	s_xor_b32 s48, exec_lo, s48
	s_cbranch_execz .LBB43_22
; %bb.19:                               ;   in Loop: Header=BB43_9 Depth=3
	v_mov_b32_e32 v22, 0
	v_mov_b32_e32 v23, 0
	s_mov_b32 s49, exec_lo
	v_cmpx_neq_f64_e32 0, v[2:3]
	s_cbranch_execz .LBB43_21
; %bb.20:                               ;   in Loop: Header=BB43_9 Depth=3
	v_div_scale_f64 v[22:23], null, v[20:21], v[20:21], v[18:19]
	v_div_scale_f64 v[39:40], vcc_lo, v[18:19], v[20:21], v[18:19]
	v_rcp_f64_e32 v[35:36], v[22:23]
	v_fma_f64 v[37:38], -v[22:23], v[35:36], 1.0
	v_fma_f64 v[35:36], v[35:36], v[37:38], v[35:36]
	v_fma_f64 v[37:38], -v[22:23], v[35:36], 1.0
	v_fma_f64 v[35:36], v[35:36], v[37:38], v[35:36]
	v_mul_f64 v[37:38], v[39:40], v[35:36]
	v_fma_f64 v[22:23], -v[22:23], v[37:38], v[39:40]
	v_div_fmas_f64 v[22:23], v[22:23], v[35:36], v[37:38]
	v_div_fixup_f64 v[18:19], v[22:23], v[20:21], v[18:19]
	v_fma_f64 v[18:19], v[18:19], v[18:19], 1.0
	v_cmp_gt_f64_e32 vcc_lo, 0x10000000, v[18:19]
	v_cndmask_b32_e64 v8, 0, 0x100, vcc_lo
	v_ldexp_f64 v[18:19], v[18:19], v8
	v_cndmask_b32_e64 v8, 0, 0xffffff80, vcc_lo
	v_rsq_f64_e32 v[22:23], v[18:19]
	v_cmp_class_f64_e64 vcc_lo, v[18:19], 0x260
	v_mul_f64 v[35:36], v[18:19], v[22:23]
	v_mul_f64 v[22:23], v[22:23], 0.5
	v_fma_f64 v[37:38], -v[22:23], v[35:36], 0.5
	v_fma_f64 v[35:36], v[35:36], v[37:38], v[35:36]
	v_fma_f64 v[22:23], v[22:23], v[37:38], v[22:23]
	v_fma_f64 v[37:38], -v[35:36], v[35:36], v[18:19]
	v_fma_f64 v[35:36], v[37:38], v[22:23], v[35:36]
	v_fma_f64 v[37:38], -v[35:36], v[35:36], v[18:19]
	v_fma_f64 v[22:23], v[37:38], v[22:23], v[35:36]
	v_ldexp_f64 v[22:23], v[22:23], v8
	v_cndmask_b32_e32 v19, v23, v19, vcc_lo
	v_cndmask_b32_e32 v18, v22, v18, vcc_lo
	v_mul_f64 v[22:23], v[20:21], v[18:19]
.LBB43_21:                              ;   in Loop: Header=BB43_9 Depth=3
	s_or_b32 exec_lo, exec_lo, s49
                                        ; implicit-def: $vgpr18_vgpr19
                                        ; implicit-def: $vgpr20_vgpr21
.LBB43_22:                              ;   in Loop: Header=BB43_9 Depth=3
	s_andn2_saveexec_b32 s48, s48
	s_cbranch_execz .LBB43_24
; %bb.23:                               ;   in Loop: Header=BB43_9 Depth=3
	v_div_scale_f64 v[22:23], null, v[18:19], v[18:19], v[20:21]
	v_div_scale_f64 v[39:40], vcc_lo, v[20:21], v[18:19], v[20:21]
	v_rcp_f64_e32 v[35:36], v[22:23]
	v_fma_f64 v[37:38], -v[22:23], v[35:36], 1.0
	v_fma_f64 v[35:36], v[35:36], v[37:38], v[35:36]
	v_fma_f64 v[37:38], -v[22:23], v[35:36], 1.0
	v_fma_f64 v[35:36], v[35:36], v[37:38], v[35:36]
	v_mul_f64 v[37:38], v[39:40], v[35:36]
	v_fma_f64 v[22:23], -v[22:23], v[37:38], v[39:40]
	v_div_fmas_f64 v[22:23], v[22:23], v[35:36], v[37:38]
	v_div_fixup_f64 v[20:21], v[22:23], v[18:19], v[20:21]
	v_fma_f64 v[20:21], v[20:21], v[20:21], 1.0
	v_cmp_gt_f64_e32 vcc_lo, 0x10000000, v[20:21]
	v_cndmask_b32_e64 v8, 0, 0x100, vcc_lo
	v_ldexp_f64 v[20:21], v[20:21], v8
	v_cndmask_b32_e64 v8, 0, 0xffffff80, vcc_lo
	v_rsq_f64_e32 v[22:23], v[20:21]
	v_cmp_class_f64_e64 vcc_lo, v[20:21], 0x260
	v_mul_f64 v[35:36], v[20:21], v[22:23]
	v_mul_f64 v[22:23], v[22:23], 0.5
	v_fma_f64 v[37:38], -v[22:23], v[35:36], 0.5
	v_fma_f64 v[35:36], v[35:36], v[37:38], v[35:36]
	v_fma_f64 v[22:23], v[22:23], v[37:38], v[22:23]
	v_fma_f64 v[37:38], -v[35:36], v[35:36], v[20:21]
	v_fma_f64 v[35:36], v[37:38], v[22:23], v[35:36]
	v_fma_f64 v[37:38], -v[35:36], v[35:36], v[20:21]
	v_fma_f64 v[22:23], v[37:38], v[22:23], v[35:36]
	v_ldexp_f64 v[22:23], v[22:23], v8
	v_cndmask_b32_e32 v21, v23, v21, vcc_lo
	v_cndmask_b32_e32 v20, v22, v20, vcc_lo
	v_mul_f64 v[22:23], v[18:19], v[20:21]
.LBB43_24:                              ;   in Loop: Header=BB43_9 Depth=3
	s_or_b32 exec_lo, exec_lo, s48
	v_mov_b32_e32 v18, 0
	v_mov_b32_e32 v20, 0
	;; [unrolled: 1-line block ×4, first 2 shown]
	s_mov_b32 s48, exec_lo
	v_cmpx_lt_f64_e32 0, v[22:23]
	s_cbranch_execz .LBB43_26
; %bb.25:                               ;   in Loop: Header=BB43_9 Depth=3
	v_mul_f64 v[18:19], v[2:3], v[2:3]
	v_fma_f64 v[18:19], v[0:1], v[0:1], v[18:19]
	v_div_scale_f64 v[20:21], null, v[18:19], v[18:19], 1.0
	v_div_scale_f64 v[37:38], vcc_lo, 1.0, v[18:19], 1.0
	v_rcp_f64_e32 v[22:23], v[20:21]
	v_fma_f64 v[35:36], -v[20:21], v[22:23], 1.0
	v_fma_f64 v[22:23], v[22:23], v[35:36], v[22:23]
	v_fma_f64 v[35:36], -v[20:21], v[22:23], 1.0
	v_fma_f64 v[22:23], v[22:23], v[35:36], v[22:23]
	v_mul_f64 v[35:36], v[37:38], v[22:23]
	v_fma_f64 v[20:21], -v[20:21], v[35:36], v[37:38]
	v_mul_f64 v[37:38], v[12:13], v[2:3]
	v_mul_f64 v[2:3], v[2:3], -v[16:17]
	v_div_fmas_f64 v[20:21], v[20:21], v[22:23], v[35:36]
	v_fma_f64 v[16:17], v[16:17], v[0:1], v[37:38]
	v_fma_f64 v[0:1], v[12:13], v[0:1], v[2:3]
	v_div_fixup_f64 v[20:21], v[20:21], v[18:19], 1.0
	v_mul_f64 v[18:19], v[16:17], v[20:21]
	v_mul_f64 v[20:21], v[0:1], v[20:21]
.LBB43_26:                              ;   in Loop: Header=BB43_9 Depth=3
	s_or_b32 exec_lo, exec_lo, s48
	v_mov_b32_e32 v16, v18
	v_mov_b32_e32 v12, v20
	v_mov_b32_e32 v17, v19
	v_mov_b32_e32 v13, v21
.LBB43_27:                              ;   in Loop: Header=BB43_9 Depth=3
	s_or_b32 exec_lo, exec_lo, s47
	v_cmp_gt_f64_e32 vcc_lo, 0, v[16:17]
	v_xor_b32_e32 v1, 0x80000000, v17
	v_xor_b32_e32 v2, 0x80000000, v13
	v_mov_b32_e32 v0, v16
	s_mov_b32 s47, exec_lo
                                        ; implicit-def: $vgpr18_vgpr19
	v_cndmask_b32_e32 v1, v17, v1, vcc_lo
	v_cmp_gt_f64_e32 vcc_lo, 0, v[12:13]
	v_cndmask_b32_e32 v3, v13, v2, vcc_lo
	v_mov_b32_e32 v2, v12
	v_cmpx_ngt_f64_e32 v[0:1], v[2:3]
	s_xor_b32 s47, exec_lo, s47
	s_cbranch_execnz .LBB43_30
; %bb.28:                               ;   in Loop: Header=BB43_9 Depth=3
	s_andn2_saveexec_b32 s47, s47
	s_cbranch_execnz .LBB43_33
.LBB43_29:                              ;   in Loop: Header=BB43_9 Depth=3
	s_or_b32 exec_lo, exec_lo, s47
	v_cmp_class_f64_e64 s48, v[18:19], 0x1f8
	s_and_saveexec_b32 s47, s48
	s_cbranch_execz .LBB43_8
	s_branch .LBB43_34
.LBB43_30:                              ;   in Loop: Header=BB43_9 Depth=3
	v_mov_b32_e32 v18, 0
	v_mov_b32_e32 v19, 0
	s_mov_b32 s48, exec_lo
	v_cmpx_neq_f64_e32 0, v[12:13]
	s_cbranch_execz .LBB43_32
; %bb.31:                               ;   in Loop: Header=BB43_9 Depth=3
	v_div_scale_f64 v[18:19], null, v[2:3], v[2:3], v[0:1]
	v_div_scale_f64 v[35:36], vcc_lo, v[0:1], v[2:3], v[0:1]
	v_rcp_f64_e32 v[20:21], v[18:19]
	v_fma_f64 v[22:23], -v[18:19], v[20:21], 1.0
	v_fma_f64 v[20:21], v[20:21], v[22:23], v[20:21]
	v_fma_f64 v[22:23], -v[18:19], v[20:21], 1.0
	v_fma_f64 v[20:21], v[20:21], v[22:23], v[20:21]
	v_mul_f64 v[22:23], v[35:36], v[20:21]
	v_fma_f64 v[18:19], -v[18:19], v[22:23], v[35:36]
	v_div_fmas_f64 v[18:19], v[18:19], v[20:21], v[22:23]
	v_div_fixup_f64 v[0:1], v[18:19], v[2:3], v[0:1]
	v_fma_f64 v[0:1], v[0:1], v[0:1], 1.0
	v_cmp_gt_f64_e32 vcc_lo, 0x10000000, v[0:1]
	v_cndmask_b32_e64 v8, 0, 0x100, vcc_lo
	v_ldexp_f64 v[0:1], v[0:1], v8
	v_cndmask_b32_e64 v8, 0, 0xffffff80, vcc_lo
	v_rsq_f64_e32 v[18:19], v[0:1]
	v_cmp_class_f64_e64 vcc_lo, v[0:1], 0x260
	v_mul_f64 v[20:21], v[0:1], v[18:19]
	v_mul_f64 v[18:19], v[18:19], 0.5
	v_fma_f64 v[22:23], -v[18:19], v[20:21], 0.5
	v_fma_f64 v[20:21], v[20:21], v[22:23], v[20:21]
	v_fma_f64 v[18:19], v[18:19], v[22:23], v[18:19]
	v_fma_f64 v[22:23], -v[20:21], v[20:21], v[0:1]
	v_fma_f64 v[20:21], v[22:23], v[18:19], v[20:21]
	v_fma_f64 v[22:23], -v[20:21], v[20:21], v[0:1]
	v_fma_f64 v[18:19], v[22:23], v[18:19], v[20:21]
	v_ldexp_f64 v[18:19], v[18:19], v8
	v_cndmask_b32_e32 v1, v19, v1, vcc_lo
	v_cndmask_b32_e32 v0, v18, v0, vcc_lo
	v_mul_f64 v[18:19], v[2:3], v[0:1]
.LBB43_32:                              ;   in Loop: Header=BB43_9 Depth=3
	s_or_b32 exec_lo, exec_lo, s48
                                        ; implicit-def: $vgpr0_vgpr1
                                        ; implicit-def: $vgpr2_vgpr3
	s_andn2_saveexec_b32 s47, s47
	s_cbranch_execz .LBB43_29
.LBB43_33:                              ;   in Loop: Header=BB43_9 Depth=3
	v_div_scale_f64 v[18:19], null, v[0:1], v[0:1], v[2:3]
	v_div_scale_f64 v[35:36], vcc_lo, v[2:3], v[0:1], v[2:3]
	v_rcp_f64_e32 v[20:21], v[18:19]
	v_fma_f64 v[22:23], -v[18:19], v[20:21], 1.0
	v_fma_f64 v[20:21], v[20:21], v[22:23], v[20:21]
	v_fma_f64 v[22:23], -v[18:19], v[20:21], 1.0
	v_fma_f64 v[20:21], v[20:21], v[22:23], v[20:21]
	v_mul_f64 v[22:23], v[35:36], v[20:21]
	v_fma_f64 v[18:19], -v[18:19], v[22:23], v[35:36]
	v_div_fmas_f64 v[18:19], v[18:19], v[20:21], v[22:23]
	v_div_fixup_f64 v[2:3], v[18:19], v[0:1], v[2:3]
	v_fma_f64 v[2:3], v[2:3], v[2:3], 1.0
	v_cmp_gt_f64_e32 vcc_lo, 0x10000000, v[2:3]
	v_cndmask_b32_e64 v8, 0, 0x100, vcc_lo
	v_ldexp_f64 v[2:3], v[2:3], v8
	v_cndmask_b32_e64 v8, 0, 0xffffff80, vcc_lo
	v_rsq_f64_e32 v[18:19], v[2:3]
	v_cmp_class_f64_e64 vcc_lo, v[2:3], 0x260
	v_mul_f64 v[20:21], v[2:3], v[18:19]
	v_mul_f64 v[18:19], v[18:19], 0.5
	v_fma_f64 v[22:23], -v[18:19], v[20:21], 0.5
	v_fma_f64 v[20:21], v[20:21], v[22:23], v[20:21]
	v_fma_f64 v[18:19], v[18:19], v[22:23], v[18:19]
	v_fma_f64 v[22:23], -v[20:21], v[20:21], v[2:3]
	v_fma_f64 v[20:21], v[22:23], v[18:19], v[20:21]
	v_fma_f64 v[22:23], -v[20:21], v[20:21], v[2:3]
	v_fma_f64 v[18:19], v[22:23], v[18:19], v[20:21]
	v_ldexp_f64 v[18:19], v[18:19], v8
	v_cndmask_b32_e32 v3, v19, v3, vcc_lo
	v_cndmask_b32_e32 v2, v18, v2, vcc_lo
	v_mul_f64 v[18:19], v[0:1], v[2:3]
	s_or_b32 exec_lo, exec_lo, s47
	v_cmp_class_f64_e64 s48, v[18:19], 0x1f8
	s_and_saveexec_b32 s47, s48
	s_cbranch_execz .LBB43_8
.LBB43_34:                              ;   in Loop: Header=BB43_9 Depth=3
	s_mov_b32 s48, 0
                                        ; implicit-def: $vgpr0_vgpr1
	s_and_saveexec_b32 s49, s3
	s_xor_b32 s3, exec_lo, s49
	s_cbranch_execnz .LBB43_37
; %bb.35:                               ;   in Loop: Header=BB43_9 Depth=3
	s_andn2_saveexec_b32 s3, s3
	s_cbranch_execnz .LBB43_50
.LBB43_36:                              ;   in Loop: Header=BB43_9 Depth=3
	s_or_b32 exec_lo, exec_lo, s3
	s_and_b32 exec_lo, exec_lo, s48
	s_cbranch_execz .LBB43_8
	s_branch .LBB43_59
.LBB43_37:                              ;   in Loop: Header=BB43_9 Depth=3
	s_mov_b32 s49, exec_lo
                                        ; implicit-def: $vgpr0_vgpr1
	v_cmpx_ge_i32_e64 v6, v10
	s_xor_b32 s49, exec_lo, s49
	s_cbranch_execz .LBB43_39
; %bb.38:                               ;   in Loop: Header=BB43_9 Depth=3
	v_lshlrev_b64 v[0:1], 4, v[10:11]
	s_mov_b32 s48, exec_lo
                                        ; implicit-def: $vgpr15
                                        ; implicit-def: $vgpr34
                                        ; implicit-def: $vgpr14
	v_add_co_u32 v0, vcc_lo, s38, v0
	v_add_co_ci_u32_e64 v1, null, s39, v1, vcc_lo
	global_store_dwordx2 v[0:1], v[16:17], off
                                        ; implicit-def: $vgpr16_vgpr17
.LBB43_39:                              ;   in Loop: Header=BB43_9 Depth=3
	s_andn2_saveexec_b32 s49, s49
	s_cbranch_execz .LBB43_49
; %bb.40:                               ;   in Loop: Header=BB43_9 Depth=3
	s_mov_b32 s51, s48
	s_mov_b32 s50, exec_lo
                                        ; implicit-def: $vgpr0_vgpr1
	v_cmpx_lt_i32_e64 v15, v34
	s_cbranch_execz .LBB43_48
; %bb.41:                               ;   in Loop: Header=BB43_9 Depth=3
	s_mov_b32 s52, 0
                                        ; implicit-def: $sgpr51
                                        ; implicit-def: $sgpr54
                                        ; implicit-def: $sgpr53
	s_inst_prefetch 0x1
	s_branch .LBB43_43
	.p2align	6
.LBB43_42:                              ;   in Loop: Header=BB43_43 Depth=4
	s_or_b32 exec_lo, exec_lo, s55
	s_and_b32 s55, exec_lo, s54
	s_or_b32 s52, s55, s52
	s_andn2_b32 s51, s51, exec_lo
	s_and_b32 s55, s53, exec_lo
	s_or_b32 s51, s51, s55
	s_andn2_b32 exec_lo, exec_lo, s52
	s_cbranch_execz .LBB43_45
.LBB43_43:                              ;   Parent Loop BB43_3 Depth=1
                                        ;     Parent Loop BB43_5 Depth=2
                                        ;       Parent Loop BB43_9 Depth=3
                                        ; =>      This Inner Loop Header: Depth=4
	v_add_nc_u32_e32 v2, v14, v15
	s_or_b32 s53, s53, exec_lo
	s_or_b32 s54, s54, exec_lo
	s_mov_b32 s55, exec_lo
	v_ashrrev_i32_e32 v3, 31, v2
	v_lshlrev_b64 v[0:1], 2, v[2:3]
	v_add_co_u32 v0, vcc_lo, s12, v0
	v_add_co_ci_u32_e64 v1, null, s13, v1, vcc_lo
	global_load_dword v0, v[0:1], off
	s_waitcnt vmcnt(0)
	v_subrev_nc_u32_e32 v0, s44, v0
	v_cmpx_ne_u32_e64 v0, v6
	s_cbranch_execz .LBB43_42
; %bb.44:                               ;   in Loop: Header=BB43_43 Depth=4
	v_add_nc_u32_e32 v15, 1, v15
	s_andn2_b32 s54, s54, exec_lo
	s_andn2_b32 s53, s53, exec_lo
	v_cmp_ge_i32_e32 vcc_lo, v15, v34
	s_and_b32 s56, vcc_lo, exec_lo
	s_or_b32 s54, s54, s56
	s_branch .LBB43_42
.LBB43_45:                              ;   in Loop: Header=BB43_9 Depth=3
	s_inst_prefetch 0x2
	s_or_b32 exec_lo, exec_lo, s52
	s_mov_b32 s52, s48
                                        ; implicit-def: $vgpr0_vgpr1
	s_and_saveexec_b32 s53, s51
	s_xor_b32 s51, exec_lo, s53
	s_cbranch_execz .LBB43_47
; %bb.46:                               ;   in Loop: Header=BB43_9 Depth=3
	v_lshlrev_b64 v[0:1], 4, v[2:3]
	s_or_b32 s52, s48, exec_lo
	v_add_co_u32 v0, vcc_lo, s6, v0
	v_add_co_ci_u32_e64 v1, null, s7, v1, vcc_lo
	global_store_dwordx2 v[0:1], v[16:17], off
.LBB43_47:                              ;   in Loop: Header=BB43_9 Depth=3
	s_or_b32 exec_lo, exec_lo, s51
	s_andn2_b32 s51, s48, exec_lo
	s_and_b32 s52, s52, exec_lo
	s_or_b32 s51, s51, s52
.LBB43_48:                              ;   in Loop: Header=BB43_9 Depth=3
	s_or_b32 exec_lo, exec_lo, s50
	s_andn2_b32 s48, s48, exec_lo
	s_and_b32 s50, s51, exec_lo
	s_or_b32 s48, s48, s50
.LBB43_49:                              ;   in Loop: Header=BB43_9 Depth=3
	s_or_b32 exec_lo, exec_lo, s49
	s_and_b32 s48, s48, exec_lo
                                        ; implicit-def: $vgpr16_vgpr17
                                        ; implicit-def: $vgpr10_vgpr11
	s_andn2_saveexec_b32 s3, s3
	s_cbranch_execz .LBB43_36
.LBB43_50:                              ;   in Loop: Header=BB43_9 Depth=3
	s_mov_b32 s50, s48
	s_mov_b32 s49, exec_lo
                                        ; implicit-def: $vgpr0_vgpr1
	v_cmpx_lt_i32_e64 v4, v29
	s_cbranch_execz .LBB43_58
; %bb.51:                               ;   in Loop: Header=BB43_9 Depth=3
	s_mov_b32 s51, 0
                                        ; implicit-def: $sgpr50
                                        ; implicit-def: $sgpr53
                                        ; implicit-def: $sgpr52
	s_inst_prefetch 0x1
	s_branch .LBB43_53
	.p2align	6
.LBB43_52:                              ;   in Loop: Header=BB43_53 Depth=4
	s_or_b32 exec_lo, exec_lo, s54
	s_and_b32 s54, exec_lo, s53
	s_or_b32 s51, s54, s51
	s_andn2_b32 s50, s50, exec_lo
	s_and_b32 s54, s52, exec_lo
	s_or_b32 s50, s50, s54
	s_andn2_b32 exec_lo, exec_lo, s51
	s_cbranch_execz .LBB43_55
.LBB43_53:                              ;   Parent Loop BB43_3 Depth=1
                                        ;     Parent Loop BB43_5 Depth=2
                                        ;       Parent Loop BB43_9 Depth=3
                                        ; =>      This Inner Loop Header: Depth=4
	v_add_nc_u32_e32 v2, v9, v4
	s_or_b32 s52, s52, exec_lo
	s_or_b32 s53, s53, exec_lo
	s_mov_b32 s54, exec_lo
	v_ashrrev_i32_e32 v3, 31, v2
	v_lshlrev_b64 v[0:1], 2, v[2:3]
	v_add_co_u32 v0, vcc_lo, s20, v0
	v_add_co_ci_u32_e64 v1, null, s21, v1, vcc_lo
	global_load_dword v0, v[0:1], off
	s_waitcnt vmcnt(0)
	v_subrev_nc_u32_e32 v0, s43, v0
	v_cmpx_ne_u32_e64 v0, v10
	s_cbranch_execz .LBB43_52
; %bb.54:                               ;   in Loop: Header=BB43_53 Depth=4
	v_add_nc_u32_e32 v4, 1, v4
	s_andn2_b32 s53, s53, exec_lo
	s_andn2_b32 s52, s52, exec_lo
	v_cmp_ge_i32_e32 vcc_lo, v4, v29
	s_and_b32 s55, vcc_lo, exec_lo
	s_or_b32 s53, s53, s55
	s_branch .LBB43_52
.LBB43_55:                              ;   in Loop: Header=BB43_9 Depth=3
	s_inst_prefetch 0x2
	s_or_b32 exec_lo, exec_lo, s51
	s_mov_b32 s51, s48
                                        ; implicit-def: $vgpr0_vgpr1
	s_and_saveexec_b32 s52, s50
	s_xor_b32 s50, exec_lo, s52
	s_cbranch_execz .LBB43_57
; %bb.56:                               ;   in Loop: Header=BB43_9 Depth=3
	v_lshlrev_b64 v[0:1], 4, v[2:3]
	s_or_b32 s51, s48, exec_lo
	v_add_co_u32 v0, vcc_lo, s40, v0
	v_add_co_ci_u32_e64 v1, null, s41, v1, vcc_lo
	global_store_dwordx2 v[0:1], v[16:17], off
.LBB43_57:                              ;   in Loop: Header=BB43_9 Depth=3
	s_or_b32 exec_lo, exec_lo, s50
	s_andn2_b32 s50, s48, exec_lo
	s_and_b32 s51, s51, exec_lo
	s_or_b32 s50, s50, s51
.LBB43_58:                              ;   in Loop: Header=BB43_9 Depth=3
	s_or_b32 exec_lo, exec_lo, s49
	s_andn2_b32 s48, s48, exec_lo
	s_and_b32 s49, s50, exec_lo
	s_or_b32 s48, s48, s49
	s_or_b32 exec_lo, exec_lo, s3
	s_and_b32 exec_lo, exec_lo, s48
	s_cbranch_execz .LBB43_8
.LBB43_59:                              ;   in Loop: Header=BB43_9 Depth=3
	global_store_dwordx2 v[0:1], v[12:13], off offset:8
	s_branch .LBB43_8
.LBB43_60:                              ;   in Loop: Header=BB43_3 Depth=1
	s_and_saveexec_b32 s3, s0
	s_cbranch_execz .LBB43_2
; %bb.61:                               ;   in Loop: Header=BB43_3 Depth=1
	v_mov_b32_e32 v0, v24
	s_branch .LBB43_63
.LBB43_62:                              ;   in Loop: Header=BB43_63 Depth=2
	s_or_b32 exec_lo, exec_lo, s45
	v_add_nc_u32_e32 v0, 0x200, v0
	v_cmp_le_u32_e32 vcc_lo, s4, v0
	s_or_b32 s5, vcc_lo, s5
	s_andn2_b32 exec_lo, exec_lo, s5
	s_cbranch_execz .LBB43_2
.LBB43_63:                              ;   Parent Loop BB43_3 Depth=1
                                        ; =>  This Loop Header: Depth=2
                                        ;       Child Loop BB43_66 Depth 3
                                        ;       Child Loop BB43_69 Depth 3
	s_mov_b32 s45, exec_lo
	v_cmpx_gt_i32_e64 s35, v0
	s_cbranch_execz .LBB43_62
; %bb.64:                               ;   in Loop: Header=BB43_63 Depth=2
	v_ashrrev_i32_e32 v1, 31, v0
	s_mov_b32 s46, exec_lo
	v_lshlrev_b64 v[2:3], 2, v[0:1]
	v_add_co_u32 v6, vcc_lo, s16, v2
	v_add_co_ci_u32_e64 v7, null, s17, v3, vcc_lo
	v_add_co_u32 v8, vcc_lo, s18, v2
	v_add_co_ci_u32_e64 v9, null, s19, v3, vcc_lo
	global_load_dword v4, v[6:7], off
	global_load_dword v7, v[8:9], off
	s_waitcnt vmcnt(1)
	v_add_nc_u32_e32 v6, v26, v4
	s_waitcnt vmcnt(0)
	v_subrev_nc_u32_e32 v4, s43, v7
	v_cmpx_lt_i32_e64 v6, v4
	s_cbranch_execz .LBB43_67
; %bb.65:                               ;   in Loop: Header=BB43_63 Depth=2
	v_ashrrev_i32_e32 v7, 31, v6
	s_mov_b32 s47, 0
	v_lshlrev_b64 v[9:10], 4, v[6:7]
	v_add_co_u32 v7, vcc_lo, s22, v9
	v_add_co_ci_u32_e64 v8, null, s23, v10, vcc_lo
	v_add_co_u32 v9, vcc_lo, s40, v9
	v_add_co_ci_u32_e64 v10, null, s41, v10, vcc_lo
	.p2align	6
.LBB43_66:                              ;   Parent Loop BB43_3 Depth=1
                                        ;     Parent Loop BB43_63 Depth=2
                                        ; =>    This Inner Loop Header: Depth=3
	global_load_dwordx4 v[11:14], v[9:10], off
	v_add_nc_u32_e32 v6, 2, v6
	v_add_co_u32 v9, vcc_lo, v9, 32
	v_add_co_ci_u32_e64 v10, null, 0, v10, vcc_lo
	v_cmp_ge_i32_e32 vcc_lo, v6, v4
	s_or_b32 s47, vcc_lo, s47
	s_waitcnt vmcnt(0)
	global_store_dwordx4 v[7:8], v[11:14], off
	v_add_co_u32 v7, s2, v7, 32
	v_add_co_ci_u32_e64 v8, null, 0, v8, s2
	s_andn2_b32 exec_lo, exec_lo, s47
	s_cbranch_execnz .LBB43_66
.LBB43_67:                              ;   in Loop: Header=BB43_63 Depth=2
	s_or_b32 exec_lo, exec_lo, s46
	v_add_co_u32 v6, vcc_lo, s8, v2
	v_add_co_ci_u32_e64 v7, null, s9, v3, vcc_lo
	v_add_co_u32 v2, vcc_lo, s10, v2
	v_add_co_ci_u32_e64 v3, null, s11, v3, vcc_lo
	global_load_dword v4, v[6:7], off
	global_load_dword v3, v[2:3], off
	s_mov_b32 s46, exec_lo
	s_waitcnt vmcnt(1)
	v_add_nc_u32_e32 v2, v27, v4
	s_waitcnt vmcnt(0)
	v_subrev_nc_u32_e32 v8, s44, v3
	v_cmpx_lt_i32_e64 v2, v8
	s_cbranch_execz .LBB43_70
; %bb.68:                               ;   in Loop: Header=BB43_63 Depth=2
	v_ashrrev_i32_e32 v3, 31, v2
	s_mov_b32 s47, 0
	v_lshlrev_b64 v[6:7], 4, v[2:3]
	v_add_co_u32 v3, vcc_lo, s14, v6
	v_add_co_ci_u32_e64 v4, null, s15, v7, vcc_lo
	v_add_co_u32 v6, vcc_lo, s6, v6
	v_add_co_ci_u32_e64 v7, null, s7, v7, vcc_lo
	.p2align	6
.LBB43_69:                              ;   Parent Loop BB43_3 Depth=1
                                        ;     Parent Loop BB43_63 Depth=2
                                        ; =>    This Inner Loop Header: Depth=3
	global_load_dwordx4 v[9:12], v[6:7], off
	v_add_nc_u32_e32 v2, 2, v2
	v_add_co_u32 v6, vcc_lo, v6, 32
	v_add_co_ci_u32_e64 v7, null, 0, v7, vcc_lo
	v_cmp_ge_i32_e32 vcc_lo, v2, v8
	s_or_b32 s47, vcc_lo, s47
	s_waitcnt vmcnt(0)
	global_store_dwordx4 v[3:4], v[9:12], off
	v_add_co_u32 v3, s2, v3, 32
	v_add_co_ci_u32_e64 v4, null, 0, v4, s2
	s_andn2_b32 exec_lo, exec_lo, s47
	s_cbranch_execnz .LBB43_69
.LBB43_70:                              ;   in Loop: Header=BB43_63 Depth=2
	s_or_b32 exec_lo, exec_lo, s46
	s_and_b32 exec_lo, exec_lo, s1
	s_cbranch_execz .LBB43_62
; %bb.71:                               ;   in Loop: Header=BB43_63 Depth=2
	v_lshlrev_b64 v[6:7], 4, v[0:1]
	v_add_co_u32 v1, vcc_lo, s38, v6
	v_add_co_ci_u32_e64 v2, null, s39, v7, vcc_lo
	v_add_co_u32 v6, vcc_lo, s36, v6
	v_add_co_ci_u32_e64 v7, null, s37, v7, vcc_lo
	global_load_dwordx4 v[1:4], v[1:2], off
	s_waitcnt vmcnt(0)
	global_store_dwordx4 v[6:7], v[1:4], off
	s_branch .LBB43_62
.LBB43_72:
	s_endpgm
	.section	.rodata,"a",@progbits
	.p2align	6, 0x0
	.amdhsa_kernel _ZN9rocsparseL14kernel_freerunILi1024ELi2E21rocsparse_complex_numIdEiiEEvT3_S3_T2_PKS4_S6_PKS3_PKT1_21rocsparse_index_base_S6_S6_S8_PS9_SD_SC_S6_S6_S8_SD_SD_SC_SD_SD_
		.amdhsa_group_segment_fixed_size 0
		.amdhsa_private_segment_fixed_size 0
		.amdhsa_kernarg_size 168
		.amdhsa_user_sgpr_count 6
		.amdhsa_user_sgpr_private_segment_buffer 1
		.amdhsa_user_sgpr_dispatch_ptr 0
		.amdhsa_user_sgpr_queue_ptr 0
		.amdhsa_user_sgpr_kernarg_segment_ptr 1
		.amdhsa_user_sgpr_dispatch_id 0
		.amdhsa_user_sgpr_flat_scratch_init 0
		.amdhsa_user_sgpr_private_segment_size 0
		.amdhsa_wavefront_size32 1
		.amdhsa_uses_dynamic_stack 0
		.amdhsa_system_sgpr_private_segment_wavefront_offset 0
		.amdhsa_system_sgpr_workgroup_id_x 1
		.amdhsa_system_sgpr_workgroup_id_y 0
		.amdhsa_system_sgpr_workgroup_id_z 0
		.amdhsa_system_sgpr_workgroup_info 0
		.amdhsa_system_vgpr_workitem_id 0
		.amdhsa_next_free_vgpr 43
		.amdhsa_next_free_sgpr 57
		.amdhsa_reserve_vcc 1
		.amdhsa_reserve_flat_scratch 0
		.amdhsa_float_round_mode_32 0
		.amdhsa_float_round_mode_16_64 0
		.amdhsa_float_denorm_mode_32 3
		.amdhsa_float_denorm_mode_16_64 3
		.amdhsa_dx10_clamp 1
		.amdhsa_ieee_mode 1
		.amdhsa_fp16_overflow 0
		.amdhsa_workgroup_processor_mode 1
		.amdhsa_memory_ordered 1
		.amdhsa_forward_progress 1
		.amdhsa_shared_vgpr_count 0
		.amdhsa_exception_fp_ieee_invalid_op 0
		.amdhsa_exception_fp_denorm_src 0
		.amdhsa_exception_fp_ieee_div_zero 0
		.amdhsa_exception_fp_ieee_overflow 0
		.amdhsa_exception_fp_ieee_underflow 0
		.amdhsa_exception_fp_ieee_inexact 0
		.amdhsa_exception_int_div_zero 0
	.end_amdhsa_kernel
	.section	.text._ZN9rocsparseL14kernel_freerunILi1024ELi2E21rocsparse_complex_numIdEiiEEvT3_S3_T2_PKS4_S6_PKS3_PKT1_21rocsparse_index_base_S6_S6_S8_PS9_SD_SC_S6_S6_S8_SD_SD_SC_SD_SD_,"axG",@progbits,_ZN9rocsparseL14kernel_freerunILi1024ELi2E21rocsparse_complex_numIdEiiEEvT3_S3_T2_PKS4_S6_PKS3_PKT1_21rocsparse_index_base_S6_S6_S8_PS9_SD_SC_S6_S6_S8_SD_SD_SC_SD_SD_,comdat
.Lfunc_end43:
	.size	_ZN9rocsparseL14kernel_freerunILi1024ELi2E21rocsparse_complex_numIdEiiEEvT3_S3_T2_PKS4_S6_PKS3_PKT1_21rocsparse_index_base_S6_S6_S8_PS9_SD_SC_S6_S6_S8_SD_SD_SC_SD_SD_, .Lfunc_end43-_ZN9rocsparseL14kernel_freerunILi1024ELi2E21rocsparse_complex_numIdEiiEEvT3_S3_T2_PKS4_S6_PKS3_PKT1_21rocsparse_index_base_S6_S6_S8_PS9_SD_SC_S6_S6_S8_SD_SD_SC_SD_SD_
                                        ; -- End function
	.set _ZN9rocsparseL14kernel_freerunILi1024ELi2E21rocsparse_complex_numIdEiiEEvT3_S3_T2_PKS4_S6_PKS3_PKT1_21rocsparse_index_base_S6_S6_S8_PS9_SD_SC_S6_S6_S8_SD_SD_SC_SD_SD_.num_vgpr, 43
	.set _ZN9rocsparseL14kernel_freerunILi1024ELi2E21rocsparse_complex_numIdEiiEEvT3_S3_T2_PKS4_S6_PKS3_PKT1_21rocsparse_index_base_S6_S6_S8_PS9_SD_SC_S6_S6_S8_SD_SD_SC_SD_SD_.num_agpr, 0
	.set _ZN9rocsparseL14kernel_freerunILi1024ELi2E21rocsparse_complex_numIdEiiEEvT3_S3_T2_PKS4_S6_PKS3_PKT1_21rocsparse_index_base_S6_S6_S8_PS9_SD_SC_S6_S6_S8_SD_SD_SC_SD_SD_.numbered_sgpr, 57
	.set _ZN9rocsparseL14kernel_freerunILi1024ELi2E21rocsparse_complex_numIdEiiEEvT3_S3_T2_PKS4_S6_PKS3_PKT1_21rocsparse_index_base_S6_S6_S8_PS9_SD_SC_S6_S6_S8_SD_SD_SC_SD_SD_.num_named_barrier, 0
	.set _ZN9rocsparseL14kernel_freerunILi1024ELi2E21rocsparse_complex_numIdEiiEEvT3_S3_T2_PKS4_S6_PKS3_PKT1_21rocsparse_index_base_S6_S6_S8_PS9_SD_SC_S6_S6_S8_SD_SD_SC_SD_SD_.private_seg_size, 0
	.set _ZN9rocsparseL14kernel_freerunILi1024ELi2E21rocsparse_complex_numIdEiiEEvT3_S3_T2_PKS4_S6_PKS3_PKT1_21rocsparse_index_base_S6_S6_S8_PS9_SD_SC_S6_S6_S8_SD_SD_SC_SD_SD_.uses_vcc, 1
	.set _ZN9rocsparseL14kernel_freerunILi1024ELi2E21rocsparse_complex_numIdEiiEEvT3_S3_T2_PKS4_S6_PKS3_PKT1_21rocsparse_index_base_S6_S6_S8_PS9_SD_SC_S6_S6_S8_SD_SD_SC_SD_SD_.uses_flat_scratch, 0
	.set _ZN9rocsparseL14kernel_freerunILi1024ELi2E21rocsparse_complex_numIdEiiEEvT3_S3_T2_PKS4_S6_PKS3_PKT1_21rocsparse_index_base_S6_S6_S8_PS9_SD_SC_S6_S6_S8_SD_SD_SC_SD_SD_.has_dyn_sized_stack, 0
	.set _ZN9rocsparseL14kernel_freerunILi1024ELi2E21rocsparse_complex_numIdEiiEEvT3_S3_T2_PKS4_S6_PKS3_PKT1_21rocsparse_index_base_S6_S6_S8_PS9_SD_SC_S6_S6_S8_SD_SD_SC_SD_SD_.has_recursion, 0
	.set _ZN9rocsparseL14kernel_freerunILi1024ELi2E21rocsparse_complex_numIdEiiEEvT3_S3_T2_PKS4_S6_PKS3_PKT1_21rocsparse_index_base_S6_S6_S8_PS9_SD_SC_S6_S6_S8_SD_SD_SC_SD_SD_.has_indirect_call, 0
	.section	.AMDGPU.csdata,"",@progbits
; Kernel info:
; codeLenInByte = 3928
; TotalNumSgprs: 59
; NumVgprs: 43
; ScratchSize: 0
; MemoryBound: 1
; FloatMode: 240
; IeeeMode: 1
; LDSByteSize: 0 bytes/workgroup (compile time only)
; SGPRBlocks: 0
; VGPRBlocks: 5
; NumSGPRsForWavesPerEU: 59
; NumVGPRsForWavesPerEU: 43
; Occupancy: 16
; WaveLimiterHint : 1
; COMPUTE_PGM_RSRC2:SCRATCH_EN: 0
; COMPUTE_PGM_RSRC2:USER_SGPR: 6
; COMPUTE_PGM_RSRC2:TRAP_HANDLER: 0
; COMPUTE_PGM_RSRC2:TGID_X_EN: 1
; COMPUTE_PGM_RSRC2:TGID_Y_EN: 0
; COMPUTE_PGM_RSRC2:TGID_Z_EN: 0
; COMPUTE_PGM_RSRC2:TIDIG_COMP_CNT: 0
	.section	.text._ZN9rocsparseL14kernel_freerunILi1024ELi4E21rocsparse_complex_numIdEiiEEvT3_S3_T2_PKS4_S6_PKS3_PKT1_21rocsparse_index_base_S6_S6_S8_PS9_SD_SC_S6_S6_S8_SD_SD_SC_SD_SD_,"axG",@progbits,_ZN9rocsparseL14kernel_freerunILi1024ELi4E21rocsparse_complex_numIdEiiEEvT3_S3_T2_PKS4_S6_PKS3_PKT1_21rocsparse_index_base_S6_S6_S8_PS9_SD_SC_S6_S6_S8_SD_SD_SC_SD_SD_,comdat
	.globl	_ZN9rocsparseL14kernel_freerunILi1024ELi4E21rocsparse_complex_numIdEiiEEvT3_S3_T2_PKS4_S6_PKS3_PKT1_21rocsparse_index_base_S6_S6_S8_PS9_SD_SC_S6_S6_S8_SD_SD_SC_SD_SD_ ; -- Begin function _ZN9rocsparseL14kernel_freerunILi1024ELi4E21rocsparse_complex_numIdEiiEEvT3_S3_T2_PKS4_S6_PKS3_PKT1_21rocsparse_index_base_S6_S6_S8_PS9_SD_SC_S6_S6_S8_SD_SD_SC_SD_SD_
	.p2align	8
	.type	_ZN9rocsparseL14kernel_freerunILi1024ELi4E21rocsparse_complex_numIdEiiEEvT3_S3_T2_PKS4_S6_PKS3_PKT1_21rocsparse_index_base_S6_S6_S8_PS9_SD_SC_S6_S6_S8_SD_SD_SC_SD_SD_,@function
_ZN9rocsparseL14kernel_freerunILi1024ELi4E21rocsparse_complex_numIdEiiEEvT3_S3_T2_PKS4_S6_PKS3_PKT1_21rocsparse_index_base_S6_S6_S8_PS9_SD_SC_S6_S6_S8_SD_SD_SC_SD_SD_: ; @_ZN9rocsparseL14kernel_freerunILi1024ELi4E21rocsparse_complex_numIdEiiEEvT3_S3_T2_PKS4_S6_PKS3_PKT1_21rocsparse_index_base_S6_S6_S8_PS9_SD_SC_S6_S6_S8_SD_SD_SC_SD_SD_
; %bb.0:
	s_load_dwordx2 s[34:35], s[4:5], 0x0
	v_lshrrev_b32_e32 v1, 2, v0
	s_lshl_b32 s0, s6, 10
	s_mov_b32 s33, 0
	v_or_b32_e32 v24, s0, v1
	s_waitcnt lgkmcnt(0)
	v_cmp_gt_i32_e32 vcc_lo, s35, v24
	s_cmp_gt_i32 s34, 0
	s_cselect_b32 s1, -1, 0
	s_and_b32 s1, vcc_lo, s1
	s_and_saveexec_b32 s2, s1
	s_cbranch_execz .LBB44_72
; %bb.1:
	s_clause 0x8
	s_load_dword s42, s[4:5], 0x30
	s_load_dword s43, s[4:5], 0x60
	;; [unrolled: 1-line block ×3, first 2 shown]
	s_load_dwordx2 s[6:7], s[4:5], 0x88
	s_load_dwordx2 s[40:41], s[4:5], 0x58
	s_load_dwordx4 s[36:39], s[4:5], 0x98
	s_load_dwordx8 s[8:15], s[4:5], 0x68
	s_load_dwordx8 s[16:23], s[4:5], 0x38
	;; [unrolled: 1-line block ×3, first 2 shown]
	v_and_b32_e32 v0, 3, v0
	s_add_i32 s4, s0, 0x400
	v_mov_b32_e32 v5, 0
	v_cmp_gt_u32_e64 s0, s4, v24
	v_cmp_eq_u32_e64 s1, 0, v0
	s_waitcnt lgkmcnt(0)
	v_subrev_nc_u32_e32 v25, s42, v0
	v_subrev_nc_u32_e32 v26, s43, v0
	;; [unrolled: 1-line block ×3, first 2 shown]
	s_branch .LBB44_3
.LBB44_2:                               ;   in Loop: Header=BB44_3 Depth=1
	s_or_b32 exec_lo, exec_lo, s3
	s_add_i32 s33, s33, 1
	s_cmp_eq_u32 s33, s34
	s_cbranch_scc1 .LBB44_72
.LBB44_3:                               ; =>This Loop Header: Depth=1
                                        ;     Child Loop BB44_5 Depth 2
                                        ;       Child Loop BB44_9 Depth 3
                                        ;         Child Loop BB44_13 Depth 4
                                        ;         Child Loop BB44_43 Depth 4
	;; [unrolled: 1-line block ×3, first 2 shown]
                                        ;     Child Loop BB44_63 Depth 2
                                        ;       Child Loop BB44_66 Depth 3
                                        ;       Child Loop BB44_69 Depth 3
	s_mov_b32 s5, 0
	s_branch .LBB44_5
.LBB44_4:                               ;   in Loop: Header=BB44_5 Depth=2
	s_or_b32 exec_lo, exec_lo, s45
	s_add_i32 s5, s5, 1
	s_cmp_eq_u32 s5, 4
	s_cbranch_scc1 .LBB44_60
.LBB44_5:                               ;   Parent Loop BB44_3 Depth=1
                                        ; =>  This Loop Header: Depth=2
                                        ;       Child Loop BB44_9 Depth 3
                                        ;         Child Loop BB44_13 Depth 4
                                        ;         Child Loop BB44_43 Depth 4
	;; [unrolled: 1-line block ×3, first 2 shown]
	v_lshl_add_u32 v6, s5, 8, v24
	s_mov_b32 s45, exec_lo
	v_cmpx_gt_i32_e64 s35, v6
	s_cbranch_execz .LBB44_4
; %bb.6:                                ;   in Loop: Header=BB44_5 Depth=2
	v_ashrrev_i32_e32 v7, 31, v6
	v_lshlrev_b64 v[0:1], 2, v[6:7]
	v_add_co_u32 v2, vcc_lo, s24, v0
	v_add_co_ci_u32_e64 v3, null, s25, v1, vcc_lo
	v_add_co_u32 v7, vcc_lo, s26, v0
	v_add_co_ci_u32_e64 v8, null, s27, v1, vcc_lo
	global_load_dword v2, v[2:3], off
	global_load_dword v3, v[7:8], off
	s_waitcnt vmcnt(1)
	v_add_nc_u32_e32 v7, v25, v2
	s_waitcnt vmcnt(0)
	v_subrev_nc_u32_e32 v28, s42, v3
	v_cmp_lt_i32_e32 vcc_lo, v7, v28
	s_and_b32 exec_lo, exec_lo, vcc_lo
	s_cbranch_execz .LBB44_4
; %bb.7:                                ;   in Loop: Header=BB44_5 Depth=2
	v_add_co_u32 v2, vcc_lo, s16, v0
	v_add_co_ci_u32_e64 v3, null, s17, v1, vcc_lo
	v_add_co_u32 v0, vcc_lo, s18, v0
	v_add_co_ci_u32_e64 v1, null, s19, v1, vcc_lo
	global_load_dword v2, v[2:3], off
	s_mov_b32 s46, 0
	global_load_dword v3, v[0:1], off
	s_waitcnt vmcnt(1)
	v_subrev_nc_u32_e32 v9, s43, v2
	s_waitcnt vmcnt(0)
	v_sub_nc_u32_e32 v29, v3, v2
	v_ashrrev_i32_e32 v10, 31, v9
	v_cmp_lt_i32_e64 s2, 0, v29
	v_lshlrev_b64 v[0:1], 2, v[9:10]
	v_lshlrev_b64 v[2:3], 4, v[9:10]
	v_add_co_u32 v30, vcc_lo, s20, v0
	v_add_co_ci_u32_e64 v31, null, s21, v1, vcc_lo
	v_add_co_u32 v32, vcc_lo, s22, v2
	v_add_co_ci_u32_e64 v33, null, s23, v3, vcc_lo
	s_branch .LBB44_9
.LBB44_8:                               ;   in Loop: Header=BB44_9 Depth=3
	s_or_b32 exec_lo, exec_lo, s47
	v_add_nc_u32_e32 v7, 4, v7
	v_cmp_ge_i32_e32 vcc_lo, v7, v28
	s_or_b32 s46, vcc_lo, s46
	s_andn2_b32 exec_lo, exec_lo, s46
	s_cbranch_execz .LBB44_4
.LBB44_9:                               ;   Parent Loop BB44_3 Depth=1
                                        ;     Parent Loop BB44_5 Depth=2
                                        ; =>    This Loop Header: Depth=3
                                        ;         Child Loop BB44_13 Depth 4
                                        ;         Child Loop BB44_43 Depth 4
	;; [unrolled: 1-line block ×3, first 2 shown]
	v_ashrrev_i32_e32 v8, 31, v7
	v_mov_b32_e32 v4, 0
	v_lshlrev_b64 v[0:1], 2, v[7:8]
	v_mov_b32_e32 v15, v4
	v_add_co_u32 v0, vcc_lo, s28, v0
	v_add_co_ci_u32_e64 v1, null, s29, v1, vcc_lo
	global_load_dword v0, v[0:1], off
	s_waitcnt vmcnt(0)
	v_subrev_nc_u32_e32 v10, s42, v0
	v_ashrrev_i32_e32 v11, 31, v10
	v_lshlrev_b64 v[0:1], 2, v[10:11]
	v_add_co_u32 v2, vcc_lo, s8, v0
	v_add_co_ci_u32_e64 v3, null, s9, v1, vcc_lo
	v_add_co_u32 v0, vcc_lo, s10, v0
	v_add_co_ci_u32_e64 v1, null, s11, v1, vcc_lo
	global_load_dword v12, v[2:3], off
	global_load_dword v13, v[0:1], off
	v_mov_b32_e32 v0, 0
	v_mov_b32_e32 v2, 0
	;; [unrolled: 1-line block ×4, first 2 shown]
	s_waitcnt vmcnt(1)
	v_subrev_nc_u32_e32 v14, s44, v12
	s_waitcnt vmcnt(0)
	v_sub_nc_u32_e32 v34, v13, v12
	s_and_saveexec_b32 s47, s2
	s_cbranch_execz .LBB44_17
; %bb.10:                               ;   in Loop: Header=BB44_9 Depth=3
	v_ashrrev_i32_e32 v15, 31, v14
	v_mov_b32_e32 v0, 0
	v_mov_b32_e32 v1, 0
	;; [unrolled: 1-line block ×3, first 2 shown]
	s_mov_b32 s48, 0
	v_lshlrev_b64 v[2:3], 2, v[14:15]
	v_lshlrev_b64 v[15:16], 4, v[14:15]
                                        ; implicit-def: $sgpr49
	v_add_co_u32 v12, vcc_lo, s12, v2
	v_add_co_ci_u32_e64 v13, null, s13, v3, vcc_lo
	v_add_co_u32 v17, vcc_lo, s14, v15
	v_mov_b32_e32 v2, 0
	v_add_co_ci_u32_e64 v18, null, s15, v16, vcc_lo
	v_mov_b32_e32 v15, 0
	v_mov_b32_e32 v3, 0
	s_branch .LBB44_13
.LBB44_11:                              ;   in Loop: Header=BB44_13 Depth=4
	s_or_b32 exec_lo, exec_lo, s3
	v_cmp_le_i32_e32 vcc_lo, v19, v20
	v_cmp_ge_i32_e64 s3, v19, v20
	v_add_co_ci_u32_e64 v4, null, 0, v4, vcc_lo
	v_add_co_ci_u32_e64 v15, null, 0, v15, s3
	s_andn2_b32 s3, s49, exec_lo
	v_cmp_ge_i32_e32 vcc_lo, v4, v29
	s_and_b32 s49, vcc_lo, exec_lo
	s_or_b32 s49, s3, s49
.LBB44_12:                              ;   in Loop: Header=BB44_13 Depth=4
	s_or_b32 exec_lo, exec_lo, s50
	s_and_b32 s3, exec_lo, s49
	s_or_b32 s48, s3, s48
	s_andn2_b32 exec_lo, exec_lo, s48
	s_cbranch_execz .LBB44_16
.LBB44_13:                              ;   Parent Loop BB44_3 Depth=1
                                        ;     Parent Loop BB44_5 Depth=2
                                        ;       Parent Loop BB44_9 Depth=3
                                        ; =>      This Inner Loop Header: Depth=4
	s_or_b32 s49, s49, exec_lo
	s_mov_b32 s50, exec_lo
	v_cmpx_lt_i32_e64 v15, v34
	s_cbranch_execz .LBB44_12
; %bb.14:                               ;   in Loop: Header=BB44_13 Depth=4
	v_mov_b32_e32 v16, v5
	v_lshlrev_b64 v[19:20], 2, v[4:5]
	s_mov_b32 s3, exec_lo
	v_lshlrev_b64 v[21:22], 2, v[15:16]
	v_add_co_u32 v19, vcc_lo, v30, v19
	v_add_co_ci_u32_e64 v20, null, v31, v20, vcc_lo
	v_add_co_u32 v21, vcc_lo, v12, v21
	v_add_co_ci_u32_e64 v22, null, v13, v22, vcc_lo
	global_load_dword v19, v[19:20], off
	global_load_dword v20, v[21:22], off
	s_waitcnt vmcnt(1)
	v_subrev_nc_u32_e32 v19, s43, v19
	s_waitcnt vmcnt(0)
	v_subrev_nc_u32_e32 v20, s44, v20
	v_cmpx_eq_u32_e64 v19, v20
	s_cbranch_execz .LBB44_11
; %bb.15:                               ;   in Loop: Header=BB44_13 Depth=4
	v_lshlrev_b64 v[21:22], 4, v[4:5]
	v_lshlrev_b64 v[35:36], 4, v[15:16]
	v_add_co_u32 v21, vcc_lo, v32, v21
	v_add_co_ci_u32_e64 v22, null, v33, v22, vcc_lo
	v_add_co_u32 v39, vcc_lo, v17, v35
	v_add_co_ci_u32_e64 v40, null, v18, v36, vcc_lo
	global_load_dwordx4 v[35:38], v[21:22], off
	global_load_dwordx4 v[39:42], v[39:40], off
	s_waitcnt vmcnt(0)
	v_fma_f64 v[0:1], v[35:36], v[39:40], v[0:1]
	v_fma_f64 v[2:3], v[37:38], v[39:40], v[2:3]
	v_fma_f64 v[0:1], -v[37:38], v[41:42], v[0:1]
	v_fma_f64 v[2:3], v[35:36], v[41:42], v[2:3]
	s_branch .LBB44_11
.LBB44_16:                              ;   in Loop: Header=BB44_9 Depth=3
	s_or_b32 exec_lo, exec_lo, s48
.LBB44_17:                              ;   in Loop: Header=BB44_9 Depth=3
	s_or_b32 exec_lo, exec_lo, s47
	v_lshlrev_b64 v[12:13], 4, v[7:8]
	v_cmp_le_i32_e64 s3, v6, v10
	s_mov_b32 s47, exec_lo
	v_add_co_u32 v12, vcc_lo, s30, v12
	v_add_co_ci_u32_e64 v13, null, s31, v13, vcc_lo
	global_load_dwordx4 v[16:19], v[12:13], off
	s_waitcnt vmcnt(0)
	v_add_f64 v[16:17], v[16:17], -v[0:1]
	v_add_f64 v[12:13], v[18:19], -v[2:3]
	v_cmpx_gt_i32_e64 v6, v10
	s_cbranch_execz .LBB44_27
; %bb.18:                               ;   in Loop: Header=BB44_9 Depth=3
	v_lshlrev_b64 v[0:1], 4, v[10:11]
	s_mov_b32 s48, exec_lo
                                        ; implicit-def: $vgpr22_vgpr23
	v_add_co_u32 v0, vcc_lo, s36, v0
	v_add_co_ci_u32_e64 v1, null, s37, v1, vcc_lo
	global_load_dwordx4 v[0:3], v[0:1], off
	s_waitcnt vmcnt(0)
	v_cmp_gt_f64_e32 vcc_lo, 0, v[0:1]
	v_xor_b32_e32 v8, 0x80000000, v1
	v_xor_b32_e32 v20, 0x80000000, v3
	v_mov_b32_e32 v18, v0
	v_cndmask_b32_e32 v19, v1, v8, vcc_lo
	v_cmp_gt_f64_e32 vcc_lo, 0, v[2:3]
	v_cndmask_b32_e32 v21, v3, v20, vcc_lo
	v_mov_b32_e32 v20, v2
	v_cmpx_ngt_f64_e32 v[18:19], v[20:21]
	s_xor_b32 s48, exec_lo, s48
	s_cbranch_execz .LBB44_22
; %bb.19:                               ;   in Loop: Header=BB44_9 Depth=3
	v_mov_b32_e32 v22, 0
	v_mov_b32_e32 v23, 0
	s_mov_b32 s49, exec_lo
	v_cmpx_neq_f64_e32 0, v[2:3]
	s_cbranch_execz .LBB44_21
; %bb.20:                               ;   in Loop: Header=BB44_9 Depth=3
	v_div_scale_f64 v[22:23], null, v[20:21], v[20:21], v[18:19]
	v_div_scale_f64 v[39:40], vcc_lo, v[18:19], v[20:21], v[18:19]
	v_rcp_f64_e32 v[35:36], v[22:23]
	v_fma_f64 v[37:38], -v[22:23], v[35:36], 1.0
	v_fma_f64 v[35:36], v[35:36], v[37:38], v[35:36]
	v_fma_f64 v[37:38], -v[22:23], v[35:36], 1.0
	v_fma_f64 v[35:36], v[35:36], v[37:38], v[35:36]
	v_mul_f64 v[37:38], v[39:40], v[35:36]
	v_fma_f64 v[22:23], -v[22:23], v[37:38], v[39:40]
	v_div_fmas_f64 v[22:23], v[22:23], v[35:36], v[37:38]
	v_div_fixup_f64 v[18:19], v[22:23], v[20:21], v[18:19]
	v_fma_f64 v[18:19], v[18:19], v[18:19], 1.0
	v_cmp_gt_f64_e32 vcc_lo, 0x10000000, v[18:19]
	v_cndmask_b32_e64 v8, 0, 0x100, vcc_lo
	v_ldexp_f64 v[18:19], v[18:19], v8
	v_cndmask_b32_e64 v8, 0, 0xffffff80, vcc_lo
	v_rsq_f64_e32 v[22:23], v[18:19]
	v_cmp_class_f64_e64 vcc_lo, v[18:19], 0x260
	v_mul_f64 v[35:36], v[18:19], v[22:23]
	v_mul_f64 v[22:23], v[22:23], 0.5
	v_fma_f64 v[37:38], -v[22:23], v[35:36], 0.5
	v_fma_f64 v[35:36], v[35:36], v[37:38], v[35:36]
	v_fma_f64 v[22:23], v[22:23], v[37:38], v[22:23]
	v_fma_f64 v[37:38], -v[35:36], v[35:36], v[18:19]
	v_fma_f64 v[35:36], v[37:38], v[22:23], v[35:36]
	v_fma_f64 v[37:38], -v[35:36], v[35:36], v[18:19]
	v_fma_f64 v[22:23], v[37:38], v[22:23], v[35:36]
	v_ldexp_f64 v[22:23], v[22:23], v8
	v_cndmask_b32_e32 v19, v23, v19, vcc_lo
	v_cndmask_b32_e32 v18, v22, v18, vcc_lo
	v_mul_f64 v[22:23], v[20:21], v[18:19]
.LBB44_21:                              ;   in Loop: Header=BB44_9 Depth=3
	s_or_b32 exec_lo, exec_lo, s49
                                        ; implicit-def: $vgpr18_vgpr19
                                        ; implicit-def: $vgpr20_vgpr21
.LBB44_22:                              ;   in Loop: Header=BB44_9 Depth=3
	s_andn2_saveexec_b32 s48, s48
	s_cbranch_execz .LBB44_24
; %bb.23:                               ;   in Loop: Header=BB44_9 Depth=3
	v_div_scale_f64 v[22:23], null, v[18:19], v[18:19], v[20:21]
	v_div_scale_f64 v[39:40], vcc_lo, v[20:21], v[18:19], v[20:21]
	v_rcp_f64_e32 v[35:36], v[22:23]
	v_fma_f64 v[37:38], -v[22:23], v[35:36], 1.0
	v_fma_f64 v[35:36], v[35:36], v[37:38], v[35:36]
	v_fma_f64 v[37:38], -v[22:23], v[35:36], 1.0
	v_fma_f64 v[35:36], v[35:36], v[37:38], v[35:36]
	v_mul_f64 v[37:38], v[39:40], v[35:36]
	v_fma_f64 v[22:23], -v[22:23], v[37:38], v[39:40]
	v_div_fmas_f64 v[22:23], v[22:23], v[35:36], v[37:38]
	v_div_fixup_f64 v[20:21], v[22:23], v[18:19], v[20:21]
	v_fma_f64 v[20:21], v[20:21], v[20:21], 1.0
	v_cmp_gt_f64_e32 vcc_lo, 0x10000000, v[20:21]
	v_cndmask_b32_e64 v8, 0, 0x100, vcc_lo
	v_ldexp_f64 v[20:21], v[20:21], v8
	v_cndmask_b32_e64 v8, 0, 0xffffff80, vcc_lo
	v_rsq_f64_e32 v[22:23], v[20:21]
	v_cmp_class_f64_e64 vcc_lo, v[20:21], 0x260
	v_mul_f64 v[35:36], v[20:21], v[22:23]
	v_mul_f64 v[22:23], v[22:23], 0.5
	v_fma_f64 v[37:38], -v[22:23], v[35:36], 0.5
	v_fma_f64 v[35:36], v[35:36], v[37:38], v[35:36]
	v_fma_f64 v[22:23], v[22:23], v[37:38], v[22:23]
	v_fma_f64 v[37:38], -v[35:36], v[35:36], v[20:21]
	v_fma_f64 v[35:36], v[37:38], v[22:23], v[35:36]
	v_fma_f64 v[37:38], -v[35:36], v[35:36], v[20:21]
	v_fma_f64 v[22:23], v[37:38], v[22:23], v[35:36]
	v_ldexp_f64 v[22:23], v[22:23], v8
	v_cndmask_b32_e32 v21, v23, v21, vcc_lo
	v_cndmask_b32_e32 v20, v22, v20, vcc_lo
	v_mul_f64 v[22:23], v[18:19], v[20:21]
.LBB44_24:                              ;   in Loop: Header=BB44_9 Depth=3
	s_or_b32 exec_lo, exec_lo, s48
	v_mov_b32_e32 v18, 0
	v_mov_b32_e32 v20, 0
	v_mov_b32_e32 v19, 0
	v_mov_b32_e32 v21, 0
	s_mov_b32 s48, exec_lo
	v_cmpx_lt_f64_e32 0, v[22:23]
	s_cbranch_execz .LBB44_26
; %bb.25:                               ;   in Loop: Header=BB44_9 Depth=3
	v_mul_f64 v[18:19], v[2:3], v[2:3]
	v_fma_f64 v[18:19], v[0:1], v[0:1], v[18:19]
	v_div_scale_f64 v[20:21], null, v[18:19], v[18:19], 1.0
	v_div_scale_f64 v[37:38], vcc_lo, 1.0, v[18:19], 1.0
	v_rcp_f64_e32 v[22:23], v[20:21]
	v_fma_f64 v[35:36], -v[20:21], v[22:23], 1.0
	v_fma_f64 v[22:23], v[22:23], v[35:36], v[22:23]
	v_fma_f64 v[35:36], -v[20:21], v[22:23], 1.0
	v_fma_f64 v[22:23], v[22:23], v[35:36], v[22:23]
	v_mul_f64 v[35:36], v[37:38], v[22:23]
	v_fma_f64 v[20:21], -v[20:21], v[35:36], v[37:38]
	v_mul_f64 v[37:38], v[12:13], v[2:3]
	v_mul_f64 v[2:3], v[2:3], -v[16:17]
	v_div_fmas_f64 v[20:21], v[20:21], v[22:23], v[35:36]
	v_fma_f64 v[16:17], v[16:17], v[0:1], v[37:38]
	v_fma_f64 v[0:1], v[12:13], v[0:1], v[2:3]
	v_div_fixup_f64 v[20:21], v[20:21], v[18:19], 1.0
	v_mul_f64 v[18:19], v[16:17], v[20:21]
	v_mul_f64 v[20:21], v[0:1], v[20:21]
.LBB44_26:                              ;   in Loop: Header=BB44_9 Depth=3
	s_or_b32 exec_lo, exec_lo, s48
	v_mov_b32_e32 v16, v18
	v_mov_b32_e32 v12, v20
	;; [unrolled: 1-line block ×4, first 2 shown]
.LBB44_27:                              ;   in Loop: Header=BB44_9 Depth=3
	s_or_b32 exec_lo, exec_lo, s47
	v_cmp_gt_f64_e32 vcc_lo, 0, v[16:17]
	v_xor_b32_e32 v1, 0x80000000, v17
	v_xor_b32_e32 v2, 0x80000000, v13
	v_mov_b32_e32 v0, v16
	s_mov_b32 s47, exec_lo
                                        ; implicit-def: $vgpr18_vgpr19
	v_cndmask_b32_e32 v1, v17, v1, vcc_lo
	v_cmp_gt_f64_e32 vcc_lo, 0, v[12:13]
	v_cndmask_b32_e32 v3, v13, v2, vcc_lo
	v_mov_b32_e32 v2, v12
	v_cmpx_ngt_f64_e32 v[0:1], v[2:3]
	s_xor_b32 s47, exec_lo, s47
	s_cbranch_execnz .LBB44_30
; %bb.28:                               ;   in Loop: Header=BB44_9 Depth=3
	s_andn2_saveexec_b32 s47, s47
	s_cbranch_execnz .LBB44_33
.LBB44_29:                              ;   in Loop: Header=BB44_9 Depth=3
	s_or_b32 exec_lo, exec_lo, s47
	v_cmp_class_f64_e64 s48, v[18:19], 0x1f8
	s_and_saveexec_b32 s47, s48
	s_cbranch_execz .LBB44_8
	s_branch .LBB44_34
.LBB44_30:                              ;   in Loop: Header=BB44_9 Depth=3
	v_mov_b32_e32 v18, 0
	v_mov_b32_e32 v19, 0
	s_mov_b32 s48, exec_lo
	v_cmpx_neq_f64_e32 0, v[12:13]
	s_cbranch_execz .LBB44_32
; %bb.31:                               ;   in Loop: Header=BB44_9 Depth=3
	v_div_scale_f64 v[18:19], null, v[2:3], v[2:3], v[0:1]
	v_div_scale_f64 v[35:36], vcc_lo, v[0:1], v[2:3], v[0:1]
	v_rcp_f64_e32 v[20:21], v[18:19]
	v_fma_f64 v[22:23], -v[18:19], v[20:21], 1.0
	v_fma_f64 v[20:21], v[20:21], v[22:23], v[20:21]
	v_fma_f64 v[22:23], -v[18:19], v[20:21], 1.0
	v_fma_f64 v[20:21], v[20:21], v[22:23], v[20:21]
	v_mul_f64 v[22:23], v[35:36], v[20:21]
	v_fma_f64 v[18:19], -v[18:19], v[22:23], v[35:36]
	v_div_fmas_f64 v[18:19], v[18:19], v[20:21], v[22:23]
	v_div_fixup_f64 v[0:1], v[18:19], v[2:3], v[0:1]
	v_fma_f64 v[0:1], v[0:1], v[0:1], 1.0
	v_cmp_gt_f64_e32 vcc_lo, 0x10000000, v[0:1]
	v_cndmask_b32_e64 v8, 0, 0x100, vcc_lo
	v_ldexp_f64 v[0:1], v[0:1], v8
	v_cndmask_b32_e64 v8, 0, 0xffffff80, vcc_lo
	v_rsq_f64_e32 v[18:19], v[0:1]
	v_cmp_class_f64_e64 vcc_lo, v[0:1], 0x260
	v_mul_f64 v[20:21], v[0:1], v[18:19]
	v_mul_f64 v[18:19], v[18:19], 0.5
	v_fma_f64 v[22:23], -v[18:19], v[20:21], 0.5
	v_fma_f64 v[20:21], v[20:21], v[22:23], v[20:21]
	v_fma_f64 v[18:19], v[18:19], v[22:23], v[18:19]
	v_fma_f64 v[22:23], -v[20:21], v[20:21], v[0:1]
	v_fma_f64 v[20:21], v[22:23], v[18:19], v[20:21]
	v_fma_f64 v[22:23], -v[20:21], v[20:21], v[0:1]
	v_fma_f64 v[18:19], v[22:23], v[18:19], v[20:21]
	v_ldexp_f64 v[18:19], v[18:19], v8
	v_cndmask_b32_e32 v1, v19, v1, vcc_lo
	v_cndmask_b32_e32 v0, v18, v0, vcc_lo
	v_mul_f64 v[18:19], v[2:3], v[0:1]
.LBB44_32:                              ;   in Loop: Header=BB44_9 Depth=3
	s_or_b32 exec_lo, exec_lo, s48
                                        ; implicit-def: $vgpr0_vgpr1
                                        ; implicit-def: $vgpr2_vgpr3
	s_andn2_saveexec_b32 s47, s47
	s_cbranch_execz .LBB44_29
.LBB44_33:                              ;   in Loop: Header=BB44_9 Depth=3
	v_div_scale_f64 v[18:19], null, v[0:1], v[0:1], v[2:3]
	v_div_scale_f64 v[35:36], vcc_lo, v[2:3], v[0:1], v[2:3]
	v_rcp_f64_e32 v[20:21], v[18:19]
	v_fma_f64 v[22:23], -v[18:19], v[20:21], 1.0
	v_fma_f64 v[20:21], v[20:21], v[22:23], v[20:21]
	v_fma_f64 v[22:23], -v[18:19], v[20:21], 1.0
	v_fma_f64 v[20:21], v[20:21], v[22:23], v[20:21]
	v_mul_f64 v[22:23], v[35:36], v[20:21]
	v_fma_f64 v[18:19], -v[18:19], v[22:23], v[35:36]
	v_div_fmas_f64 v[18:19], v[18:19], v[20:21], v[22:23]
	v_div_fixup_f64 v[2:3], v[18:19], v[0:1], v[2:3]
	v_fma_f64 v[2:3], v[2:3], v[2:3], 1.0
	v_cmp_gt_f64_e32 vcc_lo, 0x10000000, v[2:3]
	v_cndmask_b32_e64 v8, 0, 0x100, vcc_lo
	v_ldexp_f64 v[2:3], v[2:3], v8
	v_cndmask_b32_e64 v8, 0, 0xffffff80, vcc_lo
	v_rsq_f64_e32 v[18:19], v[2:3]
	v_cmp_class_f64_e64 vcc_lo, v[2:3], 0x260
	v_mul_f64 v[20:21], v[2:3], v[18:19]
	v_mul_f64 v[18:19], v[18:19], 0.5
	v_fma_f64 v[22:23], -v[18:19], v[20:21], 0.5
	v_fma_f64 v[20:21], v[20:21], v[22:23], v[20:21]
	v_fma_f64 v[18:19], v[18:19], v[22:23], v[18:19]
	v_fma_f64 v[22:23], -v[20:21], v[20:21], v[2:3]
	v_fma_f64 v[20:21], v[22:23], v[18:19], v[20:21]
	v_fma_f64 v[22:23], -v[20:21], v[20:21], v[2:3]
	v_fma_f64 v[18:19], v[22:23], v[18:19], v[20:21]
	v_ldexp_f64 v[18:19], v[18:19], v8
	v_cndmask_b32_e32 v3, v19, v3, vcc_lo
	v_cndmask_b32_e32 v2, v18, v2, vcc_lo
	v_mul_f64 v[18:19], v[0:1], v[2:3]
	s_or_b32 exec_lo, exec_lo, s47
	v_cmp_class_f64_e64 s48, v[18:19], 0x1f8
	s_and_saveexec_b32 s47, s48
	s_cbranch_execz .LBB44_8
.LBB44_34:                              ;   in Loop: Header=BB44_9 Depth=3
	s_mov_b32 s48, 0
                                        ; implicit-def: $vgpr0_vgpr1
	s_and_saveexec_b32 s49, s3
	s_xor_b32 s3, exec_lo, s49
	s_cbranch_execnz .LBB44_37
; %bb.35:                               ;   in Loop: Header=BB44_9 Depth=3
	s_andn2_saveexec_b32 s3, s3
	s_cbranch_execnz .LBB44_50
.LBB44_36:                              ;   in Loop: Header=BB44_9 Depth=3
	s_or_b32 exec_lo, exec_lo, s3
	s_and_b32 exec_lo, exec_lo, s48
	s_cbranch_execz .LBB44_8
	s_branch .LBB44_59
.LBB44_37:                              ;   in Loop: Header=BB44_9 Depth=3
	s_mov_b32 s49, exec_lo
                                        ; implicit-def: $vgpr0_vgpr1
	v_cmpx_ge_i32_e64 v6, v10
	s_xor_b32 s49, exec_lo, s49
	s_cbranch_execz .LBB44_39
; %bb.38:                               ;   in Loop: Header=BB44_9 Depth=3
	v_lshlrev_b64 v[0:1], 4, v[10:11]
	s_mov_b32 s48, exec_lo
                                        ; implicit-def: $vgpr15
                                        ; implicit-def: $vgpr34
                                        ; implicit-def: $vgpr14
	v_add_co_u32 v0, vcc_lo, s38, v0
	v_add_co_ci_u32_e64 v1, null, s39, v1, vcc_lo
	global_store_dwordx2 v[0:1], v[16:17], off
                                        ; implicit-def: $vgpr16_vgpr17
.LBB44_39:                              ;   in Loop: Header=BB44_9 Depth=3
	s_andn2_saveexec_b32 s49, s49
	s_cbranch_execz .LBB44_49
; %bb.40:                               ;   in Loop: Header=BB44_9 Depth=3
	s_mov_b32 s51, s48
	s_mov_b32 s50, exec_lo
                                        ; implicit-def: $vgpr0_vgpr1
	v_cmpx_lt_i32_e64 v15, v34
	s_cbranch_execz .LBB44_48
; %bb.41:                               ;   in Loop: Header=BB44_9 Depth=3
	s_mov_b32 s52, 0
                                        ; implicit-def: $sgpr51
                                        ; implicit-def: $sgpr54
                                        ; implicit-def: $sgpr53
	s_inst_prefetch 0x1
	s_branch .LBB44_43
	.p2align	6
.LBB44_42:                              ;   in Loop: Header=BB44_43 Depth=4
	s_or_b32 exec_lo, exec_lo, s55
	s_and_b32 s55, exec_lo, s54
	s_or_b32 s52, s55, s52
	s_andn2_b32 s51, s51, exec_lo
	s_and_b32 s55, s53, exec_lo
	s_or_b32 s51, s51, s55
	s_andn2_b32 exec_lo, exec_lo, s52
	s_cbranch_execz .LBB44_45
.LBB44_43:                              ;   Parent Loop BB44_3 Depth=1
                                        ;     Parent Loop BB44_5 Depth=2
                                        ;       Parent Loop BB44_9 Depth=3
                                        ; =>      This Inner Loop Header: Depth=4
	v_add_nc_u32_e32 v2, v14, v15
	s_or_b32 s53, s53, exec_lo
	s_or_b32 s54, s54, exec_lo
	s_mov_b32 s55, exec_lo
	v_ashrrev_i32_e32 v3, 31, v2
	v_lshlrev_b64 v[0:1], 2, v[2:3]
	v_add_co_u32 v0, vcc_lo, s12, v0
	v_add_co_ci_u32_e64 v1, null, s13, v1, vcc_lo
	global_load_dword v0, v[0:1], off
	s_waitcnt vmcnt(0)
	v_subrev_nc_u32_e32 v0, s44, v0
	v_cmpx_ne_u32_e64 v0, v6
	s_cbranch_execz .LBB44_42
; %bb.44:                               ;   in Loop: Header=BB44_43 Depth=4
	v_add_nc_u32_e32 v15, 1, v15
	s_andn2_b32 s54, s54, exec_lo
	s_andn2_b32 s53, s53, exec_lo
	v_cmp_ge_i32_e32 vcc_lo, v15, v34
	s_and_b32 s56, vcc_lo, exec_lo
	s_or_b32 s54, s54, s56
	s_branch .LBB44_42
.LBB44_45:                              ;   in Loop: Header=BB44_9 Depth=3
	s_inst_prefetch 0x2
	s_or_b32 exec_lo, exec_lo, s52
	s_mov_b32 s52, s48
                                        ; implicit-def: $vgpr0_vgpr1
	s_and_saveexec_b32 s53, s51
	s_xor_b32 s51, exec_lo, s53
	s_cbranch_execz .LBB44_47
; %bb.46:                               ;   in Loop: Header=BB44_9 Depth=3
	v_lshlrev_b64 v[0:1], 4, v[2:3]
	s_or_b32 s52, s48, exec_lo
	v_add_co_u32 v0, vcc_lo, s6, v0
	v_add_co_ci_u32_e64 v1, null, s7, v1, vcc_lo
	global_store_dwordx2 v[0:1], v[16:17], off
.LBB44_47:                              ;   in Loop: Header=BB44_9 Depth=3
	s_or_b32 exec_lo, exec_lo, s51
	s_andn2_b32 s51, s48, exec_lo
	s_and_b32 s52, s52, exec_lo
	s_or_b32 s51, s51, s52
.LBB44_48:                              ;   in Loop: Header=BB44_9 Depth=3
	s_or_b32 exec_lo, exec_lo, s50
	s_andn2_b32 s48, s48, exec_lo
	s_and_b32 s50, s51, exec_lo
	s_or_b32 s48, s48, s50
.LBB44_49:                              ;   in Loop: Header=BB44_9 Depth=3
	s_or_b32 exec_lo, exec_lo, s49
	s_and_b32 s48, s48, exec_lo
                                        ; implicit-def: $vgpr16_vgpr17
                                        ; implicit-def: $vgpr10_vgpr11
	s_andn2_saveexec_b32 s3, s3
	s_cbranch_execz .LBB44_36
.LBB44_50:                              ;   in Loop: Header=BB44_9 Depth=3
	s_mov_b32 s50, s48
	s_mov_b32 s49, exec_lo
                                        ; implicit-def: $vgpr0_vgpr1
	v_cmpx_lt_i32_e64 v4, v29
	s_cbranch_execz .LBB44_58
; %bb.51:                               ;   in Loop: Header=BB44_9 Depth=3
	s_mov_b32 s51, 0
                                        ; implicit-def: $sgpr50
                                        ; implicit-def: $sgpr53
                                        ; implicit-def: $sgpr52
	s_inst_prefetch 0x1
	s_branch .LBB44_53
	.p2align	6
.LBB44_52:                              ;   in Loop: Header=BB44_53 Depth=4
	s_or_b32 exec_lo, exec_lo, s54
	s_and_b32 s54, exec_lo, s53
	s_or_b32 s51, s54, s51
	s_andn2_b32 s50, s50, exec_lo
	s_and_b32 s54, s52, exec_lo
	s_or_b32 s50, s50, s54
	s_andn2_b32 exec_lo, exec_lo, s51
	s_cbranch_execz .LBB44_55
.LBB44_53:                              ;   Parent Loop BB44_3 Depth=1
                                        ;     Parent Loop BB44_5 Depth=2
                                        ;       Parent Loop BB44_9 Depth=3
                                        ; =>      This Inner Loop Header: Depth=4
	v_add_nc_u32_e32 v2, v9, v4
	s_or_b32 s52, s52, exec_lo
	s_or_b32 s53, s53, exec_lo
	s_mov_b32 s54, exec_lo
	v_ashrrev_i32_e32 v3, 31, v2
	v_lshlrev_b64 v[0:1], 2, v[2:3]
	v_add_co_u32 v0, vcc_lo, s20, v0
	v_add_co_ci_u32_e64 v1, null, s21, v1, vcc_lo
	global_load_dword v0, v[0:1], off
	s_waitcnt vmcnt(0)
	v_subrev_nc_u32_e32 v0, s43, v0
	v_cmpx_ne_u32_e64 v0, v10
	s_cbranch_execz .LBB44_52
; %bb.54:                               ;   in Loop: Header=BB44_53 Depth=4
	v_add_nc_u32_e32 v4, 1, v4
	s_andn2_b32 s53, s53, exec_lo
	s_andn2_b32 s52, s52, exec_lo
	v_cmp_ge_i32_e32 vcc_lo, v4, v29
	s_and_b32 s55, vcc_lo, exec_lo
	s_or_b32 s53, s53, s55
	s_branch .LBB44_52
.LBB44_55:                              ;   in Loop: Header=BB44_9 Depth=3
	s_inst_prefetch 0x2
	s_or_b32 exec_lo, exec_lo, s51
	s_mov_b32 s51, s48
                                        ; implicit-def: $vgpr0_vgpr1
	s_and_saveexec_b32 s52, s50
	s_xor_b32 s50, exec_lo, s52
	s_cbranch_execz .LBB44_57
; %bb.56:                               ;   in Loop: Header=BB44_9 Depth=3
	v_lshlrev_b64 v[0:1], 4, v[2:3]
	s_or_b32 s51, s48, exec_lo
	v_add_co_u32 v0, vcc_lo, s40, v0
	v_add_co_ci_u32_e64 v1, null, s41, v1, vcc_lo
	global_store_dwordx2 v[0:1], v[16:17], off
.LBB44_57:                              ;   in Loop: Header=BB44_9 Depth=3
	s_or_b32 exec_lo, exec_lo, s50
	s_andn2_b32 s50, s48, exec_lo
	s_and_b32 s51, s51, exec_lo
	s_or_b32 s50, s50, s51
.LBB44_58:                              ;   in Loop: Header=BB44_9 Depth=3
	s_or_b32 exec_lo, exec_lo, s49
	s_andn2_b32 s48, s48, exec_lo
	s_and_b32 s49, s50, exec_lo
	s_or_b32 s48, s48, s49
	s_or_b32 exec_lo, exec_lo, s3
	s_and_b32 exec_lo, exec_lo, s48
	s_cbranch_execz .LBB44_8
.LBB44_59:                              ;   in Loop: Header=BB44_9 Depth=3
	global_store_dwordx2 v[0:1], v[12:13], off offset:8
	s_branch .LBB44_8
.LBB44_60:                              ;   in Loop: Header=BB44_3 Depth=1
	s_and_saveexec_b32 s3, s0
	s_cbranch_execz .LBB44_2
; %bb.61:                               ;   in Loop: Header=BB44_3 Depth=1
	v_mov_b32_e32 v0, v24
	s_mov_b32 s5, 0
	s_branch .LBB44_63
.LBB44_62:                              ;   in Loop: Header=BB44_63 Depth=2
	s_or_b32 exec_lo, exec_lo, s45
	v_add_nc_u32_e32 v0, 0x100, v0
	v_cmp_le_u32_e32 vcc_lo, s4, v0
	s_or_b32 s5, vcc_lo, s5
	s_andn2_b32 exec_lo, exec_lo, s5
	s_cbranch_execz .LBB44_2
.LBB44_63:                              ;   Parent Loop BB44_3 Depth=1
                                        ; =>  This Loop Header: Depth=2
                                        ;       Child Loop BB44_66 Depth 3
                                        ;       Child Loop BB44_69 Depth 3
	s_mov_b32 s45, exec_lo
	v_cmpx_gt_i32_e64 s35, v0
	s_cbranch_execz .LBB44_62
; %bb.64:                               ;   in Loop: Header=BB44_63 Depth=2
	v_ashrrev_i32_e32 v1, 31, v0
	s_mov_b32 s46, exec_lo
	v_lshlrev_b64 v[2:3], 2, v[0:1]
	v_add_co_u32 v6, vcc_lo, s16, v2
	v_add_co_ci_u32_e64 v7, null, s17, v3, vcc_lo
	v_add_co_u32 v8, vcc_lo, s18, v2
	v_add_co_ci_u32_e64 v9, null, s19, v3, vcc_lo
	global_load_dword v4, v[6:7], off
	global_load_dword v7, v[8:9], off
	s_waitcnt vmcnt(1)
	v_add_nc_u32_e32 v6, v26, v4
	s_waitcnt vmcnt(0)
	v_subrev_nc_u32_e32 v4, s43, v7
	v_cmpx_lt_i32_e64 v6, v4
	s_cbranch_execz .LBB44_67
; %bb.65:                               ;   in Loop: Header=BB44_63 Depth=2
	v_ashrrev_i32_e32 v7, 31, v6
	s_mov_b32 s47, 0
	v_lshlrev_b64 v[9:10], 4, v[6:7]
	v_add_co_u32 v7, vcc_lo, s22, v9
	v_add_co_ci_u32_e64 v8, null, s23, v10, vcc_lo
	v_add_co_u32 v9, vcc_lo, s40, v9
	v_add_co_ci_u32_e64 v10, null, s41, v10, vcc_lo
	.p2align	6
.LBB44_66:                              ;   Parent Loop BB44_3 Depth=1
                                        ;     Parent Loop BB44_63 Depth=2
                                        ; =>    This Inner Loop Header: Depth=3
	global_load_dwordx4 v[11:14], v[9:10], off
	v_add_nc_u32_e32 v6, 4, v6
	v_add_co_u32 v9, vcc_lo, v9, 64
	v_add_co_ci_u32_e64 v10, null, 0, v10, vcc_lo
	v_cmp_ge_i32_e32 vcc_lo, v6, v4
	s_or_b32 s47, vcc_lo, s47
	s_waitcnt vmcnt(0)
	global_store_dwordx4 v[7:8], v[11:14], off
	v_add_co_u32 v7, s2, v7, 64
	v_add_co_ci_u32_e64 v8, null, 0, v8, s2
	s_andn2_b32 exec_lo, exec_lo, s47
	s_cbranch_execnz .LBB44_66
.LBB44_67:                              ;   in Loop: Header=BB44_63 Depth=2
	s_or_b32 exec_lo, exec_lo, s46
	v_add_co_u32 v6, vcc_lo, s8, v2
	v_add_co_ci_u32_e64 v7, null, s9, v3, vcc_lo
	v_add_co_u32 v2, vcc_lo, s10, v2
	v_add_co_ci_u32_e64 v3, null, s11, v3, vcc_lo
	global_load_dword v4, v[6:7], off
	global_load_dword v3, v[2:3], off
	s_mov_b32 s46, exec_lo
	s_waitcnt vmcnt(1)
	v_add_nc_u32_e32 v2, v27, v4
	s_waitcnt vmcnt(0)
	v_subrev_nc_u32_e32 v8, s44, v3
	v_cmpx_lt_i32_e64 v2, v8
	s_cbranch_execz .LBB44_70
; %bb.68:                               ;   in Loop: Header=BB44_63 Depth=2
	v_ashrrev_i32_e32 v3, 31, v2
	s_mov_b32 s47, 0
	v_lshlrev_b64 v[6:7], 4, v[2:3]
	v_add_co_u32 v3, vcc_lo, s14, v6
	v_add_co_ci_u32_e64 v4, null, s15, v7, vcc_lo
	v_add_co_u32 v6, vcc_lo, s6, v6
	v_add_co_ci_u32_e64 v7, null, s7, v7, vcc_lo
	.p2align	6
.LBB44_69:                              ;   Parent Loop BB44_3 Depth=1
                                        ;     Parent Loop BB44_63 Depth=2
                                        ; =>    This Inner Loop Header: Depth=3
	global_load_dwordx4 v[9:12], v[6:7], off
	v_add_nc_u32_e32 v2, 4, v2
	v_add_co_u32 v6, vcc_lo, v6, 64
	v_add_co_ci_u32_e64 v7, null, 0, v7, vcc_lo
	v_cmp_ge_i32_e32 vcc_lo, v2, v8
	s_or_b32 s47, vcc_lo, s47
	s_waitcnt vmcnt(0)
	global_store_dwordx4 v[3:4], v[9:12], off
	v_add_co_u32 v3, s2, v3, 64
	v_add_co_ci_u32_e64 v4, null, 0, v4, s2
	s_andn2_b32 exec_lo, exec_lo, s47
	s_cbranch_execnz .LBB44_69
.LBB44_70:                              ;   in Loop: Header=BB44_63 Depth=2
	s_or_b32 exec_lo, exec_lo, s46
	s_and_b32 exec_lo, exec_lo, s1
	s_cbranch_execz .LBB44_62
; %bb.71:                               ;   in Loop: Header=BB44_63 Depth=2
	v_lshlrev_b64 v[6:7], 4, v[0:1]
	v_add_co_u32 v1, vcc_lo, s38, v6
	v_add_co_ci_u32_e64 v2, null, s39, v7, vcc_lo
	v_add_co_u32 v6, vcc_lo, s36, v6
	v_add_co_ci_u32_e64 v7, null, s37, v7, vcc_lo
	global_load_dwordx4 v[1:4], v[1:2], off
	s_waitcnt vmcnt(0)
	global_store_dwordx4 v[6:7], v[1:4], off
	s_branch .LBB44_62
.LBB44_72:
	s_endpgm
	.section	.rodata,"a",@progbits
	.p2align	6, 0x0
	.amdhsa_kernel _ZN9rocsparseL14kernel_freerunILi1024ELi4E21rocsparse_complex_numIdEiiEEvT3_S3_T2_PKS4_S6_PKS3_PKT1_21rocsparse_index_base_S6_S6_S8_PS9_SD_SC_S6_S6_S8_SD_SD_SC_SD_SD_
		.amdhsa_group_segment_fixed_size 0
		.amdhsa_private_segment_fixed_size 0
		.amdhsa_kernarg_size 168
		.amdhsa_user_sgpr_count 6
		.amdhsa_user_sgpr_private_segment_buffer 1
		.amdhsa_user_sgpr_dispatch_ptr 0
		.amdhsa_user_sgpr_queue_ptr 0
		.amdhsa_user_sgpr_kernarg_segment_ptr 1
		.amdhsa_user_sgpr_dispatch_id 0
		.amdhsa_user_sgpr_flat_scratch_init 0
		.amdhsa_user_sgpr_private_segment_size 0
		.amdhsa_wavefront_size32 1
		.amdhsa_uses_dynamic_stack 0
		.amdhsa_system_sgpr_private_segment_wavefront_offset 0
		.amdhsa_system_sgpr_workgroup_id_x 1
		.amdhsa_system_sgpr_workgroup_id_y 0
		.amdhsa_system_sgpr_workgroup_id_z 0
		.amdhsa_system_sgpr_workgroup_info 0
		.amdhsa_system_vgpr_workitem_id 0
		.amdhsa_next_free_vgpr 43
		.amdhsa_next_free_sgpr 57
		.amdhsa_reserve_vcc 1
		.amdhsa_reserve_flat_scratch 0
		.amdhsa_float_round_mode_32 0
		.amdhsa_float_round_mode_16_64 0
		.amdhsa_float_denorm_mode_32 3
		.amdhsa_float_denorm_mode_16_64 3
		.amdhsa_dx10_clamp 1
		.amdhsa_ieee_mode 1
		.amdhsa_fp16_overflow 0
		.amdhsa_workgroup_processor_mode 1
		.amdhsa_memory_ordered 1
		.amdhsa_forward_progress 1
		.amdhsa_shared_vgpr_count 0
		.amdhsa_exception_fp_ieee_invalid_op 0
		.amdhsa_exception_fp_denorm_src 0
		.amdhsa_exception_fp_ieee_div_zero 0
		.amdhsa_exception_fp_ieee_overflow 0
		.amdhsa_exception_fp_ieee_underflow 0
		.amdhsa_exception_fp_ieee_inexact 0
		.amdhsa_exception_int_div_zero 0
	.end_amdhsa_kernel
	.section	.text._ZN9rocsparseL14kernel_freerunILi1024ELi4E21rocsparse_complex_numIdEiiEEvT3_S3_T2_PKS4_S6_PKS3_PKT1_21rocsparse_index_base_S6_S6_S8_PS9_SD_SC_S6_S6_S8_SD_SD_SC_SD_SD_,"axG",@progbits,_ZN9rocsparseL14kernel_freerunILi1024ELi4E21rocsparse_complex_numIdEiiEEvT3_S3_T2_PKS4_S6_PKS3_PKT1_21rocsparse_index_base_S6_S6_S8_PS9_SD_SC_S6_S6_S8_SD_SD_SC_SD_SD_,comdat
.Lfunc_end44:
	.size	_ZN9rocsparseL14kernel_freerunILi1024ELi4E21rocsparse_complex_numIdEiiEEvT3_S3_T2_PKS4_S6_PKS3_PKT1_21rocsparse_index_base_S6_S6_S8_PS9_SD_SC_S6_S6_S8_SD_SD_SC_SD_SD_, .Lfunc_end44-_ZN9rocsparseL14kernel_freerunILi1024ELi4E21rocsparse_complex_numIdEiiEEvT3_S3_T2_PKS4_S6_PKS3_PKT1_21rocsparse_index_base_S6_S6_S8_PS9_SD_SC_S6_S6_S8_SD_SD_SC_SD_SD_
                                        ; -- End function
	.set _ZN9rocsparseL14kernel_freerunILi1024ELi4E21rocsparse_complex_numIdEiiEEvT3_S3_T2_PKS4_S6_PKS3_PKT1_21rocsparse_index_base_S6_S6_S8_PS9_SD_SC_S6_S6_S8_SD_SD_SC_SD_SD_.num_vgpr, 43
	.set _ZN9rocsparseL14kernel_freerunILi1024ELi4E21rocsparse_complex_numIdEiiEEvT3_S3_T2_PKS4_S6_PKS3_PKT1_21rocsparse_index_base_S6_S6_S8_PS9_SD_SC_S6_S6_S8_SD_SD_SC_SD_SD_.num_agpr, 0
	.set _ZN9rocsparseL14kernel_freerunILi1024ELi4E21rocsparse_complex_numIdEiiEEvT3_S3_T2_PKS4_S6_PKS3_PKT1_21rocsparse_index_base_S6_S6_S8_PS9_SD_SC_S6_S6_S8_SD_SD_SC_SD_SD_.numbered_sgpr, 57
	.set _ZN9rocsparseL14kernel_freerunILi1024ELi4E21rocsparse_complex_numIdEiiEEvT3_S3_T2_PKS4_S6_PKS3_PKT1_21rocsparse_index_base_S6_S6_S8_PS9_SD_SC_S6_S6_S8_SD_SD_SC_SD_SD_.num_named_barrier, 0
	.set _ZN9rocsparseL14kernel_freerunILi1024ELi4E21rocsparse_complex_numIdEiiEEvT3_S3_T2_PKS4_S6_PKS3_PKT1_21rocsparse_index_base_S6_S6_S8_PS9_SD_SC_S6_S6_S8_SD_SD_SC_SD_SD_.private_seg_size, 0
	.set _ZN9rocsparseL14kernel_freerunILi1024ELi4E21rocsparse_complex_numIdEiiEEvT3_S3_T2_PKS4_S6_PKS3_PKT1_21rocsparse_index_base_S6_S6_S8_PS9_SD_SC_S6_S6_S8_SD_SD_SC_SD_SD_.uses_vcc, 1
	.set _ZN9rocsparseL14kernel_freerunILi1024ELi4E21rocsparse_complex_numIdEiiEEvT3_S3_T2_PKS4_S6_PKS3_PKT1_21rocsparse_index_base_S6_S6_S8_PS9_SD_SC_S6_S6_S8_SD_SD_SC_SD_SD_.uses_flat_scratch, 0
	.set _ZN9rocsparseL14kernel_freerunILi1024ELi4E21rocsparse_complex_numIdEiiEEvT3_S3_T2_PKS4_S6_PKS3_PKT1_21rocsparse_index_base_S6_S6_S8_PS9_SD_SC_S6_S6_S8_SD_SD_SC_SD_SD_.has_dyn_sized_stack, 0
	.set _ZN9rocsparseL14kernel_freerunILi1024ELi4E21rocsparse_complex_numIdEiiEEvT3_S3_T2_PKS4_S6_PKS3_PKT1_21rocsparse_index_base_S6_S6_S8_PS9_SD_SC_S6_S6_S8_SD_SD_SC_SD_SD_.has_recursion, 0
	.set _ZN9rocsparseL14kernel_freerunILi1024ELi4E21rocsparse_complex_numIdEiiEEvT3_S3_T2_PKS4_S6_PKS3_PKT1_21rocsparse_index_base_S6_S6_S8_PS9_SD_SC_S6_S6_S8_SD_SD_SC_SD_SD_.has_indirect_call, 0
	.section	.AMDGPU.csdata,"",@progbits
; Kernel info:
; codeLenInByte = 3928
; TotalNumSgprs: 59
; NumVgprs: 43
; ScratchSize: 0
; MemoryBound: 1
; FloatMode: 240
; IeeeMode: 1
; LDSByteSize: 0 bytes/workgroup (compile time only)
; SGPRBlocks: 0
; VGPRBlocks: 5
; NumSGPRsForWavesPerEU: 59
; NumVGPRsForWavesPerEU: 43
; Occupancy: 16
; WaveLimiterHint : 1
; COMPUTE_PGM_RSRC2:SCRATCH_EN: 0
; COMPUTE_PGM_RSRC2:USER_SGPR: 6
; COMPUTE_PGM_RSRC2:TRAP_HANDLER: 0
; COMPUTE_PGM_RSRC2:TGID_X_EN: 1
; COMPUTE_PGM_RSRC2:TGID_Y_EN: 0
; COMPUTE_PGM_RSRC2:TGID_Z_EN: 0
; COMPUTE_PGM_RSRC2:TIDIG_COMP_CNT: 0
	.section	.text._ZN9rocsparseL14kernel_freerunILi1024ELi8E21rocsparse_complex_numIdEiiEEvT3_S3_T2_PKS4_S6_PKS3_PKT1_21rocsparse_index_base_S6_S6_S8_PS9_SD_SC_S6_S6_S8_SD_SD_SC_SD_SD_,"axG",@progbits,_ZN9rocsparseL14kernel_freerunILi1024ELi8E21rocsparse_complex_numIdEiiEEvT3_S3_T2_PKS4_S6_PKS3_PKT1_21rocsparse_index_base_S6_S6_S8_PS9_SD_SC_S6_S6_S8_SD_SD_SC_SD_SD_,comdat
	.globl	_ZN9rocsparseL14kernel_freerunILi1024ELi8E21rocsparse_complex_numIdEiiEEvT3_S3_T2_PKS4_S6_PKS3_PKT1_21rocsparse_index_base_S6_S6_S8_PS9_SD_SC_S6_S6_S8_SD_SD_SC_SD_SD_ ; -- Begin function _ZN9rocsparseL14kernel_freerunILi1024ELi8E21rocsparse_complex_numIdEiiEEvT3_S3_T2_PKS4_S6_PKS3_PKT1_21rocsparse_index_base_S6_S6_S8_PS9_SD_SC_S6_S6_S8_SD_SD_SC_SD_SD_
	.p2align	8
	.type	_ZN9rocsparseL14kernel_freerunILi1024ELi8E21rocsparse_complex_numIdEiiEEvT3_S3_T2_PKS4_S6_PKS3_PKT1_21rocsparse_index_base_S6_S6_S8_PS9_SD_SC_S6_S6_S8_SD_SD_SC_SD_SD_,@function
_ZN9rocsparseL14kernel_freerunILi1024ELi8E21rocsparse_complex_numIdEiiEEvT3_S3_T2_PKS4_S6_PKS3_PKT1_21rocsparse_index_base_S6_S6_S8_PS9_SD_SC_S6_S6_S8_SD_SD_SC_SD_SD_: ; @_ZN9rocsparseL14kernel_freerunILi1024ELi8E21rocsparse_complex_numIdEiiEEvT3_S3_T2_PKS4_S6_PKS3_PKT1_21rocsparse_index_base_S6_S6_S8_PS9_SD_SC_S6_S6_S8_SD_SD_SC_SD_SD_
; %bb.0:
	s_load_dwordx2 s[34:35], s[4:5], 0x0
	v_lshrrev_b32_e32 v1, 3, v0
	s_lshl_b32 s0, s6, 10
	s_mov_b32 s33, 0
	v_or_b32_e32 v24, s0, v1
	s_waitcnt lgkmcnt(0)
	v_cmp_gt_i32_e32 vcc_lo, s35, v24
	s_cmp_gt_i32 s34, 0
	s_cselect_b32 s1, -1, 0
	s_and_b32 s1, vcc_lo, s1
	s_and_saveexec_b32 s2, s1
	s_cbranch_execz .LBB45_72
; %bb.1:
	s_clause 0x8
	s_load_dword s42, s[4:5], 0x30
	s_load_dword s43, s[4:5], 0x60
	;; [unrolled: 1-line block ×3, first 2 shown]
	s_load_dwordx2 s[6:7], s[4:5], 0x88
	s_load_dwordx2 s[40:41], s[4:5], 0x58
	s_load_dwordx4 s[36:39], s[4:5], 0x98
	s_load_dwordx8 s[8:15], s[4:5], 0x68
	s_load_dwordx8 s[16:23], s[4:5], 0x38
	;; [unrolled: 1-line block ×3, first 2 shown]
	v_and_b32_e32 v0, 7, v0
	s_add_i32 s4, s0, 0x400
	v_mov_b32_e32 v5, 0
	v_cmp_gt_u32_e64 s0, s4, v24
	v_cmp_eq_u32_e64 s1, 0, v0
	s_waitcnt lgkmcnt(0)
	v_subrev_nc_u32_e32 v25, s42, v0
	v_subrev_nc_u32_e32 v26, s43, v0
	;; [unrolled: 1-line block ×3, first 2 shown]
	s_branch .LBB45_3
.LBB45_2:                               ;   in Loop: Header=BB45_3 Depth=1
	s_or_b32 exec_lo, exec_lo, s3
	s_add_i32 s33, s33, 1
	s_cmp_eq_u32 s33, s34
	s_cbranch_scc1 .LBB45_72
.LBB45_3:                               ; =>This Loop Header: Depth=1
                                        ;     Child Loop BB45_5 Depth 2
                                        ;       Child Loop BB45_9 Depth 3
                                        ;         Child Loop BB45_13 Depth 4
                                        ;         Child Loop BB45_43 Depth 4
	;; [unrolled: 1-line block ×3, first 2 shown]
                                        ;     Child Loop BB45_63 Depth 2
                                        ;       Child Loop BB45_66 Depth 3
                                        ;       Child Loop BB45_69 Depth 3
	s_mov_b32 s5, 0
	s_branch .LBB45_5
.LBB45_4:                               ;   in Loop: Header=BB45_5 Depth=2
	s_or_b32 exec_lo, exec_lo, s45
	s_add_i32 s5, s5, 1
	s_cmp_eq_u32 s5, 8
	s_cbranch_scc1 .LBB45_60
.LBB45_5:                               ;   Parent Loop BB45_3 Depth=1
                                        ; =>  This Loop Header: Depth=2
                                        ;       Child Loop BB45_9 Depth 3
                                        ;         Child Loop BB45_13 Depth 4
                                        ;         Child Loop BB45_43 Depth 4
	;; [unrolled: 1-line block ×3, first 2 shown]
	v_lshl_add_u32 v6, s5, 7, v24
	s_mov_b32 s45, exec_lo
	v_cmpx_gt_i32_e64 s35, v6
	s_cbranch_execz .LBB45_4
; %bb.6:                                ;   in Loop: Header=BB45_5 Depth=2
	v_ashrrev_i32_e32 v7, 31, v6
	v_lshlrev_b64 v[0:1], 2, v[6:7]
	v_add_co_u32 v2, vcc_lo, s24, v0
	v_add_co_ci_u32_e64 v3, null, s25, v1, vcc_lo
	v_add_co_u32 v7, vcc_lo, s26, v0
	v_add_co_ci_u32_e64 v8, null, s27, v1, vcc_lo
	global_load_dword v2, v[2:3], off
	global_load_dword v3, v[7:8], off
	s_waitcnt vmcnt(1)
	v_add_nc_u32_e32 v7, v25, v2
	s_waitcnt vmcnt(0)
	v_subrev_nc_u32_e32 v28, s42, v3
	v_cmp_lt_i32_e32 vcc_lo, v7, v28
	s_and_b32 exec_lo, exec_lo, vcc_lo
	s_cbranch_execz .LBB45_4
; %bb.7:                                ;   in Loop: Header=BB45_5 Depth=2
	v_add_co_u32 v2, vcc_lo, s16, v0
	v_add_co_ci_u32_e64 v3, null, s17, v1, vcc_lo
	v_add_co_u32 v0, vcc_lo, s18, v0
	v_add_co_ci_u32_e64 v1, null, s19, v1, vcc_lo
	global_load_dword v2, v[2:3], off
	s_mov_b32 s46, 0
	global_load_dword v3, v[0:1], off
	s_waitcnt vmcnt(1)
	v_subrev_nc_u32_e32 v9, s43, v2
	s_waitcnt vmcnt(0)
	v_sub_nc_u32_e32 v29, v3, v2
	v_ashrrev_i32_e32 v10, 31, v9
	v_cmp_lt_i32_e64 s2, 0, v29
	v_lshlrev_b64 v[0:1], 2, v[9:10]
	v_lshlrev_b64 v[2:3], 4, v[9:10]
	v_add_co_u32 v30, vcc_lo, s20, v0
	v_add_co_ci_u32_e64 v31, null, s21, v1, vcc_lo
	v_add_co_u32 v32, vcc_lo, s22, v2
	v_add_co_ci_u32_e64 v33, null, s23, v3, vcc_lo
	s_branch .LBB45_9
.LBB45_8:                               ;   in Loop: Header=BB45_9 Depth=3
	s_or_b32 exec_lo, exec_lo, s47
	v_add_nc_u32_e32 v7, 8, v7
	v_cmp_ge_i32_e32 vcc_lo, v7, v28
	s_or_b32 s46, vcc_lo, s46
	s_andn2_b32 exec_lo, exec_lo, s46
	s_cbranch_execz .LBB45_4
.LBB45_9:                               ;   Parent Loop BB45_3 Depth=1
                                        ;     Parent Loop BB45_5 Depth=2
                                        ; =>    This Loop Header: Depth=3
                                        ;         Child Loop BB45_13 Depth 4
                                        ;         Child Loop BB45_43 Depth 4
	;; [unrolled: 1-line block ×3, first 2 shown]
	v_ashrrev_i32_e32 v8, 31, v7
	v_mov_b32_e32 v4, 0
	v_lshlrev_b64 v[0:1], 2, v[7:8]
	v_mov_b32_e32 v15, v4
	v_add_co_u32 v0, vcc_lo, s28, v0
	v_add_co_ci_u32_e64 v1, null, s29, v1, vcc_lo
	global_load_dword v0, v[0:1], off
	s_waitcnt vmcnt(0)
	v_subrev_nc_u32_e32 v10, s42, v0
	v_ashrrev_i32_e32 v11, 31, v10
	v_lshlrev_b64 v[0:1], 2, v[10:11]
	v_add_co_u32 v2, vcc_lo, s8, v0
	v_add_co_ci_u32_e64 v3, null, s9, v1, vcc_lo
	v_add_co_u32 v0, vcc_lo, s10, v0
	v_add_co_ci_u32_e64 v1, null, s11, v1, vcc_lo
	global_load_dword v12, v[2:3], off
	global_load_dword v13, v[0:1], off
	v_mov_b32_e32 v0, 0
	v_mov_b32_e32 v2, 0
	;; [unrolled: 1-line block ×4, first 2 shown]
	s_waitcnt vmcnt(1)
	v_subrev_nc_u32_e32 v14, s44, v12
	s_waitcnt vmcnt(0)
	v_sub_nc_u32_e32 v34, v13, v12
	s_and_saveexec_b32 s47, s2
	s_cbranch_execz .LBB45_17
; %bb.10:                               ;   in Loop: Header=BB45_9 Depth=3
	v_ashrrev_i32_e32 v15, 31, v14
	v_mov_b32_e32 v0, 0
	v_mov_b32_e32 v1, 0
	;; [unrolled: 1-line block ×3, first 2 shown]
	s_mov_b32 s48, 0
	v_lshlrev_b64 v[2:3], 2, v[14:15]
	v_lshlrev_b64 v[15:16], 4, v[14:15]
                                        ; implicit-def: $sgpr49
	v_add_co_u32 v12, vcc_lo, s12, v2
	v_add_co_ci_u32_e64 v13, null, s13, v3, vcc_lo
	v_add_co_u32 v17, vcc_lo, s14, v15
	v_mov_b32_e32 v2, 0
	v_add_co_ci_u32_e64 v18, null, s15, v16, vcc_lo
	v_mov_b32_e32 v15, 0
	v_mov_b32_e32 v3, 0
	s_branch .LBB45_13
.LBB45_11:                              ;   in Loop: Header=BB45_13 Depth=4
	s_or_b32 exec_lo, exec_lo, s3
	v_cmp_le_i32_e32 vcc_lo, v19, v20
	v_cmp_ge_i32_e64 s3, v19, v20
	v_add_co_ci_u32_e64 v4, null, 0, v4, vcc_lo
	v_add_co_ci_u32_e64 v15, null, 0, v15, s3
	s_andn2_b32 s3, s49, exec_lo
	v_cmp_ge_i32_e32 vcc_lo, v4, v29
	s_and_b32 s49, vcc_lo, exec_lo
	s_or_b32 s49, s3, s49
.LBB45_12:                              ;   in Loop: Header=BB45_13 Depth=4
	s_or_b32 exec_lo, exec_lo, s50
	s_and_b32 s3, exec_lo, s49
	s_or_b32 s48, s3, s48
	s_andn2_b32 exec_lo, exec_lo, s48
	s_cbranch_execz .LBB45_16
.LBB45_13:                              ;   Parent Loop BB45_3 Depth=1
                                        ;     Parent Loop BB45_5 Depth=2
                                        ;       Parent Loop BB45_9 Depth=3
                                        ; =>      This Inner Loop Header: Depth=4
	s_or_b32 s49, s49, exec_lo
	s_mov_b32 s50, exec_lo
	v_cmpx_lt_i32_e64 v15, v34
	s_cbranch_execz .LBB45_12
; %bb.14:                               ;   in Loop: Header=BB45_13 Depth=4
	v_mov_b32_e32 v16, v5
	v_lshlrev_b64 v[19:20], 2, v[4:5]
	s_mov_b32 s3, exec_lo
	v_lshlrev_b64 v[21:22], 2, v[15:16]
	v_add_co_u32 v19, vcc_lo, v30, v19
	v_add_co_ci_u32_e64 v20, null, v31, v20, vcc_lo
	v_add_co_u32 v21, vcc_lo, v12, v21
	v_add_co_ci_u32_e64 v22, null, v13, v22, vcc_lo
	global_load_dword v19, v[19:20], off
	global_load_dword v20, v[21:22], off
	s_waitcnt vmcnt(1)
	v_subrev_nc_u32_e32 v19, s43, v19
	s_waitcnt vmcnt(0)
	v_subrev_nc_u32_e32 v20, s44, v20
	v_cmpx_eq_u32_e64 v19, v20
	s_cbranch_execz .LBB45_11
; %bb.15:                               ;   in Loop: Header=BB45_13 Depth=4
	v_lshlrev_b64 v[21:22], 4, v[4:5]
	v_lshlrev_b64 v[35:36], 4, v[15:16]
	v_add_co_u32 v21, vcc_lo, v32, v21
	v_add_co_ci_u32_e64 v22, null, v33, v22, vcc_lo
	v_add_co_u32 v39, vcc_lo, v17, v35
	v_add_co_ci_u32_e64 v40, null, v18, v36, vcc_lo
	global_load_dwordx4 v[35:38], v[21:22], off
	global_load_dwordx4 v[39:42], v[39:40], off
	s_waitcnt vmcnt(0)
	v_fma_f64 v[0:1], v[35:36], v[39:40], v[0:1]
	v_fma_f64 v[2:3], v[37:38], v[39:40], v[2:3]
	v_fma_f64 v[0:1], -v[37:38], v[41:42], v[0:1]
	v_fma_f64 v[2:3], v[35:36], v[41:42], v[2:3]
	s_branch .LBB45_11
.LBB45_16:                              ;   in Loop: Header=BB45_9 Depth=3
	s_or_b32 exec_lo, exec_lo, s48
.LBB45_17:                              ;   in Loop: Header=BB45_9 Depth=3
	s_or_b32 exec_lo, exec_lo, s47
	v_lshlrev_b64 v[12:13], 4, v[7:8]
	v_cmp_le_i32_e64 s3, v6, v10
	s_mov_b32 s47, exec_lo
	v_add_co_u32 v12, vcc_lo, s30, v12
	v_add_co_ci_u32_e64 v13, null, s31, v13, vcc_lo
	global_load_dwordx4 v[16:19], v[12:13], off
	s_waitcnt vmcnt(0)
	v_add_f64 v[16:17], v[16:17], -v[0:1]
	v_add_f64 v[12:13], v[18:19], -v[2:3]
	v_cmpx_gt_i32_e64 v6, v10
	s_cbranch_execz .LBB45_27
; %bb.18:                               ;   in Loop: Header=BB45_9 Depth=3
	v_lshlrev_b64 v[0:1], 4, v[10:11]
	s_mov_b32 s48, exec_lo
                                        ; implicit-def: $vgpr22_vgpr23
	v_add_co_u32 v0, vcc_lo, s36, v0
	v_add_co_ci_u32_e64 v1, null, s37, v1, vcc_lo
	global_load_dwordx4 v[0:3], v[0:1], off
	s_waitcnt vmcnt(0)
	v_cmp_gt_f64_e32 vcc_lo, 0, v[0:1]
	v_xor_b32_e32 v8, 0x80000000, v1
	v_xor_b32_e32 v20, 0x80000000, v3
	v_mov_b32_e32 v18, v0
	v_cndmask_b32_e32 v19, v1, v8, vcc_lo
	v_cmp_gt_f64_e32 vcc_lo, 0, v[2:3]
	v_cndmask_b32_e32 v21, v3, v20, vcc_lo
	v_mov_b32_e32 v20, v2
	v_cmpx_ngt_f64_e32 v[18:19], v[20:21]
	s_xor_b32 s48, exec_lo, s48
	s_cbranch_execz .LBB45_22
; %bb.19:                               ;   in Loop: Header=BB45_9 Depth=3
	v_mov_b32_e32 v22, 0
	v_mov_b32_e32 v23, 0
	s_mov_b32 s49, exec_lo
	v_cmpx_neq_f64_e32 0, v[2:3]
	s_cbranch_execz .LBB45_21
; %bb.20:                               ;   in Loop: Header=BB45_9 Depth=3
	v_div_scale_f64 v[22:23], null, v[20:21], v[20:21], v[18:19]
	v_div_scale_f64 v[39:40], vcc_lo, v[18:19], v[20:21], v[18:19]
	v_rcp_f64_e32 v[35:36], v[22:23]
	v_fma_f64 v[37:38], -v[22:23], v[35:36], 1.0
	v_fma_f64 v[35:36], v[35:36], v[37:38], v[35:36]
	v_fma_f64 v[37:38], -v[22:23], v[35:36], 1.0
	v_fma_f64 v[35:36], v[35:36], v[37:38], v[35:36]
	v_mul_f64 v[37:38], v[39:40], v[35:36]
	v_fma_f64 v[22:23], -v[22:23], v[37:38], v[39:40]
	v_div_fmas_f64 v[22:23], v[22:23], v[35:36], v[37:38]
	v_div_fixup_f64 v[18:19], v[22:23], v[20:21], v[18:19]
	v_fma_f64 v[18:19], v[18:19], v[18:19], 1.0
	v_cmp_gt_f64_e32 vcc_lo, 0x10000000, v[18:19]
	v_cndmask_b32_e64 v8, 0, 0x100, vcc_lo
	v_ldexp_f64 v[18:19], v[18:19], v8
	v_cndmask_b32_e64 v8, 0, 0xffffff80, vcc_lo
	v_rsq_f64_e32 v[22:23], v[18:19]
	v_cmp_class_f64_e64 vcc_lo, v[18:19], 0x260
	v_mul_f64 v[35:36], v[18:19], v[22:23]
	v_mul_f64 v[22:23], v[22:23], 0.5
	v_fma_f64 v[37:38], -v[22:23], v[35:36], 0.5
	v_fma_f64 v[35:36], v[35:36], v[37:38], v[35:36]
	v_fma_f64 v[22:23], v[22:23], v[37:38], v[22:23]
	v_fma_f64 v[37:38], -v[35:36], v[35:36], v[18:19]
	v_fma_f64 v[35:36], v[37:38], v[22:23], v[35:36]
	v_fma_f64 v[37:38], -v[35:36], v[35:36], v[18:19]
	v_fma_f64 v[22:23], v[37:38], v[22:23], v[35:36]
	v_ldexp_f64 v[22:23], v[22:23], v8
	v_cndmask_b32_e32 v19, v23, v19, vcc_lo
	v_cndmask_b32_e32 v18, v22, v18, vcc_lo
	v_mul_f64 v[22:23], v[20:21], v[18:19]
.LBB45_21:                              ;   in Loop: Header=BB45_9 Depth=3
	s_or_b32 exec_lo, exec_lo, s49
                                        ; implicit-def: $vgpr18_vgpr19
                                        ; implicit-def: $vgpr20_vgpr21
.LBB45_22:                              ;   in Loop: Header=BB45_9 Depth=3
	s_andn2_saveexec_b32 s48, s48
	s_cbranch_execz .LBB45_24
; %bb.23:                               ;   in Loop: Header=BB45_9 Depth=3
	v_div_scale_f64 v[22:23], null, v[18:19], v[18:19], v[20:21]
	v_div_scale_f64 v[39:40], vcc_lo, v[20:21], v[18:19], v[20:21]
	v_rcp_f64_e32 v[35:36], v[22:23]
	v_fma_f64 v[37:38], -v[22:23], v[35:36], 1.0
	v_fma_f64 v[35:36], v[35:36], v[37:38], v[35:36]
	v_fma_f64 v[37:38], -v[22:23], v[35:36], 1.0
	v_fma_f64 v[35:36], v[35:36], v[37:38], v[35:36]
	v_mul_f64 v[37:38], v[39:40], v[35:36]
	v_fma_f64 v[22:23], -v[22:23], v[37:38], v[39:40]
	v_div_fmas_f64 v[22:23], v[22:23], v[35:36], v[37:38]
	v_div_fixup_f64 v[20:21], v[22:23], v[18:19], v[20:21]
	v_fma_f64 v[20:21], v[20:21], v[20:21], 1.0
	v_cmp_gt_f64_e32 vcc_lo, 0x10000000, v[20:21]
	v_cndmask_b32_e64 v8, 0, 0x100, vcc_lo
	v_ldexp_f64 v[20:21], v[20:21], v8
	v_cndmask_b32_e64 v8, 0, 0xffffff80, vcc_lo
	v_rsq_f64_e32 v[22:23], v[20:21]
	v_cmp_class_f64_e64 vcc_lo, v[20:21], 0x260
	v_mul_f64 v[35:36], v[20:21], v[22:23]
	v_mul_f64 v[22:23], v[22:23], 0.5
	v_fma_f64 v[37:38], -v[22:23], v[35:36], 0.5
	v_fma_f64 v[35:36], v[35:36], v[37:38], v[35:36]
	v_fma_f64 v[22:23], v[22:23], v[37:38], v[22:23]
	v_fma_f64 v[37:38], -v[35:36], v[35:36], v[20:21]
	v_fma_f64 v[35:36], v[37:38], v[22:23], v[35:36]
	v_fma_f64 v[37:38], -v[35:36], v[35:36], v[20:21]
	v_fma_f64 v[22:23], v[37:38], v[22:23], v[35:36]
	v_ldexp_f64 v[22:23], v[22:23], v8
	v_cndmask_b32_e32 v21, v23, v21, vcc_lo
	v_cndmask_b32_e32 v20, v22, v20, vcc_lo
	v_mul_f64 v[22:23], v[18:19], v[20:21]
.LBB45_24:                              ;   in Loop: Header=BB45_9 Depth=3
	s_or_b32 exec_lo, exec_lo, s48
	v_mov_b32_e32 v18, 0
	v_mov_b32_e32 v20, 0
	;; [unrolled: 1-line block ×4, first 2 shown]
	s_mov_b32 s48, exec_lo
	v_cmpx_lt_f64_e32 0, v[22:23]
	s_cbranch_execz .LBB45_26
; %bb.25:                               ;   in Loop: Header=BB45_9 Depth=3
	v_mul_f64 v[18:19], v[2:3], v[2:3]
	v_fma_f64 v[18:19], v[0:1], v[0:1], v[18:19]
	v_div_scale_f64 v[20:21], null, v[18:19], v[18:19], 1.0
	v_div_scale_f64 v[37:38], vcc_lo, 1.0, v[18:19], 1.0
	v_rcp_f64_e32 v[22:23], v[20:21]
	v_fma_f64 v[35:36], -v[20:21], v[22:23], 1.0
	v_fma_f64 v[22:23], v[22:23], v[35:36], v[22:23]
	v_fma_f64 v[35:36], -v[20:21], v[22:23], 1.0
	v_fma_f64 v[22:23], v[22:23], v[35:36], v[22:23]
	v_mul_f64 v[35:36], v[37:38], v[22:23]
	v_fma_f64 v[20:21], -v[20:21], v[35:36], v[37:38]
	v_mul_f64 v[37:38], v[12:13], v[2:3]
	v_mul_f64 v[2:3], v[2:3], -v[16:17]
	v_div_fmas_f64 v[20:21], v[20:21], v[22:23], v[35:36]
	v_fma_f64 v[16:17], v[16:17], v[0:1], v[37:38]
	v_fma_f64 v[0:1], v[12:13], v[0:1], v[2:3]
	v_div_fixup_f64 v[20:21], v[20:21], v[18:19], 1.0
	v_mul_f64 v[18:19], v[16:17], v[20:21]
	v_mul_f64 v[20:21], v[0:1], v[20:21]
.LBB45_26:                              ;   in Loop: Header=BB45_9 Depth=3
	s_or_b32 exec_lo, exec_lo, s48
	v_mov_b32_e32 v16, v18
	v_mov_b32_e32 v12, v20
	;; [unrolled: 1-line block ×4, first 2 shown]
.LBB45_27:                              ;   in Loop: Header=BB45_9 Depth=3
	s_or_b32 exec_lo, exec_lo, s47
	v_cmp_gt_f64_e32 vcc_lo, 0, v[16:17]
	v_xor_b32_e32 v1, 0x80000000, v17
	v_xor_b32_e32 v2, 0x80000000, v13
	v_mov_b32_e32 v0, v16
	s_mov_b32 s47, exec_lo
                                        ; implicit-def: $vgpr18_vgpr19
	v_cndmask_b32_e32 v1, v17, v1, vcc_lo
	v_cmp_gt_f64_e32 vcc_lo, 0, v[12:13]
	v_cndmask_b32_e32 v3, v13, v2, vcc_lo
	v_mov_b32_e32 v2, v12
	v_cmpx_ngt_f64_e32 v[0:1], v[2:3]
	s_xor_b32 s47, exec_lo, s47
	s_cbranch_execnz .LBB45_30
; %bb.28:                               ;   in Loop: Header=BB45_9 Depth=3
	s_andn2_saveexec_b32 s47, s47
	s_cbranch_execnz .LBB45_33
.LBB45_29:                              ;   in Loop: Header=BB45_9 Depth=3
	s_or_b32 exec_lo, exec_lo, s47
	v_cmp_class_f64_e64 s48, v[18:19], 0x1f8
	s_and_saveexec_b32 s47, s48
	s_cbranch_execz .LBB45_8
	s_branch .LBB45_34
.LBB45_30:                              ;   in Loop: Header=BB45_9 Depth=3
	v_mov_b32_e32 v18, 0
	v_mov_b32_e32 v19, 0
	s_mov_b32 s48, exec_lo
	v_cmpx_neq_f64_e32 0, v[12:13]
	s_cbranch_execz .LBB45_32
; %bb.31:                               ;   in Loop: Header=BB45_9 Depth=3
	v_div_scale_f64 v[18:19], null, v[2:3], v[2:3], v[0:1]
	v_div_scale_f64 v[35:36], vcc_lo, v[0:1], v[2:3], v[0:1]
	v_rcp_f64_e32 v[20:21], v[18:19]
	v_fma_f64 v[22:23], -v[18:19], v[20:21], 1.0
	v_fma_f64 v[20:21], v[20:21], v[22:23], v[20:21]
	v_fma_f64 v[22:23], -v[18:19], v[20:21], 1.0
	v_fma_f64 v[20:21], v[20:21], v[22:23], v[20:21]
	v_mul_f64 v[22:23], v[35:36], v[20:21]
	v_fma_f64 v[18:19], -v[18:19], v[22:23], v[35:36]
	v_div_fmas_f64 v[18:19], v[18:19], v[20:21], v[22:23]
	v_div_fixup_f64 v[0:1], v[18:19], v[2:3], v[0:1]
	v_fma_f64 v[0:1], v[0:1], v[0:1], 1.0
	v_cmp_gt_f64_e32 vcc_lo, 0x10000000, v[0:1]
	v_cndmask_b32_e64 v8, 0, 0x100, vcc_lo
	v_ldexp_f64 v[0:1], v[0:1], v8
	v_cndmask_b32_e64 v8, 0, 0xffffff80, vcc_lo
	v_rsq_f64_e32 v[18:19], v[0:1]
	v_cmp_class_f64_e64 vcc_lo, v[0:1], 0x260
	v_mul_f64 v[20:21], v[0:1], v[18:19]
	v_mul_f64 v[18:19], v[18:19], 0.5
	v_fma_f64 v[22:23], -v[18:19], v[20:21], 0.5
	v_fma_f64 v[20:21], v[20:21], v[22:23], v[20:21]
	v_fma_f64 v[18:19], v[18:19], v[22:23], v[18:19]
	v_fma_f64 v[22:23], -v[20:21], v[20:21], v[0:1]
	v_fma_f64 v[20:21], v[22:23], v[18:19], v[20:21]
	v_fma_f64 v[22:23], -v[20:21], v[20:21], v[0:1]
	v_fma_f64 v[18:19], v[22:23], v[18:19], v[20:21]
	v_ldexp_f64 v[18:19], v[18:19], v8
	v_cndmask_b32_e32 v1, v19, v1, vcc_lo
	v_cndmask_b32_e32 v0, v18, v0, vcc_lo
	v_mul_f64 v[18:19], v[2:3], v[0:1]
.LBB45_32:                              ;   in Loop: Header=BB45_9 Depth=3
	s_or_b32 exec_lo, exec_lo, s48
                                        ; implicit-def: $vgpr0_vgpr1
                                        ; implicit-def: $vgpr2_vgpr3
	s_andn2_saveexec_b32 s47, s47
	s_cbranch_execz .LBB45_29
.LBB45_33:                              ;   in Loop: Header=BB45_9 Depth=3
	v_div_scale_f64 v[18:19], null, v[0:1], v[0:1], v[2:3]
	v_div_scale_f64 v[35:36], vcc_lo, v[2:3], v[0:1], v[2:3]
	v_rcp_f64_e32 v[20:21], v[18:19]
	v_fma_f64 v[22:23], -v[18:19], v[20:21], 1.0
	v_fma_f64 v[20:21], v[20:21], v[22:23], v[20:21]
	v_fma_f64 v[22:23], -v[18:19], v[20:21], 1.0
	v_fma_f64 v[20:21], v[20:21], v[22:23], v[20:21]
	v_mul_f64 v[22:23], v[35:36], v[20:21]
	v_fma_f64 v[18:19], -v[18:19], v[22:23], v[35:36]
	v_div_fmas_f64 v[18:19], v[18:19], v[20:21], v[22:23]
	v_div_fixup_f64 v[2:3], v[18:19], v[0:1], v[2:3]
	v_fma_f64 v[2:3], v[2:3], v[2:3], 1.0
	v_cmp_gt_f64_e32 vcc_lo, 0x10000000, v[2:3]
	v_cndmask_b32_e64 v8, 0, 0x100, vcc_lo
	v_ldexp_f64 v[2:3], v[2:3], v8
	v_cndmask_b32_e64 v8, 0, 0xffffff80, vcc_lo
	v_rsq_f64_e32 v[18:19], v[2:3]
	v_cmp_class_f64_e64 vcc_lo, v[2:3], 0x260
	v_mul_f64 v[20:21], v[2:3], v[18:19]
	v_mul_f64 v[18:19], v[18:19], 0.5
	v_fma_f64 v[22:23], -v[18:19], v[20:21], 0.5
	v_fma_f64 v[20:21], v[20:21], v[22:23], v[20:21]
	v_fma_f64 v[18:19], v[18:19], v[22:23], v[18:19]
	v_fma_f64 v[22:23], -v[20:21], v[20:21], v[2:3]
	v_fma_f64 v[20:21], v[22:23], v[18:19], v[20:21]
	v_fma_f64 v[22:23], -v[20:21], v[20:21], v[2:3]
	v_fma_f64 v[18:19], v[22:23], v[18:19], v[20:21]
	v_ldexp_f64 v[18:19], v[18:19], v8
	v_cndmask_b32_e32 v3, v19, v3, vcc_lo
	v_cndmask_b32_e32 v2, v18, v2, vcc_lo
	v_mul_f64 v[18:19], v[0:1], v[2:3]
	s_or_b32 exec_lo, exec_lo, s47
	v_cmp_class_f64_e64 s48, v[18:19], 0x1f8
	s_and_saveexec_b32 s47, s48
	s_cbranch_execz .LBB45_8
.LBB45_34:                              ;   in Loop: Header=BB45_9 Depth=3
	s_mov_b32 s48, 0
                                        ; implicit-def: $vgpr0_vgpr1
	s_and_saveexec_b32 s49, s3
	s_xor_b32 s3, exec_lo, s49
	s_cbranch_execnz .LBB45_37
; %bb.35:                               ;   in Loop: Header=BB45_9 Depth=3
	s_andn2_saveexec_b32 s3, s3
	s_cbranch_execnz .LBB45_50
.LBB45_36:                              ;   in Loop: Header=BB45_9 Depth=3
	s_or_b32 exec_lo, exec_lo, s3
	s_and_b32 exec_lo, exec_lo, s48
	s_cbranch_execz .LBB45_8
	s_branch .LBB45_59
.LBB45_37:                              ;   in Loop: Header=BB45_9 Depth=3
	s_mov_b32 s49, exec_lo
                                        ; implicit-def: $vgpr0_vgpr1
	v_cmpx_ge_i32_e64 v6, v10
	s_xor_b32 s49, exec_lo, s49
	s_cbranch_execz .LBB45_39
; %bb.38:                               ;   in Loop: Header=BB45_9 Depth=3
	v_lshlrev_b64 v[0:1], 4, v[10:11]
	s_mov_b32 s48, exec_lo
                                        ; implicit-def: $vgpr15
                                        ; implicit-def: $vgpr34
                                        ; implicit-def: $vgpr14
	v_add_co_u32 v0, vcc_lo, s38, v0
	v_add_co_ci_u32_e64 v1, null, s39, v1, vcc_lo
	global_store_dwordx2 v[0:1], v[16:17], off
                                        ; implicit-def: $vgpr16_vgpr17
.LBB45_39:                              ;   in Loop: Header=BB45_9 Depth=3
	s_andn2_saveexec_b32 s49, s49
	s_cbranch_execz .LBB45_49
; %bb.40:                               ;   in Loop: Header=BB45_9 Depth=3
	s_mov_b32 s51, s48
	s_mov_b32 s50, exec_lo
                                        ; implicit-def: $vgpr0_vgpr1
	v_cmpx_lt_i32_e64 v15, v34
	s_cbranch_execz .LBB45_48
; %bb.41:                               ;   in Loop: Header=BB45_9 Depth=3
	s_mov_b32 s52, 0
                                        ; implicit-def: $sgpr51
                                        ; implicit-def: $sgpr54
                                        ; implicit-def: $sgpr53
	s_inst_prefetch 0x1
	s_branch .LBB45_43
	.p2align	6
.LBB45_42:                              ;   in Loop: Header=BB45_43 Depth=4
	s_or_b32 exec_lo, exec_lo, s55
	s_and_b32 s55, exec_lo, s54
	s_or_b32 s52, s55, s52
	s_andn2_b32 s51, s51, exec_lo
	s_and_b32 s55, s53, exec_lo
	s_or_b32 s51, s51, s55
	s_andn2_b32 exec_lo, exec_lo, s52
	s_cbranch_execz .LBB45_45
.LBB45_43:                              ;   Parent Loop BB45_3 Depth=1
                                        ;     Parent Loop BB45_5 Depth=2
                                        ;       Parent Loop BB45_9 Depth=3
                                        ; =>      This Inner Loop Header: Depth=4
	v_add_nc_u32_e32 v2, v14, v15
	s_or_b32 s53, s53, exec_lo
	s_or_b32 s54, s54, exec_lo
	s_mov_b32 s55, exec_lo
	v_ashrrev_i32_e32 v3, 31, v2
	v_lshlrev_b64 v[0:1], 2, v[2:3]
	v_add_co_u32 v0, vcc_lo, s12, v0
	v_add_co_ci_u32_e64 v1, null, s13, v1, vcc_lo
	global_load_dword v0, v[0:1], off
	s_waitcnt vmcnt(0)
	v_subrev_nc_u32_e32 v0, s44, v0
	v_cmpx_ne_u32_e64 v0, v6
	s_cbranch_execz .LBB45_42
; %bb.44:                               ;   in Loop: Header=BB45_43 Depth=4
	v_add_nc_u32_e32 v15, 1, v15
	s_andn2_b32 s54, s54, exec_lo
	s_andn2_b32 s53, s53, exec_lo
	v_cmp_ge_i32_e32 vcc_lo, v15, v34
	s_and_b32 s56, vcc_lo, exec_lo
	s_or_b32 s54, s54, s56
	s_branch .LBB45_42
.LBB45_45:                              ;   in Loop: Header=BB45_9 Depth=3
	s_inst_prefetch 0x2
	s_or_b32 exec_lo, exec_lo, s52
	s_mov_b32 s52, s48
                                        ; implicit-def: $vgpr0_vgpr1
	s_and_saveexec_b32 s53, s51
	s_xor_b32 s51, exec_lo, s53
	s_cbranch_execz .LBB45_47
; %bb.46:                               ;   in Loop: Header=BB45_9 Depth=3
	v_lshlrev_b64 v[0:1], 4, v[2:3]
	s_or_b32 s52, s48, exec_lo
	v_add_co_u32 v0, vcc_lo, s6, v0
	v_add_co_ci_u32_e64 v1, null, s7, v1, vcc_lo
	global_store_dwordx2 v[0:1], v[16:17], off
.LBB45_47:                              ;   in Loop: Header=BB45_9 Depth=3
	s_or_b32 exec_lo, exec_lo, s51
	s_andn2_b32 s51, s48, exec_lo
	s_and_b32 s52, s52, exec_lo
	s_or_b32 s51, s51, s52
.LBB45_48:                              ;   in Loop: Header=BB45_9 Depth=3
	s_or_b32 exec_lo, exec_lo, s50
	s_andn2_b32 s48, s48, exec_lo
	s_and_b32 s50, s51, exec_lo
	s_or_b32 s48, s48, s50
.LBB45_49:                              ;   in Loop: Header=BB45_9 Depth=3
	s_or_b32 exec_lo, exec_lo, s49
	s_and_b32 s48, s48, exec_lo
                                        ; implicit-def: $vgpr16_vgpr17
                                        ; implicit-def: $vgpr10_vgpr11
	s_andn2_saveexec_b32 s3, s3
	s_cbranch_execz .LBB45_36
.LBB45_50:                              ;   in Loop: Header=BB45_9 Depth=3
	s_mov_b32 s50, s48
	s_mov_b32 s49, exec_lo
                                        ; implicit-def: $vgpr0_vgpr1
	v_cmpx_lt_i32_e64 v4, v29
	s_cbranch_execz .LBB45_58
; %bb.51:                               ;   in Loop: Header=BB45_9 Depth=3
	s_mov_b32 s51, 0
                                        ; implicit-def: $sgpr50
                                        ; implicit-def: $sgpr53
                                        ; implicit-def: $sgpr52
	s_inst_prefetch 0x1
	s_branch .LBB45_53
	.p2align	6
.LBB45_52:                              ;   in Loop: Header=BB45_53 Depth=4
	s_or_b32 exec_lo, exec_lo, s54
	s_and_b32 s54, exec_lo, s53
	s_or_b32 s51, s54, s51
	s_andn2_b32 s50, s50, exec_lo
	s_and_b32 s54, s52, exec_lo
	s_or_b32 s50, s50, s54
	s_andn2_b32 exec_lo, exec_lo, s51
	s_cbranch_execz .LBB45_55
.LBB45_53:                              ;   Parent Loop BB45_3 Depth=1
                                        ;     Parent Loop BB45_5 Depth=2
                                        ;       Parent Loop BB45_9 Depth=3
                                        ; =>      This Inner Loop Header: Depth=4
	v_add_nc_u32_e32 v2, v9, v4
	s_or_b32 s52, s52, exec_lo
	s_or_b32 s53, s53, exec_lo
	s_mov_b32 s54, exec_lo
	v_ashrrev_i32_e32 v3, 31, v2
	v_lshlrev_b64 v[0:1], 2, v[2:3]
	v_add_co_u32 v0, vcc_lo, s20, v0
	v_add_co_ci_u32_e64 v1, null, s21, v1, vcc_lo
	global_load_dword v0, v[0:1], off
	s_waitcnt vmcnt(0)
	v_subrev_nc_u32_e32 v0, s43, v0
	v_cmpx_ne_u32_e64 v0, v10
	s_cbranch_execz .LBB45_52
; %bb.54:                               ;   in Loop: Header=BB45_53 Depth=4
	v_add_nc_u32_e32 v4, 1, v4
	s_andn2_b32 s53, s53, exec_lo
	s_andn2_b32 s52, s52, exec_lo
	v_cmp_ge_i32_e32 vcc_lo, v4, v29
	s_and_b32 s55, vcc_lo, exec_lo
	s_or_b32 s53, s53, s55
	s_branch .LBB45_52
.LBB45_55:                              ;   in Loop: Header=BB45_9 Depth=3
	s_inst_prefetch 0x2
	s_or_b32 exec_lo, exec_lo, s51
	s_mov_b32 s51, s48
                                        ; implicit-def: $vgpr0_vgpr1
	s_and_saveexec_b32 s52, s50
	s_xor_b32 s50, exec_lo, s52
	s_cbranch_execz .LBB45_57
; %bb.56:                               ;   in Loop: Header=BB45_9 Depth=3
	v_lshlrev_b64 v[0:1], 4, v[2:3]
	s_or_b32 s51, s48, exec_lo
	v_add_co_u32 v0, vcc_lo, s40, v0
	v_add_co_ci_u32_e64 v1, null, s41, v1, vcc_lo
	global_store_dwordx2 v[0:1], v[16:17], off
.LBB45_57:                              ;   in Loop: Header=BB45_9 Depth=3
	s_or_b32 exec_lo, exec_lo, s50
	s_andn2_b32 s50, s48, exec_lo
	s_and_b32 s51, s51, exec_lo
	s_or_b32 s50, s50, s51
.LBB45_58:                              ;   in Loop: Header=BB45_9 Depth=3
	s_or_b32 exec_lo, exec_lo, s49
	s_andn2_b32 s48, s48, exec_lo
	s_and_b32 s49, s50, exec_lo
	s_or_b32 s48, s48, s49
	s_or_b32 exec_lo, exec_lo, s3
	s_and_b32 exec_lo, exec_lo, s48
	s_cbranch_execz .LBB45_8
.LBB45_59:                              ;   in Loop: Header=BB45_9 Depth=3
	global_store_dwordx2 v[0:1], v[12:13], off offset:8
	s_branch .LBB45_8
.LBB45_60:                              ;   in Loop: Header=BB45_3 Depth=1
	s_and_saveexec_b32 s3, s0
	s_cbranch_execz .LBB45_2
; %bb.61:                               ;   in Loop: Header=BB45_3 Depth=1
	v_mov_b32_e32 v0, v24
	s_mov_b32 s5, 0
	s_branch .LBB45_63
.LBB45_62:                              ;   in Loop: Header=BB45_63 Depth=2
	s_or_b32 exec_lo, exec_lo, s45
	v_add_nc_u32_e32 v0, 0x80, v0
	v_cmp_le_u32_e32 vcc_lo, s4, v0
	s_or_b32 s5, vcc_lo, s5
	s_andn2_b32 exec_lo, exec_lo, s5
	s_cbranch_execz .LBB45_2
.LBB45_63:                              ;   Parent Loop BB45_3 Depth=1
                                        ; =>  This Loop Header: Depth=2
                                        ;       Child Loop BB45_66 Depth 3
                                        ;       Child Loop BB45_69 Depth 3
	s_mov_b32 s45, exec_lo
	v_cmpx_gt_i32_e64 s35, v0
	s_cbranch_execz .LBB45_62
; %bb.64:                               ;   in Loop: Header=BB45_63 Depth=2
	v_ashrrev_i32_e32 v1, 31, v0
	s_mov_b32 s46, exec_lo
	v_lshlrev_b64 v[2:3], 2, v[0:1]
	v_add_co_u32 v6, vcc_lo, s16, v2
	v_add_co_ci_u32_e64 v7, null, s17, v3, vcc_lo
	v_add_co_u32 v8, vcc_lo, s18, v2
	v_add_co_ci_u32_e64 v9, null, s19, v3, vcc_lo
	global_load_dword v4, v[6:7], off
	global_load_dword v7, v[8:9], off
	s_waitcnt vmcnt(1)
	v_add_nc_u32_e32 v6, v26, v4
	s_waitcnt vmcnt(0)
	v_subrev_nc_u32_e32 v4, s43, v7
	v_cmpx_lt_i32_e64 v6, v4
	s_cbranch_execz .LBB45_67
; %bb.65:                               ;   in Loop: Header=BB45_63 Depth=2
	v_ashrrev_i32_e32 v7, 31, v6
	s_mov_b32 s47, 0
	v_lshlrev_b64 v[9:10], 4, v[6:7]
	v_add_co_u32 v7, vcc_lo, s22, v9
	v_add_co_ci_u32_e64 v8, null, s23, v10, vcc_lo
	v_add_co_u32 v9, vcc_lo, s40, v9
	v_add_co_ci_u32_e64 v10, null, s41, v10, vcc_lo
	.p2align	6
.LBB45_66:                              ;   Parent Loop BB45_3 Depth=1
                                        ;     Parent Loop BB45_63 Depth=2
                                        ; =>    This Inner Loop Header: Depth=3
	global_load_dwordx4 v[11:14], v[9:10], off
	v_add_nc_u32_e32 v6, 8, v6
	v_add_co_u32 v9, vcc_lo, 0x80, v9
	v_add_co_ci_u32_e64 v10, null, 0, v10, vcc_lo
	v_cmp_ge_i32_e32 vcc_lo, v6, v4
	s_or_b32 s47, vcc_lo, s47
	s_waitcnt vmcnt(0)
	global_store_dwordx4 v[7:8], v[11:14], off
	v_add_co_u32 v7, s2, 0x80, v7
	v_add_co_ci_u32_e64 v8, null, 0, v8, s2
	s_andn2_b32 exec_lo, exec_lo, s47
	s_cbranch_execnz .LBB45_66
.LBB45_67:                              ;   in Loop: Header=BB45_63 Depth=2
	s_or_b32 exec_lo, exec_lo, s46
	v_add_co_u32 v6, vcc_lo, s8, v2
	v_add_co_ci_u32_e64 v7, null, s9, v3, vcc_lo
	v_add_co_u32 v2, vcc_lo, s10, v2
	v_add_co_ci_u32_e64 v3, null, s11, v3, vcc_lo
	global_load_dword v4, v[6:7], off
	global_load_dword v3, v[2:3], off
	s_mov_b32 s46, exec_lo
	s_waitcnt vmcnt(1)
	v_add_nc_u32_e32 v2, v27, v4
	s_waitcnt vmcnt(0)
	v_subrev_nc_u32_e32 v8, s44, v3
	v_cmpx_lt_i32_e64 v2, v8
	s_cbranch_execz .LBB45_70
; %bb.68:                               ;   in Loop: Header=BB45_63 Depth=2
	v_ashrrev_i32_e32 v3, 31, v2
	s_mov_b32 s47, 0
	v_lshlrev_b64 v[6:7], 4, v[2:3]
	v_add_co_u32 v3, vcc_lo, s14, v6
	v_add_co_ci_u32_e64 v4, null, s15, v7, vcc_lo
	v_add_co_u32 v6, vcc_lo, s6, v6
	v_add_co_ci_u32_e64 v7, null, s7, v7, vcc_lo
	.p2align	6
.LBB45_69:                              ;   Parent Loop BB45_3 Depth=1
                                        ;     Parent Loop BB45_63 Depth=2
                                        ; =>    This Inner Loop Header: Depth=3
	global_load_dwordx4 v[9:12], v[6:7], off
	v_add_nc_u32_e32 v2, 8, v2
	v_add_co_u32 v6, vcc_lo, 0x80, v6
	v_add_co_ci_u32_e64 v7, null, 0, v7, vcc_lo
	v_cmp_ge_i32_e32 vcc_lo, v2, v8
	s_or_b32 s47, vcc_lo, s47
	s_waitcnt vmcnt(0)
	global_store_dwordx4 v[3:4], v[9:12], off
	v_add_co_u32 v3, s2, 0x80, v3
	v_add_co_ci_u32_e64 v4, null, 0, v4, s2
	s_andn2_b32 exec_lo, exec_lo, s47
	s_cbranch_execnz .LBB45_69
.LBB45_70:                              ;   in Loop: Header=BB45_63 Depth=2
	s_or_b32 exec_lo, exec_lo, s46
	s_and_b32 exec_lo, exec_lo, s1
	s_cbranch_execz .LBB45_62
; %bb.71:                               ;   in Loop: Header=BB45_63 Depth=2
	v_lshlrev_b64 v[6:7], 4, v[0:1]
	v_add_co_u32 v1, vcc_lo, s38, v6
	v_add_co_ci_u32_e64 v2, null, s39, v7, vcc_lo
	v_add_co_u32 v6, vcc_lo, s36, v6
	v_add_co_ci_u32_e64 v7, null, s37, v7, vcc_lo
	global_load_dwordx4 v[1:4], v[1:2], off
	s_waitcnt vmcnt(0)
	global_store_dwordx4 v[6:7], v[1:4], off
	s_branch .LBB45_62
.LBB45_72:
	s_endpgm
	.section	.rodata,"a",@progbits
	.p2align	6, 0x0
	.amdhsa_kernel _ZN9rocsparseL14kernel_freerunILi1024ELi8E21rocsparse_complex_numIdEiiEEvT3_S3_T2_PKS4_S6_PKS3_PKT1_21rocsparse_index_base_S6_S6_S8_PS9_SD_SC_S6_S6_S8_SD_SD_SC_SD_SD_
		.amdhsa_group_segment_fixed_size 0
		.amdhsa_private_segment_fixed_size 0
		.amdhsa_kernarg_size 168
		.amdhsa_user_sgpr_count 6
		.amdhsa_user_sgpr_private_segment_buffer 1
		.amdhsa_user_sgpr_dispatch_ptr 0
		.amdhsa_user_sgpr_queue_ptr 0
		.amdhsa_user_sgpr_kernarg_segment_ptr 1
		.amdhsa_user_sgpr_dispatch_id 0
		.amdhsa_user_sgpr_flat_scratch_init 0
		.amdhsa_user_sgpr_private_segment_size 0
		.amdhsa_wavefront_size32 1
		.amdhsa_uses_dynamic_stack 0
		.amdhsa_system_sgpr_private_segment_wavefront_offset 0
		.amdhsa_system_sgpr_workgroup_id_x 1
		.amdhsa_system_sgpr_workgroup_id_y 0
		.amdhsa_system_sgpr_workgroup_id_z 0
		.amdhsa_system_sgpr_workgroup_info 0
		.amdhsa_system_vgpr_workitem_id 0
		.amdhsa_next_free_vgpr 43
		.amdhsa_next_free_sgpr 57
		.amdhsa_reserve_vcc 1
		.amdhsa_reserve_flat_scratch 0
		.amdhsa_float_round_mode_32 0
		.amdhsa_float_round_mode_16_64 0
		.amdhsa_float_denorm_mode_32 3
		.amdhsa_float_denorm_mode_16_64 3
		.amdhsa_dx10_clamp 1
		.amdhsa_ieee_mode 1
		.amdhsa_fp16_overflow 0
		.amdhsa_workgroup_processor_mode 1
		.amdhsa_memory_ordered 1
		.amdhsa_forward_progress 1
		.amdhsa_shared_vgpr_count 0
		.amdhsa_exception_fp_ieee_invalid_op 0
		.amdhsa_exception_fp_denorm_src 0
		.amdhsa_exception_fp_ieee_div_zero 0
		.amdhsa_exception_fp_ieee_overflow 0
		.amdhsa_exception_fp_ieee_underflow 0
		.amdhsa_exception_fp_ieee_inexact 0
		.amdhsa_exception_int_div_zero 0
	.end_amdhsa_kernel
	.section	.text._ZN9rocsparseL14kernel_freerunILi1024ELi8E21rocsparse_complex_numIdEiiEEvT3_S3_T2_PKS4_S6_PKS3_PKT1_21rocsparse_index_base_S6_S6_S8_PS9_SD_SC_S6_S6_S8_SD_SD_SC_SD_SD_,"axG",@progbits,_ZN9rocsparseL14kernel_freerunILi1024ELi8E21rocsparse_complex_numIdEiiEEvT3_S3_T2_PKS4_S6_PKS3_PKT1_21rocsparse_index_base_S6_S6_S8_PS9_SD_SC_S6_S6_S8_SD_SD_SC_SD_SD_,comdat
.Lfunc_end45:
	.size	_ZN9rocsparseL14kernel_freerunILi1024ELi8E21rocsparse_complex_numIdEiiEEvT3_S3_T2_PKS4_S6_PKS3_PKT1_21rocsparse_index_base_S6_S6_S8_PS9_SD_SC_S6_S6_S8_SD_SD_SC_SD_SD_, .Lfunc_end45-_ZN9rocsparseL14kernel_freerunILi1024ELi8E21rocsparse_complex_numIdEiiEEvT3_S3_T2_PKS4_S6_PKS3_PKT1_21rocsparse_index_base_S6_S6_S8_PS9_SD_SC_S6_S6_S8_SD_SD_SC_SD_SD_
                                        ; -- End function
	.set _ZN9rocsparseL14kernel_freerunILi1024ELi8E21rocsparse_complex_numIdEiiEEvT3_S3_T2_PKS4_S6_PKS3_PKT1_21rocsparse_index_base_S6_S6_S8_PS9_SD_SC_S6_S6_S8_SD_SD_SC_SD_SD_.num_vgpr, 43
	.set _ZN9rocsparseL14kernel_freerunILi1024ELi8E21rocsparse_complex_numIdEiiEEvT3_S3_T2_PKS4_S6_PKS3_PKT1_21rocsparse_index_base_S6_S6_S8_PS9_SD_SC_S6_S6_S8_SD_SD_SC_SD_SD_.num_agpr, 0
	.set _ZN9rocsparseL14kernel_freerunILi1024ELi8E21rocsparse_complex_numIdEiiEEvT3_S3_T2_PKS4_S6_PKS3_PKT1_21rocsparse_index_base_S6_S6_S8_PS9_SD_SC_S6_S6_S8_SD_SD_SC_SD_SD_.numbered_sgpr, 57
	.set _ZN9rocsparseL14kernel_freerunILi1024ELi8E21rocsparse_complex_numIdEiiEEvT3_S3_T2_PKS4_S6_PKS3_PKT1_21rocsparse_index_base_S6_S6_S8_PS9_SD_SC_S6_S6_S8_SD_SD_SC_SD_SD_.num_named_barrier, 0
	.set _ZN9rocsparseL14kernel_freerunILi1024ELi8E21rocsparse_complex_numIdEiiEEvT3_S3_T2_PKS4_S6_PKS3_PKT1_21rocsparse_index_base_S6_S6_S8_PS9_SD_SC_S6_S6_S8_SD_SD_SC_SD_SD_.private_seg_size, 0
	.set _ZN9rocsparseL14kernel_freerunILi1024ELi8E21rocsparse_complex_numIdEiiEEvT3_S3_T2_PKS4_S6_PKS3_PKT1_21rocsparse_index_base_S6_S6_S8_PS9_SD_SC_S6_S6_S8_SD_SD_SC_SD_SD_.uses_vcc, 1
	.set _ZN9rocsparseL14kernel_freerunILi1024ELi8E21rocsparse_complex_numIdEiiEEvT3_S3_T2_PKS4_S6_PKS3_PKT1_21rocsparse_index_base_S6_S6_S8_PS9_SD_SC_S6_S6_S8_SD_SD_SC_SD_SD_.uses_flat_scratch, 0
	.set _ZN9rocsparseL14kernel_freerunILi1024ELi8E21rocsparse_complex_numIdEiiEEvT3_S3_T2_PKS4_S6_PKS3_PKT1_21rocsparse_index_base_S6_S6_S8_PS9_SD_SC_S6_S6_S8_SD_SD_SC_SD_SD_.has_dyn_sized_stack, 0
	.set _ZN9rocsparseL14kernel_freerunILi1024ELi8E21rocsparse_complex_numIdEiiEEvT3_S3_T2_PKS4_S6_PKS3_PKT1_21rocsparse_index_base_S6_S6_S8_PS9_SD_SC_S6_S6_S8_SD_SD_SC_SD_SD_.has_recursion, 0
	.set _ZN9rocsparseL14kernel_freerunILi1024ELi8E21rocsparse_complex_numIdEiiEEvT3_S3_T2_PKS4_S6_PKS3_PKT1_21rocsparse_index_base_S6_S6_S8_PS9_SD_SC_S6_S6_S8_SD_SD_SC_SD_SD_.has_indirect_call, 0
	.section	.AMDGPU.csdata,"",@progbits
; Kernel info:
; codeLenInByte = 3936
; TotalNumSgprs: 59
; NumVgprs: 43
; ScratchSize: 0
; MemoryBound: 1
; FloatMode: 240
; IeeeMode: 1
; LDSByteSize: 0 bytes/workgroup (compile time only)
; SGPRBlocks: 0
; VGPRBlocks: 5
; NumSGPRsForWavesPerEU: 59
; NumVGPRsForWavesPerEU: 43
; Occupancy: 16
; WaveLimiterHint : 1
; COMPUTE_PGM_RSRC2:SCRATCH_EN: 0
; COMPUTE_PGM_RSRC2:USER_SGPR: 6
; COMPUTE_PGM_RSRC2:TRAP_HANDLER: 0
; COMPUTE_PGM_RSRC2:TGID_X_EN: 1
; COMPUTE_PGM_RSRC2:TGID_Y_EN: 0
; COMPUTE_PGM_RSRC2:TGID_Z_EN: 0
; COMPUTE_PGM_RSRC2:TIDIG_COMP_CNT: 0
	.section	.text._ZN9rocsparseL14kernel_freerunILi1024ELi16E21rocsparse_complex_numIdEiiEEvT3_S3_T2_PKS4_S6_PKS3_PKT1_21rocsparse_index_base_S6_S6_S8_PS9_SD_SC_S6_S6_S8_SD_SD_SC_SD_SD_,"axG",@progbits,_ZN9rocsparseL14kernel_freerunILi1024ELi16E21rocsparse_complex_numIdEiiEEvT3_S3_T2_PKS4_S6_PKS3_PKT1_21rocsparse_index_base_S6_S6_S8_PS9_SD_SC_S6_S6_S8_SD_SD_SC_SD_SD_,comdat
	.globl	_ZN9rocsparseL14kernel_freerunILi1024ELi16E21rocsparse_complex_numIdEiiEEvT3_S3_T2_PKS4_S6_PKS3_PKT1_21rocsparse_index_base_S6_S6_S8_PS9_SD_SC_S6_S6_S8_SD_SD_SC_SD_SD_ ; -- Begin function _ZN9rocsparseL14kernel_freerunILi1024ELi16E21rocsparse_complex_numIdEiiEEvT3_S3_T2_PKS4_S6_PKS3_PKT1_21rocsparse_index_base_S6_S6_S8_PS9_SD_SC_S6_S6_S8_SD_SD_SC_SD_SD_
	.p2align	8
	.type	_ZN9rocsparseL14kernel_freerunILi1024ELi16E21rocsparse_complex_numIdEiiEEvT3_S3_T2_PKS4_S6_PKS3_PKT1_21rocsparse_index_base_S6_S6_S8_PS9_SD_SC_S6_S6_S8_SD_SD_SC_SD_SD_,@function
_ZN9rocsparseL14kernel_freerunILi1024ELi16E21rocsparse_complex_numIdEiiEEvT3_S3_T2_PKS4_S6_PKS3_PKT1_21rocsparse_index_base_S6_S6_S8_PS9_SD_SC_S6_S6_S8_SD_SD_SC_SD_SD_: ; @_ZN9rocsparseL14kernel_freerunILi1024ELi16E21rocsparse_complex_numIdEiiEEvT3_S3_T2_PKS4_S6_PKS3_PKT1_21rocsparse_index_base_S6_S6_S8_PS9_SD_SC_S6_S6_S8_SD_SD_SC_SD_SD_
; %bb.0:
	s_load_dwordx2 s[34:35], s[4:5], 0x0
	v_lshrrev_b32_e32 v1, 4, v0
	s_lshl_b32 s0, s6, 10
	s_mov_b32 s33, 0
	v_or_b32_e32 v24, s0, v1
	s_waitcnt lgkmcnt(0)
	v_cmp_gt_i32_e32 vcc_lo, s35, v24
	s_cmp_gt_i32 s34, 0
	s_cselect_b32 s1, -1, 0
	s_and_b32 s1, vcc_lo, s1
	s_and_saveexec_b32 s2, s1
	s_cbranch_execz .LBB46_72
; %bb.1:
	s_clause 0x8
	s_load_dword s42, s[4:5], 0x30
	s_load_dword s43, s[4:5], 0x60
	;; [unrolled: 1-line block ×3, first 2 shown]
	s_load_dwordx2 s[6:7], s[4:5], 0x88
	s_load_dwordx2 s[40:41], s[4:5], 0x58
	s_load_dwordx4 s[36:39], s[4:5], 0x98
	s_load_dwordx8 s[8:15], s[4:5], 0x68
	s_load_dwordx8 s[16:23], s[4:5], 0x38
	;; [unrolled: 1-line block ×3, first 2 shown]
	v_and_b32_e32 v0, 15, v0
	s_add_i32 s4, s0, 0x400
	v_mov_b32_e32 v5, 0
	v_cmp_gt_u32_e64 s0, s4, v24
	v_cmp_eq_u32_e64 s1, 0, v0
	s_waitcnt lgkmcnt(0)
	v_subrev_nc_u32_e32 v25, s42, v0
	v_subrev_nc_u32_e32 v26, s43, v0
	;; [unrolled: 1-line block ×3, first 2 shown]
	s_branch .LBB46_3
.LBB46_2:                               ;   in Loop: Header=BB46_3 Depth=1
	s_or_b32 exec_lo, exec_lo, s3
	s_add_i32 s33, s33, 1
	s_cmp_eq_u32 s33, s34
	s_cbranch_scc1 .LBB46_72
.LBB46_3:                               ; =>This Loop Header: Depth=1
                                        ;     Child Loop BB46_5 Depth 2
                                        ;       Child Loop BB46_9 Depth 3
                                        ;         Child Loop BB46_13 Depth 4
                                        ;         Child Loop BB46_43 Depth 4
	;; [unrolled: 1-line block ×3, first 2 shown]
                                        ;     Child Loop BB46_63 Depth 2
                                        ;       Child Loop BB46_66 Depth 3
                                        ;       Child Loop BB46_69 Depth 3
	s_mov_b32 s5, 0
	s_branch .LBB46_5
.LBB46_4:                               ;   in Loop: Header=BB46_5 Depth=2
	s_or_b32 exec_lo, exec_lo, s45
	s_add_i32 s5, s5, 1
	s_cmp_eq_u32 s5, 16
	s_cbranch_scc1 .LBB46_60
.LBB46_5:                               ;   Parent Loop BB46_3 Depth=1
                                        ; =>  This Loop Header: Depth=2
                                        ;       Child Loop BB46_9 Depth 3
                                        ;         Child Loop BB46_13 Depth 4
                                        ;         Child Loop BB46_43 Depth 4
	;; [unrolled: 1-line block ×3, first 2 shown]
	v_lshl_add_u32 v6, s5, 6, v24
	s_mov_b32 s45, exec_lo
	v_cmpx_gt_i32_e64 s35, v6
	s_cbranch_execz .LBB46_4
; %bb.6:                                ;   in Loop: Header=BB46_5 Depth=2
	v_ashrrev_i32_e32 v7, 31, v6
	v_lshlrev_b64 v[0:1], 2, v[6:7]
	v_add_co_u32 v2, vcc_lo, s24, v0
	v_add_co_ci_u32_e64 v3, null, s25, v1, vcc_lo
	v_add_co_u32 v7, vcc_lo, s26, v0
	v_add_co_ci_u32_e64 v8, null, s27, v1, vcc_lo
	global_load_dword v2, v[2:3], off
	global_load_dword v3, v[7:8], off
	s_waitcnt vmcnt(1)
	v_add_nc_u32_e32 v7, v25, v2
	s_waitcnt vmcnt(0)
	v_subrev_nc_u32_e32 v28, s42, v3
	v_cmp_lt_i32_e32 vcc_lo, v7, v28
	s_and_b32 exec_lo, exec_lo, vcc_lo
	s_cbranch_execz .LBB46_4
; %bb.7:                                ;   in Loop: Header=BB46_5 Depth=2
	v_add_co_u32 v2, vcc_lo, s16, v0
	v_add_co_ci_u32_e64 v3, null, s17, v1, vcc_lo
	v_add_co_u32 v0, vcc_lo, s18, v0
	v_add_co_ci_u32_e64 v1, null, s19, v1, vcc_lo
	global_load_dword v2, v[2:3], off
	s_mov_b32 s46, 0
	global_load_dword v3, v[0:1], off
	s_waitcnt vmcnt(1)
	v_subrev_nc_u32_e32 v9, s43, v2
	s_waitcnt vmcnt(0)
	v_sub_nc_u32_e32 v29, v3, v2
	v_ashrrev_i32_e32 v10, 31, v9
	v_cmp_lt_i32_e64 s2, 0, v29
	v_lshlrev_b64 v[0:1], 2, v[9:10]
	v_lshlrev_b64 v[2:3], 4, v[9:10]
	v_add_co_u32 v30, vcc_lo, s20, v0
	v_add_co_ci_u32_e64 v31, null, s21, v1, vcc_lo
	v_add_co_u32 v32, vcc_lo, s22, v2
	v_add_co_ci_u32_e64 v33, null, s23, v3, vcc_lo
	s_branch .LBB46_9
.LBB46_8:                               ;   in Loop: Header=BB46_9 Depth=3
	s_or_b32 exec_lo, exec_lo, s47
	v_add_nc_u32_e32 v7, 16, v7
	v_cmp_ge_i32_e32 vcc_lo, v7, v28
	s_or_b32 s46, vcc_lo, s46
	s_andn2_b32 exec_lo, exec_lo, s46
	s_cbranch_execz .LBB46_4
.LBB46_9:                               ;   Parent Loop BB46_3 Depth=1
                                        ;     Parent Loop BB46_5 Depth=2
                                        ; =>    This Loop Header: Depth=3
                                        ;         Child Loop BB46_13 Depth 4
                                        ;         Child Loop BB46_43 Depth 4
	;; [unrolled: 1-line block ×3, first 2 shown]
	v_ashrrev_i32_e32 v8, 31, v7
	v_mov_b32_e32 v4, 0
	v_lshlrev_b64 v[0:1], 2, v[7:8]
	v_mov_b32_e32 v15, v4
	v_add_co_u32 v0, vcc_lo, s28, v0
	v_add_co_ci_u32_e64 v1, null, s29, v1, vcc_lo
	global_load_dword v0, v[0:1], off
	s_waitcnt vmcnt(0)
	v_subrev_nc_u32_e32 v10, s42, v0
	v_ashrrev_i32_e32 v11, 31, v10
	v_lshlrev_b64 v[0:1], 2, v[10:11]
	v_add_co_u32 v2, vcc_lo, s8, v0
	v_add_co_ci_u32_e64 v3, null, s9, v1, vcc_lo
	v_add_co_u32 v0, vcc_lo, s10, v0
	v_add_co_ci_u32_e64 v1, null, s11, v1, vcc_lo
	global_load_dword v12, v[2:3], off
	global_load_dword v13, v[0:1], off
	v_mov_b32_e32 v0, 0
	v_mov_b32_e32 v2, 0
	;; [unrolled: 1-line block ×4, first 2 shown]
	s_waitcnt vmcnt(1)
	v_subrev_nc_u32_e32 v14, s44, v12
	s_waitcnt vmcnt(0)
	v_sub_nc_u32_e32 v34, v13, v12
	s_and_saveexec_b32 s47, s2
	s_cbranch_execz .LBB46_17
; %bb.10:                               ;   in Loop: Header=BB46_9 Depth=3
	v_ashrrev_i32_e32 v15, 31, v14
	v_mov_b32_e32 v0, 0
	v_mov_b32_e32 v1, 0
	;; [unrolled: 1-line block ×3, first 2 shown]
	s_mov_b32 s48, 0
	v_lshlrev_b64 v[2:3], 2, v[14:15]
	v_lshlrev_b64 v[15:16], 4, v[14:15]
                                        ; implicit-def: $sgpr49
	v_add_co_u32 v12, vcc_lo, s12, v2
	v_add_co_ci_u32_e64 v13, null, s13, v3, vcc_lo
	v_add_co_u32 v17, vcc_lo, s14, v15
	v_mov_b32_e32 v2, 0
	v_add_co_ci_u32_e64 v18, null, s15, v16, vcc_lo
	v_mov_b32_e32 v15, 0
	v_mov_b32_e32 v3, 0
	s_branch .LBB46_13
.LBB46_11:                              ;   in Loop: Header=BB46_13 Depth=4
	s_or_b32 exec_lo, exec_lo, s3
	v_cmp_le_i32_e32 vcc_lo, v19, v20
	v_cmp_ge_i32_e64 s3, v19, v20
	v_add_co_ci_u32_e64 v4, null, 0, v4, vcc_lo
	v_add_co_ci_u32_e64 v15, null, 0, v15, s3
	s_andn2_b32 s3, s49, exec_lo
	v_cmp_ge_i32_e32 vcc_lo, v4, v29
	s_and_b32 s49, vcc_lo, exec_lo
	s_or_b32 s49, s3, s49
.LBB46_12:                              ;   in Loop: Header=BB46_13 Depth=4
	s_or_b32 exec_lo, exec_lo, s50
	s_and_b32 s3, exec_lo, s49
	s_or_b32 s48, s3, s48
	s_andn2_b32 exec_lo, exec_lo, s48
	s_cbranch_execz .LBB46_16
.LBB46_13:                              ;   Parent Loop BB46_3 Depth=1
                                        ;     Parent Loop BB46_5 Depth=2
                                        ;       Parent Loop BB46_9 Depth=3
                                        ; =>      This Inner Loop Header: Depth=4
	s_or_b32 s49, s49, exec_lo
	s_mov_b32 s50, exec_lo
	v_cmpx_lt_i32_e64 v15, v34
	s_cbranch_execz .LBB46_12
; %bb.14:                               ;   in Loop: Header=BB46_13 Depth=4
	v_mov_b32_e32 v16, v5
	v_lshlrev_b64 v[19:20], 2, v[4:5]
	s_mov_b32 s3, exec_lo
	v_lshlrev_b64 v[21:22], 2, v[15:16]
	v_add_co_u32 v19, vcc_lo, v30, v19
	v_add_co_ci_u32_e64 v20, null, v31, v20, vcc_lo
	v_add_co_u32 v21, vcc_lo, v12, v21
	v_add_co_ci_u32_e64 v22, null, v13, v22, vcc_lo
	global_load_dword v19, v[19:20], off
	global_load_dword v20, v[21:22], off
	s_waitcnt vmcnt(1)
	v_subrev_nc_u32_e32 v19, s43, v19
	s_waitcnt vmcnt(0)
	v_subrev_nc_u32_e32 v20, s44, v20
	v_cmpx_eq_u32_e64 v19, v20
	s_cbranch_execz .LBB46_11
; %bb.15:                               ;   in Loop: Header=BB46_13 Depth=4
	v_lshlrev_b64 v[21:22], 4, v[4:5]
	v_lshlrev_b64 v[35:36], 4, v[15:16]
	v_add_co_u32 v21, vcc_lo, v32, v21
	v_add_co_ci_u32_e64 v22, null, v33, v22, vcc_lo
	v_add_co_u32 v39, vcc_lo, v17, v35
	v_add_co_ci_u32_e64 v40, null, v18, v36, vcc_lo
	global_load_dwordx4 v[35:38], v[21:22], off
	global_load_dwordx4 v[39:42], v[39:40], off
	s_waitcnt vmcnt(0)
	v_fma_f64 v[0:1], v[35:36], v[39:40], v[0:1]
	v_fma_f64 v[2:3], v[37:38], v[39:40], v[2:3]
	v_fma_f64 v[0:1], -v[37:38], v[41:42], v[0:1]
	v_fma_f64 v[2:3], v[35:36], v[41:42], v[2:3]
	s_branch .LBB46_11
.LBB46_16:                              ;   in Loop: Header=BB46_9 Depth=3
	s_or_b32 exec_lo, exec_lo, s48
.LBB46_17:                              ;   in Loop: Header=BB46_9 Depth=3
	s_or_b32 exec_lo, exec_lo, s47
	v_lshlrev_b64 v[12:13], 4, v[7:8]
	v_cmp_le_i32_e64 s3, v6, v10
	s_mov_b32 s47, exec_lo
	v_add_co_u32 v12, vcc_lo, s30, v12
	v_add_co_ci_u32_e64 v13, null, s31, v13, vcc_lo
	global_load_dwordx4 v[16:19], v[12:13], off
	s_waitcnt vmcnt(0)
	v_add_f64 v[16:17], v[16:17], -v[0:1]
	v_add_f64 v[12:13], v[18:19], -v[2:3]
	v_cmpx_gt_i32_e64 v6, v10
	s_cbranch_execz .LBB46_27
; %bb.18:                               ;   in Loop: Header=BB46_9 Depth=3
	v_lshlrev_b64 v[0:1], 4, v[10:11]
	s_mov_b32 s48, exec_lo
                                        ; implicit-def: $vgpr22_vgpr23
	v_add_co_u32 v0, vcc_lo, s36, v0
	v_add_co_ci_u32_e64 v1, null, s37, v1, vcc_lo
	global_load_dwordx4 v[0:3], v[0:1], off
	s_waitcnt vmcnt(0)
	v_cmp_gt_f64_e32 vcc_lo, 0, v[0:1]
	v_xor_b32_e32 v8, 0x80000000, v1
	v_xor_b32_e32 v20, 0x80000000, v3
	v_mov_b32_e32 v18, v0
	v_cndmask_b32_e32 v19, v1, v8, vcc_lo
	v_cmp_gt_f64_e32 vcc_lo, 0, v[2:3]
	v_cndmask_b32_e32 v21, v3, v20, vcc_lo
	v_mov_b32_e32 v20, v2
	v_cmpx_ngt_f64_e32 v[18:19], v[20:21]
	s_xor_b32 s48, exec_lo, s48
	s_cbranch_execz .LBB46_22
; %bb.19:                               ;   in Loop: Header=BB46_9 Depth=3
	v_mov_b32_e32 v22, 0
	v_mov_b32_e32 v23, 0
	s_mov_b32 s49, exec_lo
	v_cmpx_neq_f64_e32 0, v[2:3]
	s_cbranch_execz .LBB46_21
; %bb.20:                               ;   in Loop: Header=BB46_9 Depth=3
	v_div_scale_f64 v[22:23], null, v[20:21], v[20:21], v[18:19]
	v_div_scale_f64 v[39:40], vcc_lo, v[18:19], v[20:21], v[18:19]
	v_rcp_f64_e32 v[35:36], v[22:23]
	v_fma_f64 v[37:38], -v[22:23], v[35:36], 1.0
	v_fma_f64 v[35:36], v[35:36], v[37:38], v[35:36]
	v_fma_f64 v[37:38], -v[22:23], v[35:36], 1.0
	v_fma_f64 v[35:36], v[35:36], v[37:38], v[35:36]
	v_mul_f64 v[37:38], v[39:40], v[35:36]
	v_fma_f64 v[22:23], -v[22:23], v[37:38], v[39:40]
	v_div_fmas_f64 v[22:23], v[22:23], v[35:36], v[37:38]
	v_div_fixup_f64 v[18:19], v[22:23], v[20:21], v[18:19]
	v_fma_f64 v[18:19], v[18:19], v[18:19], 1.0
	v_cmp_gt_f64_e32 vcc_lo, 0x10000000, v[18:19]
	v_cndmask_b32_e64 v8, 0, 0x100, vcc_lo
	v_ldexp_f64 v[18:19], v[18:19], v8
	v_cndmask_b32_e64 v8, 0, 0xffffff80, vcc_lo
	v_rsq_f64_e32 v[22:23], v[18:19]
	v_cmp_class_f64_e64 vcc_lo, v[18:19], 0x260
	v_mul_f64 v[35:36], v[18:19], v[22:23]
	v_mul_f64 v[22:23], v[22:23], 0.5
	v_fma_f64 v[37:38], -v[22:23], v[35:36], 0.5
	v_fma_f64 v[35:36], v[35:36], v[37:38], v[35:36]
	v_fma_f64 v[22:23], v[22:23], v[37:38], v[22:23]
	v_fma_f64 v[37:38], -v[35:36], v[35:36], v[18:19]
	v_fma_f64 v[35:36], v[37:38], v[22:23], v[35:36]
	v_fma_f64 v[37:38], -v[35:36], v[35:36], v[18:19]
	v_fma_f64 v[22:23], v[37:38], v[22:23], v[35:36]
	v_ldexp_f64 v[22:23], v[22:23], v8
	v_cndmask_b32_e32 v19, v23, v19, vcc_lo
	v_cndmask_b32_e32 v18, v22, v18, vcc_lo
	v_mul_f64 v[22:23], v[20:21], v[18:19]
.LBB46_21:                              ;   in Loop: Header=BB46_9 Depth=3
	s_or_b32 exec_lo, exec_lo, s49
                                        ; implicit-def: $vgpr18_vgpr19
                                        ; implicit-def: $vgpr20_vgpr21
.LBB46_22:                              ;   in Loop: Header=BB46_9 Depth=3
	s_andn2_saveexec_b32 s48, s48
	s_cbranch_execz .LBB46_24
; %bb.23:                               ;   in Loop: Header=BB46_9 Depth=3
	v_div_scale_f64 v[22:23], null, v[18:19], v[18:19], v[20:21]
	v_div_scale_f64 v[39:40], vcc_lo, v[20:21], v[18:19], v[20:21]
	v_rcp_f64_e32 v[35:36], v[22:23]
	v_fma_f64 v[37:38], -v[22:23], v[35:36], 1.0
	v_fma_f64 v[35:36], v[35:36], v[37:38], v[35:36]
	v_fma_f64 v[37:38], -v[22:23], v[35:36], 1.0
	v_fma_f64 v[35:36], v[35:36], v[37:38], v[35:36]
	v_mul_f64 v[37:38], v[39:40], v[35:36]
	v_fma_f64 v[22:23], -v[22:23], v[37:38], v[39:40]
	v_div_fmas_f64 v[22:23], v[22:23], v[35:36], v[37:38]
	v_div_fixup_f64 v[20:21], v[22:23], v[18:19], v[20:21]
	v_fma_f64 v[20:21], v[20:21], v[20:21], 1.0
	v_cmp_gt_f64_e32 vcc_lo, 0x10000000, v[20:21]
	v_cndmask_b32_e64 v8, 0, 0x100, vcc_lo
	v_ldexp_f64 v[20:21], v[20:21], v8
	v_cndmask_b32_e64 v8, 0, 0xffffff80, vcc_lo
	v_rsq_f64_e32 v[22:23], v[20:21]
	v_cmp_class_f64_e64 vcc_lo, v[20:21], 0x260
	v_mul_f64 v[35:36], v[20:21], v[22:23]
	v_mul_f64 v[22:23], v[22:23], 0.5
	v_fma_f64 v[37:38], -v[22:23], v[35:36], 0.5
	v_fma_f64 v[35:36], v[35:36], v[37:38], v[35:36]
	v_fma_f64 v[22:23], v[22:23], v[37:38], v[22:23]
	v_fma_f64 v[37:38], -v[35:36], v[35:36], v[20:21]
	v_fma_f64 v[35:36], v[37:38], v[22:23], v[35:36]
	v_fma_f64 v[37:38], -v[35:36], v[35:36], v[20:21]
	v_fma_f64 v[22:23], v[37:38], v[22:23], v[35:36]
	v_ldexp_f64 v[22:23], v[22:23], v8
	v_cndmask_b32_e32 v21, v23, v21, vcc_lo
	v_cndmask_b32_e32 v20, v22, v20, vcc_lo
	v_mul_f64 v[22:23], v[18:19], v[20:21]
.LBB46_24:                              ;   in Loop: Header=BB46_9 Depth=3
	s_or_b32 exec_lo, exec_lo, s48
	v_mov_b32_e32 v18, 0
	v_mov_b32_e32 v20, 0
	;; [unrolled: 1-line block ×4, first 2 shown]
	s_mov_b32 s48, exec_lo
	v_cmpx_lt_f64_e32 0, v[22:23]
	s_cbranch_execz .LBB46_26
; %bb.25:                               ;   in Loop: Header=BB46_9 Depth=3
	v_mul_f64 v[18:19], v[2:3], v[2:3]
	v_fma_f64 v[18:19], v[0:1], v[0:1], v[18:19]
	v_div_scale_f64 v[20:21], null, v[18:19], v[18:19], 1.0
	v_div_scale_f64 v[37:38], vcc_lo, 1.0, v[18:19], 1.0
	v_rcp_f64_e32 v[22:23], v[20:21]
	v_fma_f64 v[35:36], -v[20:21], v[22:23], 1.0
	v_fma_f64 v[22:23], v[22:23], v[35:36], v[22:23]
	v_fma_f64 v[35:36], -v[20:21], v[22:23], 1.0
	v_fma_f64 v[22:23], v[22:23], v[35:36], v[22:23]
	v_mul_f64 v[35:36], v[37:38], v[22:23]
	v_fma_f64 v[20:21], -v[20:21], v[35:36], v[37:38]
	v_mul_f64 v[37:38], v[12:13], v[2:3]
	v_mul_f64 v[2:3], v[2:3], -v[16:17]
	v_div_fmas_f64 v[20:21], v[20:21], v[22:23], v[35:36]
	v_fma_f64 v[16:17], v[16:17], v[0:1], v[37:38]
	v_fma_f64 v[0:1], v[12:13], v[0:1], v[2:3]
	v_div_fixup_f64 v[20:21], v[20:21], v[18:19], 1.0
	v_mul_f64 v[18:19], v[16:17], v[20:21]
	v_mul_f64 v[20:21], v[0:1], v[20:21]
.LBB46_26:                              ;   in Loop: Header=BB46_9 Depth=3
	s_or_b32 exec_lo, exec_lo, s48
	v_mov_b32_e32 v16, v18
	v_mov_b32_e32 v12, v20
	;; [unrolled: 1-line block ×4, first 2 shown]
.LBB46_27:                              ;   in Loop: Header=BB46_9 Depth=3
	s_or_b32 exec_lo, exec_lo, s47
	v_cmp_gt_f64_e32 vcc_lo, 0, v[16:17]
	v_xor_b32_e32 v1, 0x80000000, v17
	v_xor_b32_e32 v2, 0x80000000, v13
	v_mov_b32_e32 v0, v16
	s_mov_b32 s47, exec_lo
                                        ; implicit-def: $vgpr18_vgpr19
	v_cndmask_b32_e32 v1, v17, v1, vcc_lo
	v_cmp_gt_f64_e32 vcc_lo, 0, v[12:13]
	v_cndmask_b32_e32 v3, v13, v2, vcc_lo
	v_mov_b32_e32 v2, v12
	v_cmpx_ngt_f64_e32 v[0:1], v[2:3]
	s_xor_b32 s47, exec_lo, s47
	s_cbranch_execnz .LBB46_30
; %bb.28:                               ;   in Loop: Header=BB46_9 Depth=3
	s_andn2_saveexec_b32 s47, s47
	s_cbranch_execnz .LBB46_33
.LBB46_29:                              ;   in Loop: Header=BB46_9 Depth=3
	s_or_b32 exec_lo, exec_lo, s47
	v_cmp_class_f64_e64 s48, v[18:19], 0x1f8
	s_and_saveexec_b32 s47, s48
	s_cbranch_execz .LBB46_8
	s_branch .LBB46_34
.LBB46_30:                              ;   in Loop: Header=BB46_9 Depth=3
	v_mov_b32_e32 v18, 0
	v_mov_b32_e32 v19, 0
	s_mov_b32 s48, exec_lo
	v_cmpx_neq_f64_e32 0, v[12:13]
	s_cbranch_execz .LBB46_32
; %bb.31:                               ;   in Loop: Header=BB46_9 Depth=3
	v_div_scale_f64 v[18:19], null, v[2:3], v[2:3], v[0:1]
	v_div_scale_f64 v[35:36], vcc_lo, v[0:1], v[2:3], v[0:1]
	v_rcp_f64_e32 v[20:21], v[18:19]
	v_fma_f64 v[22:23], -v[18:19], v[20:21], 1.0
	v_fma_f64 v[20:21], v[20:21], v[22:23], v[20:21]
	v_fma_f64 v[22:23], -v[18:19], v[20:21], 1.0
	v_fma_f64 v[20:21], v[20:21], v[22:23], v[20:21]
	v_mul_f64 v[22:23], v[35:36], v[20:21]
	v_fma_f64 v[18:19], -v[18:19], v[22:23], v[35:36]
	v_div_fmas_f64 v[18:19], v[18:19], v[20:21], v[22:23]
	v_div_fixup_f64 v[0:1], v[18:19], v[2:3], v[0:1]
	v_fma_f64 v[0:1], v[0:1], v[0:1], 1.0
	v_cmp_gt_f64_e32 vcc_lo, 0x10000000, v[0:1]
	v_cndmask_b32_e64 v8, 0, 0x100, vcc_lo
	v_ldexp_f64 v[0:1], v[0:1], v8
	v_cndmask_b32_e64 v8, 0, 0xffffff80, vcc_lo
	v_rsq_f64_e32 v[18:19], v[0:1]
	v_cmp_class_f64_e64 vcc_lo, v[0:1], 0x260
	v_mul_f64 v[20:21], v[0:1], v[18:19]
	v_mul_f64 v[18:19], v[18:19], 0.5
	v_fma_f64 v[22:23], -v[18:19], v[20:21], 0.5
	v_fma_f64 v[20:21], v[20:21], v[22:23], v[20:21]
	v_fma_f64 v[18:19], v[18:19], v[22:23], v[18:19]
	v_fma_f64 v[22:23], -v[20:21], v[20:21], v[0:1]
	v_fma_f64 v[20:21], v[22:23], v[18:19], v[20:21]
	v_fma_f64 v[22:23], -v[20:21], v[20:21], v[0:1]
	v_fma_f64 v[18:19], v[22:23], v[18:19], v[20:21]
	v_ldexp_f64 v[18:19], v[18:19], v8
	v_cndmask_b32_e32 v1, v19, v1, vcc_lo
	v_cndmask_b32_e32 v0, v18, v0, vcc_lo
	v_mul_f64 v[18:19], v[2:3], v[0:1]
.LBB46_32:                              ;   in Loop: Header=BB46_9 Depth=3
	s_or_b32 exec_lo, exec_lo, s48
                                        ; implicit-def: $vgpr0_vgpr1
                                        ; implicit-def: $vgpr2_vgpr3
	s_andn2_saveexec_b32 s47, s47
	s_cbranch_execz .LBB46_29
.LBB46_33:                              ;   in Loop: Header=BB46_9 Depth=3
	v_div_scale_f64 v[18:19], null, v[0:1], v[0:1], v[2:3]
	v_div_scale_f64 v[35:36], vcc_lo, v[2:3], v[0:1], v[2:3]
	v_rcp_f64_e32 v[20:21], v[18:19]
	v_fma_f64 v[22:23], -v[18:19], v[20:21], 1.0
	v_fma_f64 v[20:21], v[20:21], v[22:23], v[20:21]
	v_fma_f64 v[22:23], -v[18:19], v[20:21], 1.0
	v_fma_f64 v[20:21], v[20:21], v[22:23], v[20:21]
	v_mul_f64 v[22:23], v[35:36], v[20:21]
	v_fma_f64 v[18:19], -v[18:19], v[22:23], v[35:36]
	v_div_fmas_f64 v[18:19], v[18:19], v[20:21], v[22:23]
	v_div_fixup_f64 v[2:3], v[18:19], v[0:1], v[2:3]
	v_fma_f64 v[2:3], v[2:3], v[2:3], 1.0
	v_cmp_gt_f64_e32 vcc_lo, 0x10000000, v[2:3]
	v_cndmask_b32_e64 v8, 0, 0x100, vcc_lo
	v_ldexp_f64 v[2:3], v[2:3], v8
	v_cndmask_b32_e64 v8, 0, 0xffffff80, vcc_lo
	v_rsq_f64_e32 v[18:19], v[2:3]
	v_cmp_class_f64_e64 vcc_lo, v[2:3], 0x260
	v_mul_f64 v[20:21], v[2:3], v[18:19]
	v_mul_f64 v[18:19], v[18:19], 0.5
	v_fma_f64 v[22:23], -v[18:19], v[20:21], 0.5
	v_fma_f64 v[20:21], v[20:21], v[22:23], v[20:21]
	v_fma_f64 v[18:19], v[18:19], v[22:23], v[18:19]
	v_fma_f64 v[22:23], -v[20:21], v[20:21], v[2:3]
	v_fma_f64 v[20:21], v[22:23], v[18:19], v[20:21]
	v_fma_f64 v[22:23], -v[20:21], v[20:21], v[2:3]
	v_fma_f64 v[18:19], v[22:23], v[18:19], v[20:21]
	v_ldexp_f64 v[18:19], v[18:19], v8
	v_cndmask_b32_e32 v3, v19, v3, vcc_lo
	v_cndmask_b32_e32 v2, v18, v2, vcc_lo
	v_mul_f64 v[18:19], v[0:1], v[2:3]
	s_or_b32 exec_lo, exec_lo, s47
	v_cmp_class_f64_e64 s48, v[18:19], 0x1f8
	s_and_saveexec_b32 s47, s48
	s_cbranch_execz .LBB46_8
.LBB46_34:                              ;   in Loop: Header=BB46_9 Depth=3
	s_mov_b32 s48, 0
                                        ; implicit-def: $vgpr0_vgpr1
	s_and_saveexec_b32 s49, s3
	s_xor_b32 s3, exec_lo, s49
	s_cbranch_execnz .LBB46_37
; %bb.35:                               ;   in Loop: Header=BB46_9 Depth=3
	s_andn2_saveexec_b32 s3, s3
	s_cbranch_execnz .LBB46_50
.LBB46_36:                              ;   in Loop: Header=BB46_9 Depth=3
	s_or_b32 exec_lo, exec_lo, s3
	s_and_b32 exec_lo, exec_lo, s48
	s_cbranch_execz .LBB46_8
	s_branch .LBB46_59
.LBB46_37:                              ;   in Loop: Header=BB46_9 Depth=3
	s_mov_b32 s49, exec_lo
                                        ; implicit-def: $vgpr0_vgpr1
	v_cmpx_ge_i32_e64 v6, v10
	s_xor_b32 s49, exec_lo, s49
	s_cbranch_execz .LBB46_39
; %bb.38:                               ;   in Loop: Header=BB46_9 Depth=3
	v_lshlrev_b64 v[0:1], 4, v[10:11]
	s_mov_b32 s48, exec_lo
                                        ; implicit-def: $vgpr15
                                        ; implicit-def: $vgpr34
                                        ; implicit-def: $vgpr14
	v_add_co_u32 v0, vcc_lo, s38, v0
	v_add_co_ci_u32_e64 v1, null, s39, v1, vcc_lo
	global_store_dwordx2 v[0:1], v[16:17], off
                                        ; implicit-def: $vgpr16_vgpr17
.LBB46_39:                              ;   in Loop: Header=BB46_9 Depth=3
	s_andn2_saveexec_b32 s49, s49
	s_cbranch_execz .LBB46_49
; %bb.40:                               ;   in Loop: Header=BB46_9 Depth=3
	s_mov_b32 s51, s48
	s_mov_b32 s50, exec_lo
                                        ; implicit-def: $vgpr0_vgpr1
	v_cmpx_lt_i32_e64 v15, v34
	s_cbranch_execz .LBB46_48
; %bb.41:                               ;   in Loop: Header=BB46_9 Depth=3
	s_mov_b32 s52, 0
                                        ; implicit-def: $sgpr51
                                        ; implicit-def: $sgpr54
                                        ; implicit-def: $sgpr53
	s_inst_prefetch 0x1
	s_branch .LBB46_43
	.p2align	6
.LBB46_42:                              ;   in Loop: Header=BB46_43 Depth=4
	s_or_b32 exec_lo, exec_lo, s55
	s_and_b32 s55, exec_lo, s54
	s_or_b32 s52, s55, s52
	s_andn2_b32 s51, s51, exec_lo
	s_and_b32 s55, s53, exec_lo
	s_or_b32 s51, s51, s55
	s_andn2_b32 exec_lo, exec_lo, s52
	s_cbranch_execz .LBB46_45
.LBB46_43:                              ;   Parent Loop BB46_3 Depth=1
                                        ;     Parent Loop BB46_5 Depth=2
                                        ;       Parent Loop BB46_9 Depth=3
                                        ; =>      This Inner Loop Header: Depth=4
	v_add_nc_u32_e32 v2, v14, v15
	s_or_b32 s53, s53, exec_lo
	s_or_b32 s54, s54, exec_lo
	s_mov_b32 s55, exec_lo
	v_ashrrev_i32_e32 v3, 31, v2
	v_lshlrev_b64 v[0:1], 2, v[2:3]
	v_add_co_u32 v0, vcc_lo, s12, v0
	v_add_co_ci_u32_e64 v1, null, s13, v1, vcc_lo
	global_load_dword v0, v[0:1], off
	s_waitcnt vmcnt(0)
	v_subrev_nc_u32_e32 v0, s44, v0
	v_cmpx_ne_u32_e64 v0, v6
	s_cbranch_execz .LBB46_42
; %bb.44:                               ;   in Loop: Header=BB46_43 Depth=4
	v_add_nc_u32_e32 v15, 1, v15
	s_andn2_b32 s54, s54, exec_lo
	s_andn2_b32 s53, s53, exec_lo
	v_cmp_ge_i32_e32 vcc_lo, v15, v34
	s_and_b32 s56, vcc_lo, exec_lo
	s_or_b32 s54, s54, s56
	s_branch .LBB46_42
.LBB46_45:                              ;   in Loop: Header=BB46_9 Depth=3
	s_inst_prefetch 0x2
	s_or_b32 exec_lo, exec_lo, s52
	s_mov_b32 s52, s48
                                        ; implicit-def: $vgpr0_vgpr1
	s_and_saveexec_b32 s53, s51
	s_xor_b32 s51, exec_lo, s53
	s_cbranch_execz .LBB46_47
; %bb.46:                               ;   in Loop: Header=BB46_9 Depth=3
	v_lshlrev_b64 v[0:1], 4, v[2:3]
	s_or_b32 s52, s48, exec_lo
	v_add_co_u32 v0, vcc_lo, s6, v0
	v_add_co_ci_u32_e64 v1, null, s7, v1, vcc_lo
	global_store_dwordx2 v[0:1], v[16:17], off
.LBB46_47:                              ;   in Loop: Header=BB46_9 Depth=3
	s_or_b32 exec_lo, exec_lo, s51
	s_andn2_b32 s51, s48, exec_lo
	s_and_b32 s52, s52, exec_lo
	s_or_b32 s51, s51, s52
.LBB46_48:                              ;   in Loop: Header=BB46_9 Depth=3
	s_or_b32 exec_lo, exec_lo, s50
	s_andn2_b32 s48, s48, exec_lo
	s_and_b32 s50, s51, exec_lo
	s_or_b32 s48, s48, s50
.LBB46_49:                              ;   in Loop: Header=BB46_9 Depth=3
	s_or_b32 exec_lo, exec_lo, s49
	s_and_b32 s48, s48, exec_lo
                                        ; implicit-def: $vgpr16_vgpr17
                                        ; implicit-def: $vgpr10_vgpr11
	s_andn2_saveexec_b32 s3, s3
	s_cbranch_execz .LBB46_36
.LBB46_50:                              ;   in Loop: Header=BB46_9 Depth=3
	s_mov_b32 s50, s48
	s_mov_b32 s49, exec_lo
                                        ; implicit-def: $vgpr0_vgpr1
	v_cmpx_lt_i32_e64 v4, v29
	s_cbranch_execz .LBB46_58
; %bb.51:                               ;   in Loop: Header=BB46_9 Depth=3
	s_mov_b32 s51, 0
                                        ; implicit-def: $sgpr50
                                        ; implicit-def: $sgpr53
                                        ; implicit-def: $sgpr52
	s_inst_prefetch 0x1
	s_branch .LBB46_53
	.p2align	6
.LBB46_52:                              ;   in Loop: Header=BB46_53 Depth=4
	s_or_b32 exec_lo, exec_lo, s54
	s_and_b32 s54, exec_lo, s53
	s_or_b32 s51, s54, s51
	s_andn2_b32 s50, s50, exec_lo
	s_and_b32 s54, s52, exec_lo
	s_or_b32 s50, s50, s54
	s_andn2_b32 exec_lo, exec_lo, s51
	s_cbranch_execz .LBB46_55
.LBB46_53:                              ;   Parent Loop BB46_3 Depth=1
                                        ;     Parent Loop BB46_5 Depth=2
                                        ;       Parent Loop BB46_9 Depth=3
                                        ; =>      This Inner Loop Header: Depth=4
	v_add_nc_u32_e32 v2, v9, v4
	s_or_b32 s52, s52, exec_lo
	s_or_b32 s53, s53, exec_lo
	s_mov_b32 s54, exec_lo
	v_ashrrev_i32_e32 v3, 31, v2
	v_lshlrev_b64 v[0:1], 2, v[2:3]
	v_add_co_u32 v0, vcc_lo, s20, v0
	v_add_co_ci_u32_e64 v1, null, s21, v1, vcc_lo
	global_load_dword v0, v[0:1], off
	s_waitcnt vmcnt(0)
	v_subrev_nc_u32_e32 v0, s43, v0
	v_cmpx_ne_u32_e64 v0, v10
	s_cbranch_execz .LBB46_52
; %bb.54:                               ;   in Loop: Header=BB46_53 Depth=4
	v_add_nc_u32_e32 v4, 1, v4
	s_andn2_b32 s53, s53, exec_lo
	s_andn2_b32 s52, s52, exec_lo
	v_cmp_ge_i32_e32 vcc_lo, v4, v29
	s_and_b32 s55, vcc_lo, exec_lo
	s_or_b32 s53, s53, s55
	s_branch .LBB46_52
.LBB46_55:                              ;   in Loop: Header=BB46_9 Depth=3
	s_inst_prefetch 0x2
	s_or_b32 exec_lo, exec_lo, s51
	s_mov_b32 s51, s48
                                        ; implicit-def: $vgpr0_vgpr1
	s_and_saveexec_b32 s52, s50
	s_xor_b32 s50, exec_lo, s52
	s_cbranch_execz .LBB46_57
; %bb.56:                               ;   in Loop: Header=BB46_9 Depth=3
	v_lshlrev_b64 v[0:1], 4, v[2:3]
	s_or_b32 s51, s48, exec_lo
	v_add_co_u32 v0, vcc_lo, s40, v0
	v_add_co_ci_u32_e64 v1, null, s41, v1, vcc_lo
	global_store_dwordx2 v[0:1], v[16:17], off
.LBB46_57:                              ;   in Loop: Header=BB46_9 Depth=3
	s_or_b32 exec_lo, exec_lo, s50
	s_andn2_b32 s50, s48, exec_lo
	s_and_b32 s51, s51, exec_lo
	s_or_b32 s50, s50, s51
.LBB46_58:                              ;   in Loop: Header=BB46_9 Depth=3
	s_or_b32 exec_lo, exec_lo, s49
	s_andn2_b32 s48, s48, exec_lo
	s_and_b32 s49, s50, exec_lo
	s_or_b32 s48, s48, s49
	s_or_b32 exec_lo, exec_lo, s3
	s_and_b32 exec_lo, exec_lo, s48
	s_cbranch_execz .LBB46_8
.LBB46_59:                              ;   in Loop: Header=BB46_9 Depth=3
	global_store_dwordx2 v[0:1], v[12:13], off offset:8
	s_branch .LBB46_8
.LBB46_60:                              ;   in Loop: Header=BB46_3 Depth=1
	s_and_saveexec_b32 s3, s0
	s_cbranch_execz .LBB46_2
; %bb.61:                               ;   in Loop: Header=BB46_3 Depth=1
	v_mov_b32_e32 v0, v24
	s_mov_b32 s5, 0
	s_branch .LBB46_63
.LBB46_62:                              ;   in Loop: Header=BB46_63 Depth=2
	s_or_b32 exec_lo, exec_lo, s45
	v_add_nc_u32_e32 v0, 64, v0
	v_cmp_le_u32_e32 vcc_lo, s4, v0
	s_or_b32 s5, vcc_lo, s5
	s_andn2_b32 exec_lo, exec_lo, s5
	s_cbranch_execz .LBB46_2
.LBB46_63:                              ;   Parent Loop BB46_3 Depth=1
                                        ; =>  This Loop Header: Depth=2
                                        ;       Child Loop BB46_66 Depth 3
                                        ;       Child Loop BB46_69 Depth 3
	s_mov_b32 s45, exec_lo
	v_cmpx_gt_i32_e64 s35, v0
	s_cbranch_execz .LBB46_62
; %bb.64:                               ;   in Loop: Header=BB46_63 Depth=2
	v_ashrrev_i32_e32 v1, 31, v0
	s_mov_b32 s46, exec_lo
	v_lshlrev_b64 v[2:3], 2, v[0:1]
	v_add_co_u32 v6, vcc_lo, s16, v2
	v_add_co_ci_u32_e64 v7, null, s17, v3, vcc_lo
	v_add_co_u32 v8, vcc_lo, s18, v2
	v_add_co_ci_u32_e64 v9, null, s19, v3, vcc_lo
	global_load_dword v4, v[6:7], off
	global_load_dword v7, v[8:9], off
	s_waitcnt vmcnt(1)
	v_add_nc_u32_e32 v6, v26, v4
	s_waitcnt vmcnt(0)
	v_subrev_nc_u32_e32 v4, s43, v7
	v_cmpx_lt_i32_e64 v6, v4
	s_cbranch_execz .LBB46_67
; %bb.65:                               ;   in Loop: Header=BB46_63 Depth=2
	v_ashrrev_i32_e32 v7, 31, v6
	s_mov_b32 s47, 0
	v_lshlrev_b64 v[9:10], 4, v[6:7]
	v_add_co_u32 v7, vcc_lo, s22, v9
	v_add_co_ci_u32_e64 v8, null, s23, v10, vcc_lo
	v_add_co_u32 v9, vcc_lo, s40, v9
	v_add_co_ci_u32_e64 v10, null, s41, v10, vcc_lo
	.p2align	6
.LBB46_66:                              ;   Parent Loop BB46_3 Depth=1
                                        ;     Parent Loop BB46_63 Depth=2
                                        ; =>    This Inner Loop Header: Depth=3
	global_load_dwordx4 v[11:14], v[9:10], off
	v_add_nc_u32_e32 v6, 16, v6
	v_add_co_u32 v9, vcc_lo, 0x100, v9
	v_add_co_ci_u32_e64 v10, null, 0, v10, vcc_lo
	v_cmp_ge_i32_e32 vcc_lo, v6, v4
	s_or_b32 s47, vcc_lo, s47
	s_waitcnt vmcnt(0)
	global_store_dwordx4 v[7:8], v[11:14], off
	v_add_co_u32 v7, s2, 0x100, v7
	v_add_co_ci_u32_e64 v8, null, 0, v8, s2
	s_andn2_b32 exec_lo, exec_lo, s47
	s_cbranch_execnz .LBB46_66
.LBB46_67:                              ;   in Loop: Header=BB46_63 Depth=2
	s_or_b32 exec_lo, exec_lo, s46
	v_add_co_u32 v6, vcc_lo, s8, v2
	v_add_co_ci_u32_e64 v7, null, s9, v3, vcc_lo
	v_add_co_u32 v2, vcc_lo, s10, v2
	v_add_co_ci_u32_e64 v3, null, s11, v3, vcc_lo
	global_load_dword v4, v[6:7], off
	global_load_dword v3, v[2:3], off
	s_mov_b32 s46, exec_lo
	s_waitcnt vmcnt(1)
	v_add_nc_u32_e32 v2, v27, v4
	s_waitcnt vmcnt(0)
	v_subrev_nc_u32_e32 v8, s44, v3
	v_cmpx_lt_i32_e64 v2, v8
	s_cbranch_execz .LBB46_70
; %bb.68:                               ;   in Loop: Header=BB46_63 Depth=2
	v_ashrrev_i32_e32 v3, 31, v2
	s_mov_b32 s47, 0
	v_lshlrev_b64 v[6:7], 4, v[2:3]
	v_add_co_u32 v3, vcc_lo, s14, v6
	v_add_co_ci_u32_e64 v4, null, s15, v7, vcc_lo
	v_add_co_u32 v6, vcc_lo, s6, v6
	v_add_co_ci_u32_e64 v7, null, s7, v7, vcc_lo
	.p2align	6
.LBB46_69:                              ;   Parent Loop BB46_3 Depth=1
                                        ;     Parent Loop BB46_63 Depth=2
                                        ; =>    This Inner Loop Header: Depth=3
	global_load_dwordx4 v[9:12], v[6:7], off
	v_add_nc_u32_e32 v2, 16, v2
	v_add_co_u32 v6, vcc_lo, 0x100, v6
	v_add_co_ci_u32_e64 v7, null, 0, v7, vcc_lo
	v_cmp_ge_i32_e32 vcc_lo, v2, v8
	s_or_b32 s47, vcc_lo, s47
	s_waitcnt vmcnt(0)
	global_store_dwordx4 v[3:4], v[9:12], off
	v_add_co_u32 v3, s2, 0x100, v3
	v_add_co_ci_u32_e64 v4, null, 0, v4, s2
	s_andn2_b32 exec_lo, exec_lo, s47
	s_cbranch_execnz .LBB46_69
.LBB46_70:                              ;   in Loop: Header=BB46_63 Depth=2
	s_or_b32 exec_lo, exec_lo, s46
	s_and_b32 exec_lo, exec_lo, s1
	s_cbranch_execz .LBB46_62
; %bb.71:                               ;   in Loop: Header=BB46_63 Depth=2
	v_lshlrev_b64 v[6:7], 4, v[0:1]
	v_add_co_u32 v1, vcc_lo, s38, v6
	v_add_co_ci_u32_e64 v2, null, s39, v7, vcc_lo
	v_add_co_u32 v6, vcc_lo, s36, v6
	v_add_co_ci_u32_e64 v7, null, s37, v7, vcc_lo
	global_load_dwordx4 v[1:4], v[1:2], off
	s_waitcnt vmcnt(0)
	global_store_dwordx4 v[6:7], v[1:4], off
	s_branch .LBB46_62
.LBB46_72:
	s_endpgm
	.section	.rodata,"a",@progbits
	.p2align	6, 0x0
	.amdhsa_kernel _ZN9rocsparseL14kernel_freerunILi1024ELi16E21rocsparse_complex_numIdEiiEEvT3_S3_T2_PKS4_S6_PKS3_PKT1_21rocsparse_index_base_S6_S6_S8_PS9_SD_SC_S6_S6_S8_SD_SD_SC_SD_SD_
		.amdhsa_group_segment_fixed_size 0
		.amdhsa_private_segment_fixed_size 0
		.amdhsa_kernarg_size 168
		.amdhsa_user_sgpr_count 6
		.amdhsa_user_sgpr_private_segment_buffer 1
		.amdhsa_user_sgpr_dispatch_ptr 0
		.amdhsa_user_sgpr_queue_ptr 0
		.amdhsa_user_sgpr_kernarg_segment_ptr 1
		.amdhsa_user_sgpr_dispatch_id 0
		.amdhsa_user_sgpr_flat_scratch_init 0
		.amdhsa_user_sgpr_private_segment_size 0
		.amdhsa_wavefront_size32 1
		.amdhsa_uses_dynamic_stack 0
		.amdhsa_system_sgpr_private_segment_wavefront_offset 0
		.amdhsa_system_sgpr_workgroup_id_x 1
		.amdhsa_system_sgpr_workgroup_id_y 0
		.amdhsa_system_sgpr_workgroup_id_z 0
		.amdhsa_system_sgpr_workgroup_info 0
		.amdhsa_system_vgpr_workitem_id 0
		.amdhsa_next_free_vgpr 43
		.amdhsa_next_free_sgpr 57
		.amdhsa_reserve_vcc 1
		.amdhsa_reserve_flat_scratch 0
		.amdhsa_float_round_mode_32 0
		.amdhsa_float_round_mode_16_64 0
		.amdhsa_float_denorm_mode_32 3
		.amdhsa_float_denorm_mode_16_64 3
		.amdhsa_dx10_clamp 1
		.amdhsa_ieee_mode 1
		.amdhsa_fp16_overflow 0
		.amdhsa_workgroup_processor_mode 1
		.amdhsa_memory_ordered 1
		.amdhsa_forward_progress 1
		.amdhsa_shared_vgpr_count 0
		.amdhsa_exception_fp_ieee_invalid_op 0
		.amdhsa_exception_fp_denorm_src 0
		.amdhsa_exception_fp_ieee_div_zero 0
		.amdhsa_exception_fp_ieee_overflow 0
		.amdhsa_exception_fp_ieee_underflow 0
		.amdhsa_exception_fp_ieee_inexact 0
		.amdhsa_exception_int_div_zero 0
	.end_amdhsa_kernel
	.section	.text._ZN9rocsparseL14kernel_freerunILi1024ELi16E21rocsparse_complex_numIdEiiEEvT3_S3_T2_PKS4_S6_PKS3_PKT1_21rocsparse_index_base_S6_S6_S8_PS9_SD_SC_S6_S6_S8_SD_SD_SC_SD_SD_,"axG",@progbits,_ZN9rocsparseL14kernel_freerunILi1024ELi16E21rocsparse_complex_numIdEiiEEvT3_S3_T2_PKS4_S6_PKS3_PKT1_21rocsparse_index_base_S6_S6_S8_PS9_SD_SC_S6_S6_S8_SD_SD_SC_SD_SD_,comdat
.Lfunc_end46:
	.size	_ZN9rocsparseL14kernel_freerunILi1024ELi16E21rocsparse_complex_numIdEiiEEvT3_S3_T2_PKS4_S6_PKS3_PKT1_21rocsparse_index_base_S6_S6_S8_PS9_SD_SC_S6_S6_S8_SD_SD_SC_SD_SD_, .Lfunc_end46-_ZN9rocsparseL14kernel_freerunILi1024ELi16E21rocsparse_complex_numIdEiiEEvT3_S3_T2_PKS4_S6_PKS3_PKT1_21rocsparse_index_base_S6_S6_S8_PS9_SD_SC_S6_S6_S8_SD_SD_SC_SD_SD_
                                        ; -- End function
	.set _ZN9rocsparseL14kernel_freerunILi1024ELi16E21rocsparse_complex_numIdEiiEEvT3_S3_T2_PKS4_S6_PKS3_PKT1_21rocsparse_index_base_S6_S6_S8_PS9_SD_SC_S6_S6_S8_SD_SD_SC_SD_SD_.num_vgpr, 43
	.set _ZN9rocsparseL14kernel_freerunILi1024ELi16E21rocsparse_complex_numIdEiiEEvT3_S3_T2_PKS4_S6_PKS3_PKT1_21rocsparse_index_base_S6_S6_S8_PS9_SD_SC_S6_S6_S8_SD_SD_SC_SD_SD_.num_agpr, 0
	.set _ZN9rocsparseL14kernel_freerunILi1024ELi16E21rocsparse_complex_numIdEiiEEvT3_S3_T2_PKS4_S6_PKS3_PKT1_21rocsparse_index_base_S6_S6_S8_PS9_SD_SC_S6_S6_S8_SD_SD_SC_SD_SD_.numbered_sgpr, 57
	.set _ZN9rocsparseL14kernel_freerunILi1024ELi16E21rocsparse_complex_numIdEiiEEvT3_S3_T2_PKS4_S6_PKS3_PKT1_21rocsparse_index_base_S6_S6_S8_PS9_SD_SC_S6_S6_S8_SD_SD_SC_SD_SD_.num_named_barrier, 0
	.set _ZN9rocsparseL14kernel_freerunILi1024ELi16E21rocsparse_complex_numIdEiiEEvT3_S3_T2_PKS4_S6_PKS3_PKT1_21rocsparse_index_base_S6_S6_S8_PS9_SD_SC_S6_S6_S8_SD_SD_SC_SD_SD_.private_seg_size, 0
	.set _ZN9rocsparseL14kernel_freerunILi1024ELi16E21rocsparse_complex_numIdEiiEEvT3_S3_T2_PKS4_S6_PKS3_PKT1_21rocsparse_index_base_S6_S6_S8_PS9_SD_SC_S6_S6_S8_SD_SD_SC_SD_SD_.uses_vcc, 1
	.set _ZN9rocsparseL14kernel_freerunILi1024ELi16E21rocsparse_complex_numIdEiiEEvT3_S3_T2_PKS4_S6_PKS3_PKT1_21rocsparse_index_base_S6_S6_S8_PS9_SD_SC_S6_S6_S8_SD_SD_SC_SD_SD_.uses_flat_scratch, 0
	.set _ZN9rocsparseL14kernel_freerunILi1024ELi16E21rocsparse_complex_numIdEiiEEvT3_S3_T2_PKS4_S6_PKS3_PKT1_21rocsparse_index_base_S6_S6_S8_PS9_SD_SC_S6_S6_S8_SD_SD_SC_SD_SD_.has_dyn_sized_stack, 0
	.set _ZN9rocsparseL14kernel_freerunILi1024ELi16E21rocsparse_complex_numIdEiiEEvT3_S3_T2_PKS4_S6_PKS3_PKT1_21rocsparse_index_base_S6_S6_S8_PS9_SD_SC_S6_S6_S8_SD_SD_SC_SD_SD_.has_recursion, 0
	.set _ZN9rocsparseL14kernel_freerunILi1024ELi16E21rocsparse_complex_numIdEiiEEvT3_S3_T2_PKS4_S6_PKS3_PKT1_21rocsparse_index_base_S6_S6_S8_PS9_SD_SC_S6_S6_S8_SD_SD_SC_SD_SD_.has_indirect_call, 0
	.section	.AMDGPU.csdata,"",@progbits
; Kernel info:
; codeLenInByte = 3872
; TotalNumSgprs: 59
; NumVgprs: 43
; ScratchSize: 0
; MemoryBound: 1
; FloatMode: 240
; IeeeMode: 1
; LDSByteSize: 0 bytes/workgroup (compile time only)
; SGPRBlocks: 0
; VGPRBlocks: 5
; NumSGPRsForWavesPerEU: 59
; NumVGPRsForWavesPerEU: 43
; Occupancy: 16
; WaveLimiterHint : 1
; COMPUTE_PGM_RSRC2:SCRATCH_EN: 0
; COMPUTE_PGM_RSRC2:USER_SGPR: 6
; COMPUTE_PGM_RSRC2:TRAP_HANDLER: 0
; COMPUTE_PGM_RSRC2:TGID_X_EN: 1
; COMPUTE_PGM_RSRC2:TGID_Y_EN: 0
; COMPUTE_PGM_RSRC2:TGID_Z_EN: 0
; COMPUTE_PGM_RSRC2:TIDIG_COMP_CNT: 0
	.section	.text._ZN9rocsparseL14kernel_freerunILi1024ELi32E21rocsparse_complex_numIdEiiEEvT3_S3_T2_PKS4_S6_PKS3_PKT1_21rocsparse_index_base_S6_S6_S8_PS9_SD_SC_S6_S6_S8_SD_SD_SC_SD_SD_,"axG",@progbits,_ZN9rocsparseL14kernel_freerunILi1024ELi32E21rocsparse_complex_numIdEiiEEvT3_S3_T2_PKS4_S6_PKS3_PKT1_21rocsparse_index_base_S6_S6_S8_PS9_SD_SC_S6_S6_S8_SD_SD_SC_SD_SD_,comdat
	.globl	_ZN9rocsparseL14kernel_freerunILi1024ELi32E21rocsparse_complex_numIdEiiEEvT3_S3_T2_PKS4_S6_PKS3_PKT1_21rocsparse_index_base_S6_S6_S8_PS9_SD_SC_S6_S6_S8_SD_SD_SC_SD_SD_ ; -- Begin function _ZN9rocsparseL14kernel_freerunILi1024ELi32E21rocsparse_complex_numIdEiiEEvT3_S3_T2_PKS4_S6_PKS3_PKT1_21rocsparse_index_base_S6_S6_S8_PS9_SD_SC_S6_S6_S8_SD_SD_SC_SD_SD_
	.p2align	8
	.type	_ZN9rocsparseL14kernel_freerunILi1024ELi32E21rocsparse_complex_numIdEiiEEvT3_S3_T2_PKS4_S6_PKS3_PKT1_21rocsparse_index_base_S6_S6_S8_PS9_SD_SC_S6_S6_S8_SD_SD_SC_SD_SD_,@function
_ZN9rocsparseL14kernel_freerunILi1024ELi32E21rocsparse_complex_numIdEiiEEvT3_S3_T2_PKS4_S6_PKS3_PKT1_21rocsparse_index_base_S6_S6_S8_PS9_SD_SC_S6_S6_S8_SD_SD_SC_SD_SD_: ; @_ZN9rocsparseL14kernel_freerunILi1024ELi32E21rocsparse_complex_numIdEiiEEvT3_S3_T2_PKS4_S6_PKS3_PKT1_21rocsparse_index_base_S6_S6_S8_PS9_SD_SC_S6_S6_S8_SD_SD_SC_SD_SD_
; %bb.0:
	s_load_dwordx2 s[34:35], s[4:5], 0x0
	v_lshrrev_b32_e32 v1, 5, v0
	s_lshl_b32 s0, s6, 10
	s_mov_b32 s33, 0
	v_or_b32_e32 v24, s0, v1
	s_waitcnt lgkmcnt(0)
	v_cmp_gt_i32_e32 vcc_lo, s35, v24
	s_cmp_gt_i32 s34, 0
	s_cselect_b32 s1, -1, 0
	s_and_b32 s1, vcc_lo, s1
	s_and_saveexec_b32 s2, s1
	s_cbranch_execz .LBB47_72
; %bb.1:
	s_clause 0x8
	s_load_dword s42, s[4:5], 0x30
	s_load_dword s43, s[4:5], 0x60
	;; [unrolled: 1-line block ×3, first 2 shown]
	s_load_dwordx2 s[6:7], s[4:5], 0x88
	s_load_dwordx2 s[40:41], s[4:5], 0x58
	s_load_dwordx4 s[36:39], s[4:5], 0x98
	s_load_dwordx8 s[8:15], s[4:5], 0x68
	s_load_dwordx8 s[16:23], s[4:5], 0x38
	;; [unrolled: 1-line block ×3, first 2 shown]
	v_and_b32_e32 v0, 31, v0
	s_add_i32 s4, s0, 0x400
	v_mov_b32_e32 v5, 0
	v_cmp_gt_u32_e64 s0, s4, v24
	v_cmp_eq_u32_e64 s1, 0, v0
	s_waitcnt lgkmcnt(0)
	v_subrev_nc_u32_e32 v25, s42, v0
	v_subrev_nc_u32_e32 v26, s43, v0
	;; [unrolled: 1-line block ×3, first 2 shown]
	s_branch .LBB47_3
.LBB47_2:                               ;   in Loop: Header=BB47_3 Depth=1
	s_or_b32 exec_lo, exec_lo, s3
	s_add_i32 s33, s33, 1
	s_cmp_eq_u32 s33, s34
	s_cbranch_scc1 .LBB47_72
.LBB47_3:                               ; =>This Loop Header: Depth=1
                                        ;     Child Loop BB47_5 Depth 2
                                        ;       Child Loop BB47_9 Depth 3
                                        ;         Child Loop BB47_13 Depth 4
                                        ;         Child Loop BB47_43 Depth 4
	;; [unrolled: 1-line block ×3, first 2 shown]
                                        ;     Child Loop BB47_63 Depth 2
                                        ;       Child Loop BB47_66 Depth 3
                                        ;       Child Loop BB47_69 Depth 3
	s_mov_b32 s5, 0
	s_branch .LBB47_5
.LBB47_4:                               ;   in Loop: Header=BB47_5 Depth=2
	s_or_b32 exec_lo, exec_lo, s45
	s_add_i32 s5, s5, 1
	s_cmp_eq_u32 s5, 32
	s_cbranch_scc1 .LBB47_60
.LBB47_5:                               ;   Parent Loop BB47_3 Depth=1
                                        ; =>  This Loop Header: Depth=2
                                        ;       Child Loop BB47_9 Depth 3
                                        ;         Child Loop BB47_13 Depth 4
                                        ;         Child Loop BB47_43 Depth 4
                                        ;         Child Loop BB47_53 Depth 4
	v_lshl_add_u32 v6, s5, 5, v24
	s_mov_b32 s45, exec_lo
	v_cmpx_gt_i32_e64 s35, v6
	s_cbranch_execz .LBB47_4
; %bb.6:                                ;   in Loop: Header=BB47_5 Depth=2
	v_ashrrev_i32_e32 v7, 31, v6
	v_lshlrev_b64 v[0:1], 2, v[6:7]
	v_add_co_u32 v2, vcc_lo, s24, v0
	v_add_co_ci_u32_e64 v3, null, s25, v1, vcc_lo
	v_add_co_u32 v7, vcc_lo, s26, v0
	v_add_co_ci_u32_e64 v8, null, s27, v1, vcc_lo
	global_load_dword v2, v[2:3], off
	global_load_dword v3, v[7:8], off
	s_waitcnt vmcnt(1)
	v_add_nc_u32_e32 v7, v25, v2
	s_waitcnt vmcnt(0)
	v_subrev_nc_u32_e32 v28, s42, v3
	v_cmp_lt_i32_e32 vcc_lo, v7, v28
	s_and_b32 exec_lo, exec_lo, vcc_lo
	s_cbranch_execz .LBB47_4
; %bb.7:                                ;   in Loop: Header=BB47_5 Depth=2
	v_add_co_u32 v2, vcc_lo, s16, v0
	v_add_co_ci_u32_e64 v3, null, s17, v1, vcc_lo
	v_add_co_u32 v0, vcc_lo, s18, v0
	v_add_co_ci_u32_e64 v1, null, s19, v1, vcc_lo
	global_load_dword v2, v[2:3], off
	s_mov_b32 s46, 0
	global_load_dword v3, v[0:1], off
	s_waitcnt vmcnt(1)
	v_subrev_nc_u32_e32 v9, s43, v2
	s_waitcnt vmcnt(0)
	v_sub_nc_u32_e32 v29, v3, v2
	v_ashrrev_i32_e32 v10, 31, v9
	v_cmp_lt_i32_e64 s2, 0, v29
	v_lshlrev_b64 v[0:1], 2, v[9:10]
	v_lshlrev_b64 v[2:3], 4, v[9:10]
	v_add_co_u32 v30, vcc_lo, s20, v0
	v_add_co_ci_u32_e64 v31, null, s21, v1, vcc_lo
	v_add_co_u32 v32, vcc_lo, s22, v2
	v_add_co_ci_u32_e64 v33, null, s23, v3, vcc_lo
	s_branch .LBB47_9
.LBB47_8:                               ;   in Loop: Header=BB47_9 Depth=3
	s_or_b32 exec_lo, exec_lo, s47
	v_add_nc_u32_e32 v7, 32, v7
	v_cmp_ge_i32_e32 vcc_lo, v7, v28
	s_or_b32 s46, vcc_lo, s46
	s_andn2_b32 exec_lo, exec_lo, s46
	s_cbranch_execz .LBB47_4
.LBB47_9:                               ;   Parent Loop BB47_3 Depth=1
                                        ;     Parent Loop BB47_5 Depth=2
                                        ; =>    This Loop Header: Depth=3
                                        ;         Child Loop BB47_13 Depth 4
                                        ;         Child Loop BB47_43 Depth 4
	;; [unrolled: 1-line block ×3, first 2 shown]
	v_ashrrev_i32_e32 v8, 31, v7
	v_mov_b32_e32 v4, 0
	v_lshlrev_b64 v[0:1], 2, v[7:8]
	v_mov_b32_e32 v15, v4
	v_add_co_u32 v0, vcc_lo, s28, v0
	v_add_co_ci_u32_e64 v1, null, s29, v1, vcc_lo
	global_load_dword v0, v[0:1], off
	s_waitcnt vmcnt(0)
	v_subrev_nc_u32_e32 v10, s42, v0
	v_ashrrev_i32_e32 v11, 31, v10
	v_lshlrev_b64 v[0:1], 2, v[10:11]
	v_add_co_u32 v2, vcc_lo, s8, v0
	v_add_co_ci_u32_e64 v3, null, s9, v1, vcc_lo
	v_add_co_u32 v0, vcc_lo, s10, v0
	v_add_co_ci_u32_e64 v1, null, s11, v1, vcc_lo
	global_load_dword v12, v[2:3], off
	global_load_dword v13, v[0:1], off
	v_mov_b32_e32 v0, 0
	v_mov_b32_e32 v2, 0
	;; [unrolled: 1-line block ×4, first 2 shown]
	s_waitcnt vmcnt(1)
	v_subrev_nc_u32_e32 v14, s44, v12
	s_waitcnt vmcnt(0)
	v_sub_nc_u32_e32 v34, v13, v12
	s_and_saveexec_b32 s47, s2
	s_cbranch_execz .LBB47_17
; %bb.10:                               ;   in Loop: Header=BB47_9 Depth=3
	v_ashrrev_i32_e32 v15, 31, v14
	v_mov_b32_e32 v0, 0
	v_mov_b32_e32 v1, 0
	;; [unrolled: 1-line block ×3, first 2 shown]
	s_mov_b32 s48, 0
	v_lshlrev_b64 v[2:3], 2, v[14:15]
	v_lshlrev_b64 v[15:16], 4, v[14:15]
                                        ; implicit-def: $sgpr49
	v_add_co_u32 v12, vcc_lo, s12, v2
	v_add_co_ci_u32_e64 v13, null, s13, v3, vcc_lo
	v_add_co_u32 v17, vcc_lo, s14, v15
	v_mov_b32_e32 v2, 0
	v_add_co_ci_u32_e64 v18, null, s15, v16, vcc_lo
	v_mov_b32_e32 v15, 0
	v_mov_b32_e32 v3, 0
	s_branch .LBB47_13
.LBB47_11:                              ;   in Loop: Header=BB47_13 Depth=4
	s_or_b32 exec_lo, exec_lo, s3
	v_cmp_le_i32_e32 vcc_lo, v19, v20
	v_cmp_ge_i32_e64 s3, v19, v20
	v_add_co_ci_u32_e64 v4, null, 0, v4, vcc_lo
	v_add_co_ci_u32_e64 v15, null, 0, v15, s3
	s_andn2_b32 s3, s49, exec_lo
	v_cmp_ge_i32_e32 vcc_lo, v4, v29
	s_and_b32 s49, vcc_lo, exec_lo
	s_or_b32 s49, s3, s49
.LBB47_12:                              ;   in Loop: Header=BB47_13 Depth=4
	s_or_b32 exec_lo, exec_lo, s50
	s_and_b32 s3, exec_lo, s49
	s_or_b32 s48, s3, s48
	s_andn2_b32 exec_lo, exec_lo, s48
	s_cbranch_execz .LBB47_16
.LBB47_13:                              ;   Parent Loop BB47_3 Depth=1
                                        ;     Parent Loop BB47_5 Depth=2
                                        ;       Parent Loop BB47_9 Depth=3
                                        ; =>      This Inner Loop Header: Depth=4
	s_or_b32 s49, s49, exec_lo
	s_mov_b32 s50, exec_lo
	v_cmpx_lt_i32_e64 v15, v34
	s_cbranch_execz .LBB47_12
; %bb.14:                               ;   in Loop: Header=BB47_13 Depth=4
	v_mov_b32_e32 v16, v5
	v_lshlrev_b64 v[19:20], 2, v[4:5]
	s_mov_b32 s3, exec_lo
	v_lshlrev_b64 v[21:22], 2, v[15:16]
	v_add_co_u32 v19, vcc_lo, v30, v19
	v_add_co_ci_u32_e64 v20, null, v31, v20, vcc_lo
	v_add_co_u32 v21, vcc_lo, v12, v21
	v_add_co_ci_u32_e64 v22, null, v13, v22, vcc_lo
	global_load_dword v19, v[19:20], off
	global_load_dword v20, v[21:22], off
	s_waitcnt vmcnt(1)
	v_subrev_nc_u32_e32 v19, s43, v19
	s_waitcnt vmcnt(0)
	v_subrev_nc_u32_e32 v20, s44, v20
	v_cmpx_eq_u32_e64 v19, v20
	s_cbranch_execz .LBB47_11
; %bb.15:                               ;   in Loop: Header=BB47_13 Depth=4
	v_lshlrev_b64 v[21:22], 4, v[4:5]
	v_lshlrev_b64 v[35:36], 4, v[15:16]
	v_add_co_u32 v21, vcc_lo, v32, v21
	v_add_co_ci_u32_e64 v22, null, v33, v22, vcc_lo
	v_add_co_u32 v39, vcc_lo, v17, v35
	v_add_co_ci_u32_e64 v40, null, v18, v36, vcc_lo
	global_load_dwordx4 v[35:38], v[21:22], off
	global_load_dwordx4 v[39:42], v[39:40], off
	s_waitcnt vmcnt(0)
	v_fma_f64 v[0:1], v[35:36], v[39:40], v[0:1]
	v_fma_f64 v[2:3], v[37:38], v[39:40], v[2:3]
	v_fma_f64 v[0:1], -v[37:38], v[41:42], v[0:1]
	v_fma_f64 v[2:3], v[35:36], v[41:42], v[2:3]
	s_branch .LBB47_11
.LBB47_16:                              ;   in Loop: Header=BB47_9 Depth=3
	s_or_b32 exec_lo, exec_lo, s48
.LBB47_17:                              ;   in Loop: Header=BB47_9 Depth=3
	s_or_b32 exec_lo, exec_lo, s47
	v_lshlrev_b64 v[12:13], 4, v[7:8]
	v_cmp_le_i32_e64 s3, v6, v10
	s_mov_b32 s47, exec_lo
	v_add_co_u32 v12, vcc_lo, s30, v12
	v_add_co_ci_u32_e64 v13, null, s31, v13, vcc_lo
	global_load_dwordx4 v[16:19], v[12:13], off
	s_waitcnt vmcnt(0)
	v_add_f64 v[16:17], v[16:17], -v[0:1]
	v_add_f64 v[12:13], v[18:19], -v[2:3]
	v_cmpx_gt_i32_e64 v6, v10
	s_cbranch_execz .LBB47_27
; %bb.18:                               ;   in Loop: Header=BB47_9 Depth=3
	v_lshlrev_b64 v[0:1], 4, v[10:11]
	s_mov_b32 s48, exec_lo
                                        ; implicit-def: $vgpr22_vgpr23
	v_add_co_u32 v0, vcc_lo, s36, v0
	v_add_co_ci_u32_e64 v1, null, s37, v1, vcc_lo
	global_load_dwordx4 v[0:3], v[0:1], off
	s_waitcnt vmcnt(0)
	v_cmp_gt_f64_e32 vcc_lo, 0, v[0:1]
	v_xor_b32_e32 v8, 0x80000000, v1
	v_xor_b32_e32 v20, 0x80000000, v3
	v_mov_b32_e32 v18, v0
	v_cndmask_b32_e32 v19, v1, v8, vcc_lo
	v_cmp_gt_f64_e32 vcc_lo, 0, v[2:3]
	v_cndmask_b32_e32 v21, v3, v20, vcc_lo
	v_mov_b32_e32 v20, v2
	v_cmpx_ngt_f64_e32 v[18:19], v[20:21]
	s_xor_b32 s48, exec_lo, s48
	s_cbranch_execz .LBB47_22
; %bb.19:                               ;   in Loop: Header=BB47_9 Depth=3
	v_mov_b32_e32 v22, 0
	v_mov_b32_e32 v23, 0
	s_mov_b32 s49, exec_lo
	v_cmpx_neq_f64_e32 0, v[2:3]
	s_cbranch_execz .LBB47_21
; %bb.20:                               ;   in Loop: Header=BB47_9 Depth=3
	v_div_scale_f64 v[22:23], null, v[20:21], v[20:21], v[18:19]
	v_div_scale_f64 v[39:40], vcc_lo, v[18:19], v[20:21], v[18:19]
	v_rcp_f64_e32 v[35:36], v[22:23]
	v_fma_f64 v[37:38], -v[22:23], v[35:36], 1.0
	v_fma_f64 v[35:36], v[35:36], v[37:38], v[35:36]
	v_fma_f64 v[37:38], -v[22:23], v[35:36], 1.0
	v_fma_f64 v[35:36], v[35:36], v[37:38], v[35:36]
	v_mul_f64 v[37:38], v[39:40], v[35:36]
	v_fma_f64 v[22:23], -v[22:23], v[37:38], v[39:40]
	v_div_fmas_f64 v[22:23], v[22:23], v[35:36], v[37:38]
	v_div_fixup_f64 v[18:19], v[22:23], v[20:21], v[18:19]
	v_fma_f64 v[18:19], v[18:19], v[18:19], 1.0
	v_cmp_gt_f64_e32 vcc_lo, 0x10000000, v[18:19]
	v_cndmask_b32_e64 v8, 0, 0x100, vcc_lo
	v_ldexp_f64 v[18:19], v[18:19], v8
	v_cndmask_b32_e64 v8, 0, 0xffffff80, vcc_lo
	v_rsq_f64_e32 v[22:23], v[18:19]
	v_cmp_class_f64_e64 vcc_lo, v[18:19], 0x260
	v_mul_f64 v[35:36], v[18:19], v[22:23]
	v_mul_f64 v[22:23], v[22:23], 0.5
	v_fma_f64 v[37:38], -v[22:23], v[35:36], 0.5
	v_fma_f64 v[35:36], v[35:36], v[37:38], v[35:36]
	v_fma_f64 v[22:23], v[22:23], v[37:38], v[22:23]
	v_fma_f64 v[37:38], -v[35:36], v[35:36], v[18:19]
	v_fma_f64 v[35:36], v[37:38], v[22:23], v[35:36]
	v_fma_f64 v[37:38], -v[35:36], v[35:36], v[18:19]
	v_fma_f64 v[22:23], v[37:38], v[22:23], v[35:36]
	v_ldexp_f64 v[22:23], v[22:23], v8
	v_cndmask_b32_e32 v19, v23, v19, vcc_lo
	v_cndmask_b32_e32 v18, v22, v18, vcc_lo
	v_mul_f64 v[22:23], v[20:21], v[18:19]
.LBB47_21:                              ;   in Loop: Header=BB47_9 Depth=3
	s_or_b32 exec_lo, exec_lo, s49
                                        ; implicit-def: $vgpr18_vgpr19
                                        ; implicit-def: $vgpr20_vgpr21
.LBB47_22:                              ;   in Loop: Header=BB47_9 Depth=3
	s_andn2_saveexec_b32 s48, s48
	s_cbranch_execz .LBB47_24
; %bb.23:                               ;   in Loop: Header=BB47_9 Depth=3
	v_div_scale_f64 v[22:23], null, v[18:19], v[18:19], v[20:21]
	v_div_scale_f64 v[39:40], vcc_lo, v[20:21], v[18:19], v[20:21]
	v_rcp_f64_e32 v[35:36], v[22:23]
	v_fma_f64 v[37:38], -v[22:23], v[35:36], 1.0
	v_fma_f64 v[35:36], v[35:36], v[37:38], v[35:36]
	v_fma_f64 v[37:38], -v[22:23], v[35:36], 1.0
	v_fma_f64 v[35:36], v[35:36], v[37:38], v[35:36]
	v_mul_f64 v[37:38], v[39:40], v[35:36]
	v_fma_f64 v[22:23], -v[22:23], v[37:38], v[39:40]
	v_div_fmas_f64 v[22:23], v[22:23], v[35:36], v[37:38]
	v_div_fixup_f64 v[20:21], v[22:23], v[18:19], v[20:21]
	v_fma_f64 v[20:21], v[20:21], v[20:21], 1.0
	v_cmp_gt_f64_e32 vcc_lo, 0x10000000, v[20:21]
	v_cndmask_b32_e64 v8, 0, 0x100, vcc_lo
	v_ldexp_f64 v[20:21], v[20:21], v8
	v_cndmask_b32_e64 v8, 0, 0xffffff80, vcc_lo
	v_rsq_f64_e32 v[22:23], v[20:21]
	v_cmp_class_f64_e64 vcc_lo, v[20:21], 0x260
	v_mul_f64 v[35:36], v[20:21], v[22:23]
	v_mul_f64 v[22:23], v[22:23], 0.5
	v_fma_f64 v[37:38], -v[22:23], v[35:36], 0.5
	v_fma_f64 v[35:36], v[35:36], v[37:38], v[35:36]
	v_fma_f64 v[22:23], v[22:23], v[37:38], v[22:23]
	v_fma_f64 v[37:38], -v[35:36], v[35:36], v[20:21]
	v_fma_f64 v[35:36], v[37:38], v[22:23], v[35:36]
	v_fma_f64 v[37:38], -v[35:36], v[35:36], v[20:21]
	v_fma_f64 v[22:23], v[37:38], v[22:23], v[35:36]
	v_ldexp_f64 v[22:23], v[22:23], v8
	v_cndmask_b32_e32 v21, v23, v21, vcc_lo
	v_cndmask_b32_e32 v20, v22, v20, vcc_lo
	v_mul_f64 v[22:23], v[18:19], v[20:21]
.LBB47_24:                              ;   in Loop: Header=BB47_9 Depth=3
	s_or_b32 exec_lo, exec_lo, s48
	v_mov_b32_e32 v18, 0
	v_mov_b32_e32 v20, 0
	;; [unrolled: 1-line block ×4, first 2 shown]
	s_mov_b32 s48, exec_lo
	v_cmpx_lt_f64_e32 0, v[22:23]
	s_cbranch_execz .LBB47_26
; %bb.25:                               ;   in Loop: Header=BB47_9 Depth=3
	v_mul_f64 v[18:19], v[2:3], v[2:3]
	v_fma_f64 v[18:19], v[0:1], v[0:1], v[18:19]
	v_div_scale_f64 v[20:21], null, v[18:19], v[18:19], 1.0
	v_div_scale_f64 v[37:38], vcc_lo, 1.0, v[18:19], 1.0
	v_rcp_f64_e32 v[22:23], v[20:21]
	v_fma_f64 v[35:36], -v[20:21], v[22:23], 1.0
	v_fma_f64 v[22:23], v[22:23], v[35:36], v[22:23]
	v_fma_f64 v[35:36], -v[20:21], v[22:23], 1.0
	v_fma_f64 v[22:23], v[22:23], v[35:36], v[22:23]
	v_mul_f64 v[35:36], v[37:38], v[22:23]
	v_fma_f64 v[20:21], -v[20:21], v[35:36], v[37:38]
	v_mul_f64 v[37:38], v[12:13], v[2:3]
	v_mul_f64 v[2:3], v[2:3], -v[16:17]
	v_div_fmas_f64 v[20:21], v[20:21], v[22:23], v[35:36]
	v_fma_f64 v[16:17], v[16:17], v[0:1], v[37:38]
	v_fma_f64 v[0:1], v[12:13], v[0:1], v[2:3]
	v_div_fixup_f64 v[20:21], v[20:21], v[18:19], 1.0
	v_mul_f64 v[18:19], v[16:17], v[20:21]
	v_mul_f64 v[20:21], v[0:1], v[20:21]
.LBB47_26:                              ;   in Loop: Header=BB47_9 Depth=3
	s_or_b32 exec_lo, exec_lo, s48
	v_mov_b32_e32 v16, v18
	v_mov_b32_e32 v12, v20
	;; [unrolled: 1-line block ×4, first 2 shown]
.LBB47_27:                              ;   in Loop: Header=BB47_9 Depth=3
	s_or_b32 exec_lo, exec_lo, s47
	v_cmp_gt_f64_e32 vcc_lo, 0, v[16:17]
	v_xor_b32_e32 v1, 0x80000000, v17
	v_xor_b32_e32 v2, 0x80000000, v13
	v_mov_b32_e32 v0, v16
	s_mov_b32 s47, exec_lo
                                        ; implicit-def: $vgpr18_vgpr19
	v_cndmask_b32_e32 v1, v17, v1, vcc_lo
	v_cmp_gt_f64_e32 vcc_lo, 0, v[12:13]
	v_cndmask_b32_e32 v3, v13, v2, vcc_lo
	v_mov_b32_e32 v2, v12
	v_cmpx_ngt_f64_e32 v[0:1], v[2:3]
	s_xor_b32 s47, exec_lo, s47
	s_cbranch_execnz .LBB47_30
; %bb.28:                               ;   in Loop: Header=BB47_9 Depth=3
	s_andn2_saveexec_b32 s47, s47
	s_cbranch_execnz .LBB47_33
.LBB47_29:                              ;   in Loop: Header=BB47_9 Depth=3
	s_or_b32 exec_lo, exec_lo, s47
	v_cmp_class_f64_e64 s48, v[18:19], 0x1f8
	s_and_saveexec_b32 s47, s48
	s_cbranch_execz .LBB47_8
	s_branch .LBB47_34
.LBB47_30:                              ;   in Loop: Header=BB47_9 Depth=3
	v_mov_b32_e32 v18, 0
	v_mov_b32_e32 v19, 0
	s_mov_b32 s48, exec_lo
	v_cmpx_neq_f64_e32 0, v[12:13]
	s_cbranch_execz .LBB47_32
; %bb.31:                               ;   in Loop: Header=BB47_9 Depth=3
	v_div_scale_f64 v[18:19], null, v[2:3], v[2:3], v[0:1]
	v_div_scale_f64 v[35:36], vcc_lo, v[0:1], v[2:3], v[0:1]
	v_rcp_f64_e32 v[20:21], v[18:19]
	v_fma_f64 v[22:23], -v[18:19], v[20:21], 1.0
	v_fma_f64 v[20:21], v[20:21], v[22:23], v[20:21]
	v_fma_f64 v[22:23], -v[18:19], v[20:21], 1.0
	v_fma_f64 v[20:21], v[20:21], v[22:23], v[20:21]
	v_mul_f64 v[22:23], v[35:36], v[20:21]
	v_fma_f64 v[18:19], -v[18:19], v[22:23], v[35:36]
	v_div_fmas_f64 v[18:19], v[18:19], v[20:21], v[22:23]
	v_div_fixup_f64 v[0:1], v[18:19], v[2:3], v[0:1]
	v_fma_f64 v[0:1], v[0:1], v[0:1], 1.0
	v_cmp_gt_f64_e32 vcc_lo, 0x10000000, v[0:1]
	v_cndmask_b32_e64 v8, 0, 0x100, vcc_lo
	v_ldexp_f64 v[0:1], v[0:1], v8
	v_cndmask_b32_e64 v8, 0, 0xffffff80, vcc_lo
	v_rsq_f64_e32 v[18:19], v[0:1]
	v_cmp_class_f64_e64 vcc_lo, v[0:1], 0x260
	v_mul_f64 v[20:21], v[0:1], v[18:19]
	v_mul_f64 v[18:19], v[18:19], 0.5
	v_fma_f64 v[22:23], -v[18:19], v[20:21], 0.5
	v_fma_f64 v[20:21], v[20:21], v[22:23], v[20:21]
	v_fma_f64 v[18:19], v[18:19], v[22:23], v[18:19]
	v_fma_f64 v[22:23], -v[20:21], v[20:21], v[0:1]
	v_fma_f64 v[20:21], v[22:23], v[18:19], v[20:21]
	v_fma_f64 v[22:23], -v[20:21], v[20:21], v[0:1]
	v_fma_f64 v[18:19], v[22:23], v[18:19], v[20:21]
	v_ldexp_f64 v[18:19], v[18:19], v8
	v_cndmask_b32_e32 v1, v19, v1, vcc_lo
	v_cndmask_b32_e32 v0, v18, v0, vcc_lo
	v_mul_f64 v[18:19], v[2:3], v[0:1]
.LBB47_32:                              ;   in Loop: Header=BB47_9 Depth=3
	s_or_b32 exec_lo, exec_lo, s48
                                        ; implicit-def: $vgpr0_vgpr1
                                        ; implicit-def: $vgpr2_vgpr3
	s_andn2_saveexec_b32 s47, s47
	s_cbranch_execz .LBB47_29
.LBB47_33:                              ;   in Loop: Header=BB47_9 Depth=3
	v_div_scale_f64 v[18:19], null, v[0:1], v[0:1], v[2:3]
	v_div_scale_f64 v[35:36], vcc_lo, v[2:3], v[0:1], v[2:3]
	v_rcp_f64_e32 v[20:21], v[18:19]
	v_fma_f64 v[22:23], -v[18:19], v[20:21], 1.0
	v_fma_f64 v[20:21], v[20:21], v[22:23], v[20:21]
	v_fma_f64 v[22:23], -v[18:19], v[20:21], 1.0
	v_fma_f64 v[20:21], v[20:21], v[22:23], v[20:21]
	v_mul_f64 v[22:23], v[35:36], v[20:21]
	v_fma_f64 v[18:19], -v[18:19], v[22:23], v[35:36]
	v_div_fmas_f64 v[18:19], v[18:19], v[20:21], v[22:23]
	v_div_fixup_f64 v[2:3], v[18:19], v[0:1], v[2:3]
	v_fma_f64 v[2:3], v[2:3], v[2:3], 1.0
	v_cmp_gt_f64_e32 vcc_lo, 0x10000000, v[2:3]
	v_cndmask_b32_e64 v8, 0, 0x100, vcc_lo
	v_ldexp_f64 v[2:3], v[2:3], v8
	v_cndmask_b32_e64 v8, 0, 0xffffff80, vcc_lo
	v_rsq_f64_e32 v[18:19], v[2:3]
	v_cmp_class_f64_e64 vcc_lo, v[2:3], 0x260
	v_mul_f64 v[20:21], v[2:3], v[18:19]
	v_mul_f64 v[18:19], v[18:19], 0.5
	v_fma_f64 v[22:23], -v[18:19], v[20:21], 0.5
	v_fma_f64 v[20:21], v[20:21], v[22:23], v[20:21]
	v_fma_f64 v[18:19], v[18:19], v[22:23], v[18:19]
	v_fma_f64 v[22:23], -v[20:21], v[20:21], v[2:3]
	v_fma_f64 v[20:21], v[22:23], v[18:19], v[20:21]
	v_fma_f64 v[22:23], -v[20:21], v[20:21], v[2:3]
	v_fma_f64 v[18:19], v[22:23], v[18:19], v[20:21]
	v_ldexp_f64 v[18:19], v[18:19], v8
	v_cndmask_b32_e32 v3, v19, v3, vcc_lo
	v_cndmask_b32_e32 v2, v18, v2, vcc_lo
	v_mul_f64 v[18:19], v[0:1], v[2:3]
	s_or_b32 exec_lo, exec_lo, s47
	v_cmp_class_f64_e64 s48, v[18:19], 0x1f8
	s_and_saveexec_b32 s47, s48
	s_cbranch_execz .LBB47_8
.LBB47_34:                              ;   in Loop: Header=BB47_9 Depth=3
	s_mov_b32 s48, 0
                                        ; implicit-def: $vgpr0_vgpr1
	s_and_saveexec_b32 s49, s3
	s_xor_b32 s3, exec_lo, s49
	s_cbranch_execnz .LBB47_37
; %bb.35:                               ;   in Loop: Header=BB47_9 Depth=3
	s_andn2_saveexec_b32 s3, s3
	s_cbranch_execnz .LBB47_50
.LBB47_36:                              ;   in Loop: Header=BB47_9 Depth=3
	s_or_b32 exec_lo, exec_lo, s3
	s_and_b32 exec_lo, exec_lo, s48
	s_cbranch_execz .LBB47_8
	s_branch .LBB47_59
.LBB47_37:                              ;   in Loop: Header=BB47_9 Depth=3
	s_mov_b32 s49, exec_lo
                                        ; implicit-def: $vgpr0_vgpr1
	v_cmpx_ge_i32_e64 v6, v10
	s_xor_b32 s49, exec_lo, s49
	s_cbranch_execz .LBB47_39
; %bb.38:                               ;   in Loop: Header=BB47_9 Depth=3
	v_lshlrev_b64 v[0:1], 4, v[10:11]
	s_mov_b32 s48, exec_lo
                                        ; implicit-def: $vgpr15
                                        ; implicit-def: $vgpr34
                                        ; implicit-def: $vgpr14
	v_add_co_u32 v0, vcc_lo, s38, v0
	v_add_co_ci_u32_e64 v1, null, s39, v1, vcc_lo
	global_store_dwordx2 v[0:1], v[16:17], off
                                        ; implicit-def: $vgpr16_vgpr17
.LBB47_39:                              ;   in Loop: Header=BB47_9 Depth=3
	s_andn2_saveexec_b32 s49, s49
	s_cbranch_execz .LBB47_49
; %bb.40:                               ;   in Loop: Header=BB47_9 Depth=3
	s_mov_b32 s51, s48
	s_mov_b32 s50, exec_lo
                                        ; implicit-def: $vgpr0_vgpr1
	v_cmpx_lt_i32_e64 v15, v34
	s_cbranch_execz .LBB47_48
; %bb.41:                               ;   in Loop: Header=BB47_9 Depth=3
	s_mov_b32 s52, 0
                                        ; implicit-def: $sgpr51
                                        ; implicit-def: $sgpr54
                                        ; implicit-def: $sgpr53
	s_inst_prefetch 0x1
	s_branch .LBB47_43
	.p2align	6
.LBB47_42:                              ;   in Loop: Header=BB47_43 Depth=4
	s_or_b32 exec_lo, exec_lo, s55
	s_and_b32 s55, exec_lo, s54
	s_or_b32 s52, s55, s52
	s_andn2_b32 s51, s51, exec_lo
	s_and_b32 s55, s53, exec_lo
	s_or_b32 s51, s51, s55
	s_andn2_b32 exec_lo, exec_lo, s52
	s_cbranch_execz .LBB47_45
.LBB47_43:                              ;   Parent Loop BB47_3 Depth=1
                                        ;     Parent Loop BB47_5 Depth=2
                                        ;       Parent Loop BB47_9 Depth=3
                                        ; =>      This Inner Loop Header: Depth=4
	v_add_nc_u32_e32 v2, v14, v15
	s_or_b32 s53, s53, exec_lo
	s_or_b32 s54, s54, exec_lo
	s_mov_b32 s55, exec_lo
	v_ashrrev_i32_e32 v3, 31, v2
	v_lshlrev_b64 v[0:1], 2, v[2:3]
	v_add_co_u32 v0, vcc_lo, s12, v0
	v_add_co_ci_u32_e64 v1, null, s13, v1, vcc_lo
	global_load_dword v0, v[0:1], off
	s_waitcnt vmcnt(0)
	v_subrev_nc_u32_e32 v0, s44, v0
	v_cmpx_ne_u32_e64 v0, v6
	s_cbranch_execz .LBB47_42
; %bb.44:                               ;   in Loop: Header=BB47_43 Depth=4
	v_add_nc_u32_e32 v15, 1, v15
	s_andn2_b32 s54, s54, exec_lo
	s_andn2_b32 s53, s53, exec_lo
	v_cmp_ge_i32_e32 vcc_lo, v15, v34
	s_and_b32 s56, vcc_lo, exec_lo
	s_or_b32 s54, s54, s56
	s_branch .LBB47_42
.LBB47_45:                              ;   in Loop: Header=BB47_9 Depth=3
	s_inst_prefetch 0x2
	s_or_b32 exec_lo, exec_lo, s52
	s_mov_b32 s52, s48
                                        ; implicit-def: $vgpr0_vgpr1
	s_and_saveexec_b32 s53, s51
	s_xor_b32 s51, exec_lo, s53
	s_cbranch_execz .LBB47_47
; %bb.46:                               ;   in Loop: Header=BB47_9 Depth=3
	v_lshlrev_b64 v[0:1], 4, v[2:3]
	s_or_b32 s52, s48, exec_lo
	v_add_co_u32 v0, vcc_lo, s6, v0
	v_add_co_ci_u32_e64 v1, null, s7, v1, vcc_lo
	global_store_dwordx2 v[0:1], v[16:17], off
.LBB47_47:                              ;   in Loop: Header=BB47_9 Depth=3
	s_or_b32 exec_lo, exec_lo, s51
	s_andn2_b32 s51, s48, exec_lo
	s_and_b32 s52, s52, exec_lo
	s_or_b32 s51, s51, s52
.LBB47_48:                              ;   in Loop: Header=BB47_9 Depth=3
	s_or_b32 exec_lo, exec_lo, s50
	s_andn2_b32 s48, s48, exec_lo
	s_and_b32 s50, s51, exec_lo
	s_or_b32 s48, s48, s50
.LBB47_49:                              ;   in Loop: Header=BB47_9 Depth=3
	s_or_b32 exec_lo, exec_lo, s49
	s_and_b32 s48, s48, exec_lo
                                        ; implicit-def: $vgpr16_vgpr17
                                        ; implicit-def: $vgpr10_vgpr11
	s_andn2_saveexec_b32 s3, s3
	s_cbranch_execz .LBB47_36
.LBB47_50:                              ;   in Loop: Header=BB47_9 Depth=3
	s_mov_b32 s50, s48
	s_mov_b32 s49, exec_lo
                                        ; implicit-def: $vgpr0_vgpr1
	v_cmpx_lt_i32_e64 v4, v29
	s_cbranch_execz .LBB47_58
; %bb.51:                               ;   in Loop: Header=BB47_9 Depth=3
	s_mov_b32 s51, 0
                                        ; implicit-def: $sgpr50
                                        ; implicit-def: $sgpr53
                                        ; implicit-def: $sgpr52
	s_inst_prefetch 0x1
	s_branch .LBB47_53
	.p2align	6
.LBB47_52:                              ;   in Loop: Header=BB47_53 Depth=4
	s_or_b32 exec_lo, exec_lo, s54
	s_and_b32 s54, exec_lo, s53
	s_or_b32 s51, s54, s51
	s_andn2_b32 s50, s50, exec_lo
	s_and_b32 s54, s52, exec_lo
	s_or_b32 s50, s50, s54
	s_andn2_b32 exec_lo, exec_lo, s51
	s_cbranch_execz .LBB47_55
.LBB47_53:                              ;   Parent Loop BB47_3 Depth=1
                                        ;     Parent Loop BB47_5 Depth=2
                                        ;       Parent Loop BB47_9 Depth=3
                                        ; =>      This Inner Loop Header: Depth=4
	v_add_nc_u32_e32 v2, v9, v4
	s_or_b32 s52, s52, exec_lo
	s_or_b32 s53, s53, exec_lo
	s_mov_b32 s54, exec_lo
	v_ashrrev_i32_e32 v3, 31, v2
	v_lshlrev_b64 v[0:1], 2, v[2:3]
	v_add_co_u32 v0, vcc_lo, s20, v0
	v_add_co_ci_u32_e64 v1, null, s21, v1, vcc_lo
	global_load_dword v0, v[0:1], off
	s_waitcnt vmcnt(0)
	v_subrev_nc_u32_e32 v0, s43, v0
	v_cmpx_ne_u32_e64 v0, v10
	s_cbranch_execz .LBB47_52
; %bb.54:                               ;   in Loop: Header=BB47_53 Depth=4
	v_add_nc_u32_e32 v4, 1, v4
	s_andn2_b32 s53, s53, exec_lo
	s_andn2_b32 s52, s52, exec_lo
	v_cmp_ge_i32_e32 vcc_lo, v4, v29
	s_and_b32 s55, vcc_lo, exec_lo
	s_or_b32 s53, s53, s55
	s_branch .LBB47_52
.LBB47_55:                              ;   in Loop: Header=BB47_9 Depth=3
	s_inst_prefetch 0x2
	s_or_b32 exec_lo, exec_lo, s51
	s_mov_b32 s51, s48
                                        ; implicit-def: $vgpr0_vgpr1
	s_and_saveexec_b32 s52, s50
	s_xor_b32 s50, exec_lo, s52
	s_cbranch_execz .LBB47_57
; %bb.56:                               ;   in Loop: Header=BB47_9 Depth=3
	v_lshlrev_b64 v[0:1], 4, v[2:3]
	s_or_b32 s51, s48, exec_lo
	v_add_co_u32 v0, vcc_lo, s40, v0
	v_add_co_ci_u32_e64 v1, null, s41, v1, vcc_lo
	global_store_dwordx2 v[0:1], v[16:17], off
.LBB47_57:                              ;   in Loop: Header=BB47_9 Depth=3
	s_or_b32 exec_lo, exec_lo, s50
	s_andn2_b32 s50, s48, exec_lo
	s_and_b32 s51, s51, exec_lo
	s_or_b32 s50, s50, s51
.LBB47_58:                              ;   in Loop: Header=BB47_9 Depth=3
	s_or_b32 exec_lo, exec_lo, s49
	s_andn2_b32 s48, s48, exec_lo
	s_and_b32 s49, s50, exec_lo
	s_or_b32 s48, s48, s49
	s_or_b32 exec_lo, exec_lo, s3
	s_and_b32 exec_lo, exec_lo, s48
	s_cbranch_execz .LBB47_8
.LBB47_59:                              ;   in Loop: Header=BB47_9 Depth=3
	global_store_dwordx2 v[0:1], v[12:13], off offset:8
	s_branch .LBB47_8
.LBB47_60:                              ;   in Loop: Header=BB47_3 Depth=1
	s_and_saveexec_b32 s3, s0
	s_cbranch_execz .LBB47_2
; %bb.61:                               ;   in Loop: Header=BB47_3 Depth=1
	v_mov_b32_e32 v0, v24
	s_mov_b32 s5, 0
	s_branch .LBB47_63
.LBB47_62:                              ;   in Loop: Header=BB47_63 Depth=2
	s_or_b32 exec_lo, exec_lo, s45
	v_add_nc_u32_e32 v0, 32, v0
	v_cmp_le_u32_e32 vcc_lo, s4, v0
	s_or_b32 s5, vcc_lo, s5
	s_andn2_b32 exec_lo, exec_lo, s5
	s_cbranch_execz .LBB47_2
.LBB47_63:                              ;   Parent Loop BB47_3 Depth=1
                                        ; =>  This Loop Header: Depth=2
                                        ;       Child Loop BB47_66 Depth 3
                                        ;       Child Loop BB47_69 Depth 3
	s_mov_b32 s45, exec_lo
	v_cmpx_gt_i32_e64 s35, v0
	s_cbranch_execz .LBB47_62
; %bb.64:                               ;   in Loop: Header=BB47_63 Depth=2
	v_ashrrev_i32_e32 v1, 31, v0
	s_mov_b32 s46, exec_lo
	v_lshlrev_b64 v[2:3], 2, v[0:1]
	v_add_co_u32 v6, vcc_lo, s16, v2
	v_add_co_ci_u32_e64 v7, null, s17, v3, vcc_lo
	v_add_co_u32 v8, vcc_lo, s18, v2
	v_add_co_ci_u32_e64 v9, null, s19, v3, vcc_lo
	global_load_dword v4, v[6:7], off
	global_load_dword v7, v[8:9], off
	s_waitcnt vmcnt(1)
	v_add_nc_u32_e32 v6, v26, v4
	s_waitcnt vmcnt(0)
	v_subrev_nc_u32_e32 v4, s43, v7
	v_cmpx_lt_i32_e64 v6, v4
	s_cbranch_execz .LBB47_67
; %bb.65:                               ;   in Loop: Header=BB47_63 Depth=2
	v_ashrrev_i32_e32 v7, 31, v6
	s_mov_b32 s47, 0
	v_lshlrev_b64 v[9:10], 4, v[6:7]
	v_add_co_u32 v7, vcc_lo, s22, v9
	v_add_co_ci_u32_e64 v8, null, s23, v10, vcc_lo
	v_add_co_u32 v9, vcc_lo, s40, v9
	v_add_co_ci_u32_e64 v10, null, s41, v10, vcc_lo
	.p2align	6
.LBB47_66:                              ;   Parent Loop BB47_3 Depth=1
                                        ;     Parent Loop BB47_63 Depth=2
                                        ; =>    This Inner Loop Header: Depth=3
	global_load_dwordx4 v[11:14], v[9:10], off
	v_add_nc_u32_e32 v6, 32, v6
	v_add_co_u32 v9, vcc_lo, 0x200, v9
	v_add_co_ci_u32_e64 v10, null, 0, v10, vcc_lo
	v_cmp_ge_i32_e32 vcc_lo, v6, v4
	s_or_b32 s47, vcc_lo, s47
	s_waitcnt vmcnt(0)
	global_store_dwordx4 v[7:8], v[11:14], off
	v_add_co_u32 v7, s2, 0x200, v7
	v_add_co_ci_u32_e64 v8, null, 0, v8, s2
	s_andn2_b32 exec_lo, exec_lo, s47
	s_cbranch_execnz .LBB47_66
.LBB47_67:                              ;   in Loop: Header=BB47_63 Depth=2
	s_or_b32 exec_lo, exec_lo, s46
	v_add_co_u32 v6, vcc_lo, s8, v2
	v_add_co_ci_u32_e64 v7, null, s9, v3, vcc_lo
	v_add_co_u32 v2, vcc_lo, s10, v2
	v_add_co_ci_u32_e64 v3, null, s11, v3, vcc_lo
	global_load_dword v4, v[6:7], off
	global_load_dword v3, v[2:3], off
	s_mov_b32 s46, exec_lo
	s_waitcnt vmcnt(1)
	v_add_nc_u32_e32 v2, v27, v4
	s_waitcnt vmcnt(0)
	v_subrev_nc_u32_e32 v8, s44, v3
	v_cmpx_lt_i32_e64 v2, v8
	s_cbranch_execz .LBB47_70
; %bb.68:                               ;   in Loop: Header=BB47_63 Depth=2
	v_ashrrev_i32_e32 v3, 31, v2
	s_mov_b32 s47, 0
	v_lshlrev_b64 v[6:7], 4, v[2:3]
	v_add_co_u32 v3, vcc_lo, s14, v6
	v_add_co_ci_u32_e64 v4, null, s15, v7, vcc_lo
	v_add_co_u32 v6, vcc_lo, s6, v6
	v_add_co_ci_u32_e64 v7, null, s7, v7, vcc_lo
	.p2align	6
.LBB47_69:                              ;   Parent Loop BB47_3 Depth=1
                                        ;     Parent Loop BB47_63 Depth=2
                                        ; =>    This Inner Loop Header: Depth=3
	global_load_dwordx4 v[9:12], v[6:7], off
	v_add_nc_u32_e32 v2, 32, v2
	v_add_co_u32 v6, vcc_lo, 0x200, v6
	v_add_co_ci_u32_e64 v7, null, 0, v7, vcc_lo
	v_cmp_ge_i32_e32 vcc_lo, v2, v8
	s_or_b32 s47, vcc_lo, s47
	s_waitcnt vmcnt(0)
	global_store_dwordx4 v[3:4], v[9:12], off
	v_add_co_u32 v3, s2, 0x200, v3
	v_add_co_ci_u32_e64 v4, null, 0, v4, s2
	s_andn2_b32 exec_lo, exec_lo, s47
	s_cbranch_execnz .LBB47_69
.LBB47_70:                              ;   in Loop: Header=BB47_63 Depth=2
	s_or_b32 exec_lo, exec_lo, s46
	s_and_b32 exec_lo, exec_lo, s1
	s_cbranch_execz .LBB47_62
; %bb.71:                               ;   in Loop: Header=BB47_63 Depth=2
	v_lshlrev_b64 v[6:7], 4, v[0:1]
	v_add_co_u32 v1, vcc_lo, s38, v6
	v_add_co_ci_u32_e64 v2, null, s39, v7, vcc_lo
	v_add_co_u32 v6, vcc_lo, s36, v6
	v_add_co_ci_u32_e64 v7, null, s37, v7, vcc_lo
	global_load_dwordx4 v[1:4], v[1:2], off
	s_waitcnt vmcnt(0)
	global_store_dwordx4 v[6:7], v[1:4], off
	s_branch .LBB47_62
.LBB47_72:
	s_endpgm
	.section	.rodata,"a",@progbits
	.p2align	6, 0x0
	.amdhsa_kernel _ZN9rocsparseL14kernel_freerunILi1024ELi32E21rocsparse_complex_numIdEiiEEvT3_S3_T2_PKS4_S6_PKS3_PKT1_21rocsparse_index_base_S6_S6_S8_PS9_SD_SC_S6_S6_S8_SD_SD_SC_SD_SD_
		.amdhsa_group_segment_fixed_size 0
		.amdhsa_private_segment_fixed_size 0
		.amdhsa_kernarg_size 168
		.amdhsa_user_sgpr_count 6
		.amdhsa_user_sgpr_private_segment_buffer 1
		.amdhsa_user_sgpr_dispatch_ptr 0
		.amdhsa_user_sgpr_queue_ptr 0
		.amdhsa_user_sgpr_kernarg_segment_ptr 1
		.amdhsa_user_sgpr_dispatch_id 0
		.amdhsa_user_sgpr_flat_scratch_init 0
		.amdhsa_user_sgpr_private_segment_size 0
		.amdhsa_wavefront_size32 1
		.amdhsa_uses_dynamic_stack 0
		.amdhsa_system_sgpr_private_segment_wavefront_offset 0
		.amdhsa_system_sgpr_workgroup_id_x 1
		.amdhsa_system_sgpr_workgroup_id_y 0
		.amdhsa_system_sgpr_workgroup_id_z 0
		.amdhsa_system_sgpr_workgroup_info 0
		.amdhsa_system_vgpr_workitem_id 0
		.amdhsa_next_free_vgpr 43
		.amdhsa_next_free_sgpr 57
		.amdhsa_reserve_vcc 1
		.amdhsa_reserve_flat_scratch 0
		.amdhsa_float_round_mode_32 0
		.amdhsa_float_round_mode_16_64 0
		.amdhsa_float_denorm_mode_32 3
		.amdhsa_float_denorm_mode_16_64 3
		.amdhsa_dx10_clamp 1
		.amdhsa_ieee_mode 1
		.amdhsa_fp16_overflow 0
		.amdhsa_workgroup_processor_mode 1
		.amdhsa_memory_ordered 1
		.amdhsa_forward_progress 1
		.amdhsa_shared_vgpr_count 0
		.amdhsa_exception_fp_ieee_invalid_op 0
		.amdhsa_exception_fp_denorm_src 0
		.amdhsa_exception_fp_ieee_div_zero 0
		.amdhsa_exception_fp_ieee_overflow 0
		.amdhsa_exception_fp_ieee_underflow 0
		.amdhsa_exception_fp_ieee_inexact 0
		.amdhsa_exception_int_div_zero 0
	.end_amdhsa_kernel
	.section	.text._ZN9rocsparseL14kernel_freerunILi1024ELi32E21rocsparse_complex_numIdEiiEEvT3_S3_T2_PKS4_S6_PKS3_PKT1_21rocsparse_index_base_S6_S6_S8_PS9_SD_SC_S6_S6_S8_SD_SD_SC_SD_SD_,"axG",@progbits,_ZN9rocsparseL14kernel_freerunILi1024ELi32E21rocsparse_complex_numIdEiiEEvT3_S3_T2_PKS4_S6_PKS3_PKT1_21rocsparse_index_base_S6_S6_S8_PS9_SD_SC_S6_S6_S8_SD_SD_SC_SD_SD_,comdat
.Lfunc_end47:
	.size	_ZN9rocsparseL14kernel_freerunILi1024ELi32E21rocsparse_complex_numIdEiiEEvT3_S3_T2_PKS4_S6_PKS3_PKT1_21rocsparse_index_base_S6_S6_S8_PS9_SD_SC_S6_S6_S8_SD_SD_SC_SD_SD_, .Lfunc_end47-_ZN9rocsparseL14kernel_freerunILi1024ELi32E21rocsparse_complex_numIdEiiEEvT3_S3_T2_PKS4_S6_PKS3_PKT1_21rocsparse_index_base_S6_S6_S8_PS9_SD_SC_S6_S6_S8_SD_SD_SC_SD_SD_
                                        ; -- End function
	.set _ZN9rocsparseL14kernel_freerunILi1024ELi32E21rocsparse_complex_numIdEiiEEvT3_S3_T2_PKS4_S6_PKS3_PKT1_21rocsparse_index_base_S6_S6_S8_PS9_SD_SC_S6_S6_S8_SD_SD_SC_SD_SD_.num_vgpr, 43
	.set _ZN9rocsparseL14kernel_freerunILi1024ELi32E21rocsparse_complex_numIdEiiEEvT3_S3_T2_PKS4_S6_PKS3_PKT1_21rocsparse_index_base_S6_S6_S8_PS9_SD_SC_S6_S6_S8_SD_SD_SC_SD_SD_.num_agpr, 0
	.set _ZN9rocsparseL14kernel_freerunILi1024ELi32E21rocsparse_complex_numIdEiiEEvT3_S3_T2_PKS4_S6_PKS3_PKT1_21rocsparse_index_base_S6_S6_S8_PS9_SD_SC_S6_S6_S8_SD_SD_SC_SD_SD_.numbered_sgpr, 57
	.set _ZN9rocsparseL14kernel_freerunILi1024ELi32E21rocsparse_complex_numIdEiiEEvT3_S3_T2_PKS4_S6_PKS3_PKT1_21rocsparse_index_base_S6_S6_S8_PS9_SD_SC_S6_S6_S8_SD_SD_SC_SD_SD_.num_named_barrier, 0
	.set _ZN9rocsparseL14kernel_freerunILi1024ELi32E21rocsparse_complex_numIdEiiEEvT3_S3_T2_PKS4_S6_PKS3_PKT1_21rocsparse_index_base_S6_S6_S8_PS9_SD_SC_S6_S6_S8_SD_SD_SC_SD_SD_.private_seg_size, 0
	.set _ZN9rocsparseL14kernel_freerunILi1024ELi32E21rocsparse_complex_numIdEiiEEvT3_S3_T2_PKS4_S6_PKS3_PKT1_21rocsparse_index_base_S6_S6_S8_PS9_SD_SC_S6_S6_S8_SD_SD_SC_SD_SD_.uses_vcc, 1
	.set _ZN9rocsparseL14kernel_freerunILi1024ELi32E21rocsparse_complex_numIdEiiEEvT3_S3_T2_PKS4_S6_PKS3_PKT1_21rocsparse_index_base_S6_S6_S8_PS9_SD_SC_S6_S6_S8_SD_SD_SC_SD_SD_.uses_flat_scratch, 0
	.set _ZN9rocsparseL14kernel_freerunILi1024ELi32E21rocsparse_complex_numIdEiiEEvT3_S3_T2_PKS4_S6_PKS3_PKT1_21rocsparse_index_base_S6_S6_S8_PS9_SD_SC_S6_S6_S8_SD_SD_SC_SD_SD_.has_dyn_sized_stack, 0
	.set _ZN9rocsparseL14kernel_freerunILi1024ELi32E21rocsparse_complex_numIdEiiEEvT3_S3_T2_PKS4_S6_PKS3_PKT1_21rocsparse_index_base_S6_S6_S8_PS9_SD_SC_S6_S6_S8_SD_SD_SC_SD_SD_.has_recursion, 0
	.set _ZN9rocsparseL14kernel_freerunILi1024ELi32E21rocsparse_complex_numIdEiiEEvT3_S3_T2_PKS4_S6_PKS3_PKT1_21rocsparse_index_base_S6_S6_S8_PS9_SD_SC_S6_S6_S8_SD_SD_SC_SD_SD_.has_indirect_call, 0
	.section	.AMDGPU.csdata,"",@progbits
; Kernel info:
; codeLenInByte = 3872
; TotalNumSgprs: 59
; NumVgprs: 43
; ScratchSize: 0
; MemoryBound: 1
; FloatMode: 240
; IeeeMode: 1
; LDSByteSize: 0 bytes/workgroup (compile time only)
; SGPRBlocks: 0
; VGPRBlocks: 5
; NumSGPRsForWavesPerEU: 59
; NumVGPRsForWavesPerEU: 43
; Occupancy: 16
; WaveLimiterHint : 1
; COMPUTE_PGM_RSRC2:SCRATCH_EN: 0
; COMPUTE_PGM_RSRC2:USER_SGPR: 6
; COMPUTE_PGM_RSRC2:TRAP_HANDLER: 0
; COMPUTE_PGM_RSRC2:TGID_X_EN: 1
; COMPUTE_PGM_RSRC2:TGID_Y_EN: 0
; COMPUTE_PGM_RSRC2:TGID_Z_EN: 0
; COMPUTE_PGM_RSRC2:TIDIG_COMP_CNT: 0
	.section	.text._ZN9rocsparseL14kernel_freerunILi1024ELi64E21rocsparse_complex_numIdEiiEEvT3_S3_T2_PKS4_S6_PKS3_PKT1_21rocsparse_index_base_S6_S6_S8_PS9_SD_SC_S6_S6_S8_SD_SD_SC_SD_SD_,"axG",@progbits,_ZN9rocsparseL14kernel_freerunILi1024ELi64E21rocsparse_complex_numIdEiiEEvT3_S3_T2_PKS4_S6_PKS3_PKT1_21rocsparse_index_base_S6_S6_S8_PS9_SD_SC_S6_S6_S8_SD_SD_SC_SD_SD_,comdat
	.globl	_ZN9rocsparseL14kernel_freerunILi1024ELi64E21rocsparse_complex_numIdEiiEEvT3_S3_T2_PKS4_S6_PKS3_PKT1_21rocsparse_index_base_S6_S6_S8_PS9_SD_SC_S6_S6_S8_SD_SD_SC_SD_SD_ ; -- Begin function _ZN9rocsparseL14kernel_freerunILi1024ELi64E21rocsparse_complex_numIdEiiEEvT3_S3_T2_PKS4_S6_PKS3_PKT1_21rocsparse_index_base_S6_S6_S8_PS9_SD_SC_S6_S6_S8_SD_SD_SC_SD_SD_
	.p2align	8
	.type	_ZN9rocsparseL14kernel_freerunILi1024ELi64E21rocsparse_complex_numIdEiiEEvT3_S3_T2_PKS4_S6_PKS3_PKT1_21rocsparse_index_base_S6_S6_S8_PS9_SD_SC_S6_S6_S8_SD_SD_SC_SD_SD_,@function
_ZN9rocsparseL14kernel_freerunILi1024ELi64E21rocsparse_complex_numIdEiiEEvT3_S3_T2_PKS4_S6_PKS3_PKT1_21rocsparse_index_base_S6_S6_S8_PS9_SD_SC_S6_S6_S8_SD_SD_SC_SD_SD_: ; @_ZN9rocsparseL14kernel_freerunILi1024ELi64E21rocsparse_complex_numIdEiiEEvT3_S3_T2_PKS4_S6_PKS3_PKT1_21rocsparse_index_base_S6_S6_S8_PS9_SD_SC_S6_S6_S8_SD_SD_SC_SD_SD_
; %bb.0:
	s_load_dwordx2 s[34:35], s[4:5], 0x0
	v_lshrrev_b32_e32 v1, 6, v0
	s_lshl_b32 s0, s6, 10
	s_mov_b32 s33, 0
	v_or_b32_e32 v24, s0, v1
	s_waitcnt lgkmcnt(0)
	v_cmp_gt_i32_e32 vcc_lo, s35, v24
	s_cmp_gt_i32 s34, 0
	s_cselect_b32 s1, -1, 0
	s_and_b32 s1, vcc_lo, s1
	s_and_saveexec_b32 s2, s1
	s_cbranch_execz .LBB48_72
; %bb.1:
	s_clause 0x8
	s_load_dword s42, s[4:5], 0x30
	s_load_dword s43, s[4:5], 0x60
	s_load_dword s44, s[4:5], 0x90
	s_load_dwordx2 s[6:7], s[4:5], 0x88
	s_load_dwordx2 s[40:41], s[4:5], 0x58
	s_load_dwordx4 s[36:39], s[4:5], 0x98
	s_load_dwordx8 s[8:15], s[4:5], 0x68
	s_load_dwordx8 s[16:23], s[4:5], 0x38
	;; [unrolled: 1-line block ×3, first 2 shown]
	v_and_b32_e32 v0, 63, v0
	s_add_i32 s4, s0, 0x400
	v_mov_b32_e32 v5, 0
	v_cmp_gt_u32_e64 s0, s4, v24
	v_cmp_eq_u32_e64 s1, 0, v0
	s_waitcnt lgkmcnt(0)
	v_subrev_nc_u32_e32 v25, s42, v0
	v_subrev_nc_u32_e32 v26, s43, v0
	v_subrev_nc_u32_e32 v27, s44, v0
	s_branch .LBB48_3
.LBB48_2:                               ;   in Loop: Header=BB48_3 Depth=1
	s_or_b32 exec_lo, exec_lo, s3
	s_add_i32 s33, s33, 1
	s_cmp_eq_u32 s33, s34
	s_cbranch_scc1 .LBB48_72
.LBB48_3:                               ; =>This Loop Header: Depth=1
                                        ;     Child Loop BB48_5 Depth 2
                                        ;       Child Loop BB48_9 Depth 3
                                        ;         Child Loop BB48_13 Depth 4
                                        ;         Child Loop BB48_43 Depth 4
                                        ;         Child Loop BB48_53 Depth 4
                                        ;     Child Loop BB48_63 Depth 2
                                        ;       Child Loop BB48_66 Depth 3
                                        ;       Child Loop BB48_69 Depth 3
	s_mov_b32 s5, 0
	s_branch .LBB48_5
.LBB48_4:                               ;   in Loop: Header=BB48_5 Depth=2
	s_or_b32 exec_lo, exec_lo, s45
	s_add_i32 s5, s5, 1
	s_cmp_eq_u32 s5, 64
	s_cbranch_scc1 .LBB48_60
.LBB48_5:                               ;   Parent Loop BB48_3 Depth=1
                                        ; =>  This Loop Header: Depth=2
                                        ;       Child Loop BB48_9 Depth 3
                                        ;         Child Loop BB48_13 Depth 4
                                        ;         Child Loop BB48_43 Depth 4
	;; [unrolled: 1-line block ×3, first 2 shown]
	v_lshl_add_u32 v6, s5, 4, v24
	s_mov_b32 s45, exec_lo
	v_cmpx_gt_i32_e64 s35, v6
	s_cbranch_execz .LBB48_4
; %bb.6:                                ;   in Loop: Header=BB48_5 Depth=2
	v_ashrrev_i32_e32 v7, 31, v6
	v_lshlrev_b64 v[0:1], 2, v[6:7]
	v_add_co_u32 v2, vcc_lo, s24, v0
	v_add_co_ci_u32_e64 v3, null, s25, v1, vcc_lo
	v_add_co_u32 v7, vcc_lo, s26, v0
	v_add_co_ci_u32_e64 v8, null, s27, v1, vcc_lo
	global_load_dword v2, v[2:3], off
	global_load_dword v3, v[7:8], off
	s_waitcnt vmcnt(1)
	v_add_nc_u32_e32 v7, v25, v2
	s_waitcnt vmcnt(0)
	v_subrev_nc_u32_e32 v28, s42, v3
	v_cmp_lt_i32_e32 vcc_lo, v7, v28
	s_and_b32 exec_lo, exec_lo, vcc_lo
	s_cbranch_execz .LBB48_4
; %bb.7:                                ;   in Loop: Header=BB48_5 Depth=2
	v_add_co_u32 v2, vcc_lo, s16, v0
	v_add_co_ci_u32_e64 v3, null, s17, v1, vcc_lo
	v_add_co_u32 v0, vcc_lo, s18, v0
	v_add_co_ci_u32_e64 v1, null, s19, v1, vcc_lo
	global_load_dword v2, v[2:3], off
	s_mov_b32 s46, 0
	global_load_dword v3, v[0:1], off
	s_waitcnt vmcnt(1)
	v_subrev_nc_u32_e32 v9, s43, v2
	s_waitcnt vmcnt(0)
	v_sub_nc_u32_e32 v29, v3, v2
	v_ashrrev_i32_e32 v10, 31, v9
	v_cmp_lt_i32_e64 s2, 0, v29
	v_lshlrev_b64 v[0:1], 2, v[9:10]
	v_lshlrev_b64 v[2:3], 4, v[9:10]
	v_add_co_u32 v30, vcc_lo, s20, v0
	v_add_co_ci_u32_e64 v31, null, s21, v1, vcc_lo
	v_add_co_u32 v32, vcc_lo, s22, v2
	v_add_co_ci_u32_e64 v33, null, s23, v3, vcc_lo
	s_branch .LBB48_9
.LBB48_8:                               ;   in Loop: Header=BB48_9 Depth=3
	s_or_b32 exec_lo, exec_lo, s47
	v_add_nc_u32_e32 v7, 64, v7
	v_cmp_ge_i32_e32 vcc_lo, v7, v28
	s_or_b32 s46, vcc_lo, s46
	s_andn2_b32 exec_lo, exec_lo, s46
	s_cbranch_execz .LBB48_4
.LBB48_9:                               ;   Parent Loop BB48_3 Depth=1
                                        ;     Parent Loop BB48_5 Depth=2
                                        ; =>    This Loop Header: Depth=3
                                        ;         Child Loop BB48_13 Depth 4
                                        ;         Child Loop BB48_43 Depth 4
	;; [unrolled: 1-line block ×3, first 2 shown]
	v_ashrrev_i32_e32 v8, 31, v7
	v_mov_b32_e32 v4, 0
	v_lshlrev_b64 v[0:1], 2, v[7:8]
	v_mov_b32_e32 v15, v4
	v_add_co_u32 v0, vcc_lo, s28, v0
	v_add_co_ci_u32_e64 v1, null, s29, v1, vcc_lo
	global_load_dword v0, v[0:1], off
	s_waitcnt vmcnt(0)
	v_subrev_nc_u32_e32 v10, s42, v0
	v_ashrrev_i32_e32 v11, 31, v10
	v_lshlrev_b64 v[0:1], 2, v[10:11]
	v_add_co_u32 v2, vcc_lo, s8, v0
	v_add_co_ci_u32_e64 v3, null, s9, v1, vcc_lo
	v_add_co_u32 v0, vcc_lo, s10, v0
	v_add_co_ci_u32_e64 v1, null, s11, v1, vcc_lo
	global_load_dword v12, v[2:3], off
	global_load_dword v13, v[0:1], off
	v_mov_b32_e32 v0, 0
	v_mov_b32_e32 v2, 0
	;; [unrolled: 1-line block ×4, first 2 shown]
	s_waitcnt vmcnt(1)
	v_subrev_nc_u32_e32 v14, s44, v12
	s_waitcnt vmcnt(0)
	v_sub_nc_u32_e32 v34, v13, v12
	s_and_saveexec_b32 s47, s2
	s_cbranch_execz .LBB48_17
; %bb.10:                               ;   in Loop: Header=BB48_9 Depth=3
	v_ashrrev_i32_e32 v15, 31, v14
	v_mov_b32_e32 v0, 0
	v_mov_b32_e32 v1, 0
	;; [unrolled: 1-line block ×3, first 2 shown]
	s_mov_b32 s48, 0
	v_lshlrev_b64 v[2:3], 2, v[14:15]
	v_lshlrev_b64 v[15:16], 4, v[14:15]
                                        ; implicit-def: $sgpr49
	v_add_co_u32 v12, vcc_lo, s12, v2
	v_add_co_ci_u32_e64 v13, null, s13, v3, vcc_lo
	v_add_co_u32 v17, vcc_lo, s14, v15
	v_mov_b32_e32 v2, 0
	v_add_co_ci_u32_e64 v18, null, s15, v16, vcc_lo
	v_mov_b32_e32 v15, 0
	v_mov_b32_e32 v3, 0
	s_branch .LBB48_13
.LBB48_11:                              ;   in Loop: Header=BB48_13 Depth=4
	s_or_b32 exec_lo, exec_lo, s3
	v_cmp_le_i32_e32 vcc_lo, v19, v20
	v_cmp_ge_i32_e64 s3, v19, v20
	v_add_co_ci_u32_e64 v4, null, 0, v4, vcc_lo
	v_add_co_ci_u32_e64 v15, null, 0, v15, s3
	s_andn2_b32 s3, s49, exec_lo
	v_cmp_ge_i32_e32 vcc_lo, v4, v29
	s_and_b32 s49, vcc_lo, exec_lo
	s_or_b32 s49, s3, s49
.LBB48_12:                              ;   in Loop: Header=BB48_13 Depth=4
	s_or_b32 exec_lo, exec_lo, s50
	s_and_b32 s3, exec_lo, s49
	s_or_b32 s48, s3, s48
	s_andn2_b32 exec_lo, exec_lo, s48
	s_cbranch_execz .LBB48_16
.LBB48_13:                              ;   Parent Loop BB48_3 Depth=1
                                        ;     Parent Loop BB48_5 Depth=2
                                        ;       Parent Loop BB48_9 Depth=3
                                        ; =>      This Inner Loop Header: Depth=4
	s_or_b32 s49, s49, exec_lo
	s_mov_b32 s50, exec_lo
	v_cmpx_lt_i32_e64 v15, v34
	s_cbranch_execz .LBB48_12
; %bb.14:                               ;   in Loop: Header=BB48_13 Depth=4
	v_mov_b32_e32 v16, v5
	v_lshlrev_b64 v[19:20], 2, v[4:5]
	s_mov_b32 s3, exec_lo
	v_lshlrev_b64 v[21:22], 2, v[15:16]
	v_add_co_u32 v19, vcc_lo, v30, v19
	v_add_co_ci_u32_e64 v20, null, v31, v20, vcc_lo
	v_add_co_u32 v21, vcc_lo, v12, v21
	v_add_co_ci_u32_e64 v22, null, v13, v22, vcc_lo
	global_load_dword v19, v[19:20], off
	global_load_dword v20, v[21:22], off
	s_waitcnt vmcnt(1)
	v_subrev_nc_u32_e32 v19, s43, v19
	s_waitcnt vmcnt(0)
	v_subrev_nc_u32_e32 v20, s44, v20
	v_cmpx_eq_u32_e64 v19, v20
	s_cbranch_execz .LBB48_11
; %bb.15:                               ;   in Loop: Header=BB48_13 Depth=4
	v_lshlrev_b64 v[21:22], 4, v[4:5]
	v_lshlrev_b64 v[35:36], 4, v[15:16]
	v_add_co_u32 v21, vcc_lo, v32, v21
	v_add_co_ci_u32_e64 v22, null, v33, v22, vcc_lo
	v_add_co_u32 v39, vcc_lo, v17, v35
	v_add_co_ci_u32_e64 v40, null, v18, v36, vcc_lo
	global_load_dwordx4 v[35:38], v[21:22], off
	global_load_dwordx4 v[39:42], v[39:40], off
	s_waitcnt vmcnt(0)
	v_fma_f64 v[0:1], v[35:36], v[39:40], v[0:1]
	v_fma_f64 v[2:3], v[37:38], v[39:40], v[2:3]
	v_fma_f64 v[0:1], -v[37:38], v[41:42], v[0:1]
	v_fma_f64 v[2:3], v[35:36], v[41:42], v[2:3]
	s_branch .LBB48_11
.LBB48_16:                              ;   in Loop: Header=BB48_9 Depth=3
	s_or_b32 exec_lo, exec_lo, s48
.LBB48_17:                              ;   in Loop: Header=BB48_9 Depth=3
	s_or_b32 exec_lo, exec_lo, s47
	v_lshlrev_b64 v[12:13], 4, v[7:8]
	v_cmp_le_i32_e64 s3, v6, v10
	s_mov_b32 s47, exec_lo
	v_add_co_u32 v12, vcc_lo, s30, v12
	v_add_co_ci_u32_e64 v13, null, s31, v13, vcc_lo
	global_load_dwordx4 v[16:19], v[12:13], off
	s_waitcnt vmcnt(0)
	v_add_f64 v[16:17], v[16:17], -v[0:1]
	v_add_f64 v[12:13], v[18:19], -v[2:3]
	v_cmpx_gt_i32_e64 v6, v10
	s_cbranch_execz .LBB48_27
; %bb.18:                               ;   in Loop: Header=BB48_9 Depth=3
	v_lshlrev_b64 v[0:1], 4, v[10:11]
	s_mov_b32 s48, exec_lo
                                        ; implicit-def: $vgpr22_vgpr23
	v_add_co_u32 v0, vcc_lo, s36, v0
	v_add_co_ci_u32_e64 v1, null, s37, v1, vcc_lo
	global_load_dwordx4 v[0:3], v[0:1], off
	s_waitcnt vmcnt(0)
	v_cmp_gt_f64_e32 vcc_lo, 0, v[0:1]
	v_xor_b32_e32 v8, 0x80000000, v1
	v_xor_b32_e32 v20, 0x80000000, v3
	v_mov_b32_e32 v18, v0
	v_cndmask_b32_e32 v19, v1, v8, vcc_lo
	v_cmp_gt_f64_e32 vcc_lo, 0, v[2:3]
	v_cndmask_b32_e32 v21, v3, v20, vcc_lo
	v_mov_b32_e32 v20, v2
	v_cmpx_ngt_f64_e32 v[18:19], v[20:21]
	s_xor_b32 s48, exec_lo, s48
	s_cbranch_execz .LBB48_22
; %bb.19:                               ;   in Loop: Header=BB48_9 Depth=3
	v_mov_b32_e32 v22, 0
	v_mov_b32_e32 v23, 0
	s_mov_b32 s49, exec_lo
	v_cmpx_neq_f64_e32 0, v[2:3]
	s_cbranch_execz .LBB48_21
; %bb.20:                               ;   in Loop: Header=BB48_9 Depth=3
	v_div_scale_f64 v[22:23], null, v[20:21], v[20:21], v[18:19]
	v_div_scale_f64 v[39:40], vcc_lo, v[18:19], v[20:21], v[18:19]
	v_rcp_f64_e32 v[35:36], v[22:23]
	v_fma_f64 v[37:38], -v[22:23], v[35:36], 1.0
	v_fma_f64 v[35:36], v[35:36], v[37:38], v[35:36]
	v_fma_f64 v[37:38], -v[22:23], v[35:36], 1.0
	v_fma_f64 v[35:36], v[35:36], v[37:38], v[35:36]
	v_mul_f64 v[37:38], v[39:40], v[35:36]
	v_fma_f64 v[22:23], -v[22:23], v[37:38], v[39:40]
	v_div_fmas_f64 v[22:23], v[22:23], v[35:36], v[37:38]
	v_div_fixup_f64 v[18:19], v[22:23], v[20:21], v[18:19]
	v_fma_f64 v[18:19], v[18:19], v[18:19], 1.0
	v_cmp_gt_f64_e32 vcc_lo, 0x10000000, v[18:19]
	v_cndmask_b32_e64 v8, 0, 0x100, vcc_lo
	v_ldexp_f64 v[18:19], v[18:19], v8
	v_cndmask_b32_e64 v8, 0, 0xffffff80, vcc_lo
	v_rsq_f64_e32 v[22:23], v[18:19]
	v_cmp_class_f64_e64 vcc_lo, v[18:19], 0x260
	v_mul_f64 v[35:36], v[18:19], v[22:23]
	v_mul_f64 v[22:23], v[22:23], 0.5
	v_fma_f64 v[37:38], -v[22:23], v[35:36], 0.5
	v_fma_f64 v[35:36], v[35:36], v[37:38], v[35:36]
	v_fma_f64 v[22:23], v[22:23], v[37:38], v[22:23]
	v_fma_f64 v[37:38], -v[35:36], v[35:36], v[18:19]
	v_fma_f64 v[35:36], v[37:38], v[22:23], v[35:36]
	v_fma_f64 v[37:38], -v[35:36], v[35:36], v[18:19]
	v_fma_f64 v[22:23], v[37:38], v[22:23], v[35:36]
	v_ldexp_f64 v[22:23], v[22:23], v8
	v_cndmask_b32_e32 v19, v23, v19, vcc_lo
	v_cndmask_b32_e32 v18, v22, v18, vcc_lo
	v_mul_f64 v[22:23], v[20:21], v[18:19]
.LBB48_21:                              ;   in Loop: Header=BB48_9 Depth=3
	s_or_b32 exec_lo, exec_lo, s49
                                        ; implicit-def: $vgpr18_vgpr19
                                        ; implicit-def: $vgpr20_vgpr21
.LBB48_22:                              ;   in Loop: Header=BB48_9 Depth=3
	s_andn2_saveexec_b32 s48, s48
	s_cbranch_execz .LBB48_24
; %bb.23:                               ;   in Loop: Header=BB48_9 Depth=3
	v_div_scale_f64 v[22:23], null, v[18:19], v[18:19], v[20:21]
	v_div_scale_f64 v[39:40], vcc_lo, v[20:21], v[18:19], v[20:21]
	v_rcp_f64_e32 v[35:36], v[22:23]
	v_fma_f64 v[37:38], -v[22:23], v[35:36], 1.0
	v_fma_f64 v[35:36], v[35:36], v[37:38], v[35:36]
	v_fma_f64 v[37:38], -v[22:23], v[35:36], 1.0
	v_fma_f64 v[35:36], v[35:36], v[37:38], v[35:36]
	v_mul_f64 v[37:38], v[39:40], v[35:36]
	v_fma_f64 v[22:23], -v[22:23], v[37:38], v[39:40]
	v_div_fmas_f64 v[22:23], v[22:23], v[35:36], v[37:38]
	v_div_fixup_f64 v[20:21], v[22:23], v[18:19], v[20:21]
	v_fma_f64 v[20:21], v[20:21], v[20:21], 1.0
	v_cmp_gt_f64_e32 vcc_lo, 0x10000000, v[20:21]
	v_cndmask_b32_e64 v8, 0, 0x100, vcc_lo
	v_ldexp_f64 v[20:21], v[20:21], v8
	v_cndmask_b32_e64 v8, 0, 0xffffff80, vcc_lo
	v_rsq_f64_e32 v[22:23], v[20:21]
	v_cmp_class_f64_e64 vcc_lo, v[20:21], 0x260
	v_mul_f64 v[35:36], v[20:21], v[22:23]
	v_mul_f64 v[22:23], v[22:23], 0.5
	v_fma_f64 v[37:38], -v[22:23], v[35:36], 0.5
	v_fma_f64 v[35:36], v[35:36], v[37:38], v[35:36]
	v_fma_f64 v[22:23], v[22:23], v[37:38], v[22:23]
	v_fma_f64 v[37:38], -v[35:36], v[35:36], v[20:21]
	v_fma_f64 v[35:36], v[37:38], v[22:23], v[35:36]
	v_fma_f64 v[37:38], -v[35:36], v[35:36], v[20:21]
	v_fma_f64 v[22:23], v[37:38], v[22:23], v[35:36]
	v_ldexp_f64 v[22:23], v[22:23], v8
	v_cndmask_b32_e32 v21, v23, v21, vcc_lo
	v_cndmask_b32_e32 v20, v22, v20, vcc_lo
	v_mul_f64 v[22:23], v[18:19], v[20:21]
.LBB48_24:                              ;   in Loop: Header=BB48_9 Depth=3
	s_or_b32 exec_lo, exec_lo, s48
	v_mov_b32_e32 v18, 0
	v_mov_b32_e32 v20, 0
	;; [unrolled: 1-line block ×4, first 2 shown]
	s_mov_b32 s48, exec_lo
	v_cmpx_lt_f64_e32 0, v[22:23]
	s_cbranch_execz .LBB48_26
; %bb.25:                               ;   in Loop: Header=BB48_9 Depth=3
	v_mul_f64 v[18:19], v[2:3], v[2:3]
	v_fma_f64 v[18:19], v[0:1], v[0:1], v[18:19]
	v_div_scale_f64 v[20:21], null, v[18:19], v[18:19], 1.0
	v_div_scale_f64 v[37:38], vcc_lo, 1.0, v[18:19], 1.0
	v_rcp_f64_e32 v[22:23], v[20:21]
	v_fma_f64 v[35:36], -v[20:21], v[22:23], 1.0
	v_fma_f64 v[22:23], v[22:23], v[35:36], v[22:23]
	v_fma_f64 v[35:36], -v[20:21], v[22:23], 1.0
	v_fma_f64 v[22:23], v[22:23], v[35:36], v[22:23]
	v_mul_f64 v[35:36], v[37:38], v[22:23]
	v_fma_f64 v[20:21], -v[20:21], v[35:36], v[37:38]
	v_mul_f64 v[37:38], v[12:13], v[2:3]
	v_mul_f64 v[2:3], v[2:3], -v[16:17]
	v_div_fmas_f64 v[20:21], v[20:21], v[22:23], v[35:36]
	v_fma_f64 v[16:17], v[16:17], v[0:1], v[37:38]
	v_fma_f64 v[0:1], v[12:13], v[0:1], v[2:3]
	v_div_fixup_f64 v[20:21], v[20:21], v[18:19], 1.0
	v_mul_f64 v[18:19], v[16:17], v[20:21]
	v_mul_f64 v[20:21], v[0:1], v[20:21]
.LBB48_26:                              ;   in Loop: Header=BB48_9 Depth=3
	s_or_b32 exec_lo, exec_lo, s48
	v_mov_b32_e32 v16, v18
	v_mov_b32_e32 v12, v20
	v_mov_b32_e32 v17, v19
	v_mov_b32_e32 v13, v21
.LBB48_27:                              ;   in Loop: Header=BB48_9 Depth=3
	s_or_b32 exec_lo, exec_lo, s47
	v_cmp_gt_f64_e32 vcc_lo, 0, v[16:17]
	v_xor_b32_e32 v1, 0x80000000, v17
	v_xor_b32_e32 v2, 0x80000000, v13
	v_mov_b32_e32 v0, v16
	s_mov_b32 s47, exec_lo
                                        ; implicit-def: $vgpr18_vgpr19
	v_cndmask_b32_e32 v1, v17, v1, vcc_lo
	v_cmp_gt_f64_e32 vcc_lo, 0, v[12:13]
	v_cndmask_b32_e32 v3, v13, v2, vcc_lo
	v_mov_b32_e32 v2, v12
	v_cmpx_ngt_f64_e32 v[0:1], v[2:3]
	s_xor_b32 s47, exec_lo, s47
	s_cbranch_execnz .LBB48_30
; %bb.28:                               ;   in Loop: Header=BB48_9 Depth=3
	s_andn2_saveexec_b32 s47, s47
	s_cbranch_execnz .LBB48_33
.LBB48_29:                              ;   in Loop: Header=BB48_9 Depth=3
	s_or_b32 exec_lo, exec_lo, s47
	v_cmp_class_f64_e64 s48, v[18:19], 0x1f8
	s_and_saveexec_b32 s47, s48
	s_cbranch_execz .LBB48_8
	s_branch .LBB48_34
.LBB48_30:                              ;   in Loop: Header=BB48_9 Depth=3
	v_mov_b32_e32 v18, 0
	v_mov_b32_e32 v19, 0
	s_mov_b32 s48, exec_lo
	v_cmpx_neq_f64_e32 0, v[12:13]
	s_cbranch_execz .LBB48_32
; %bb.31:                               ;   in Loop: Header=BB48_9 Depth=3
	v_div_scale_f64 v[18:19], null, v[2:3], v[2:3], v[0:1]
	v_div_scale_f64 v[35:36], vcc_lo, v[0:1], v[2:3], v[0:1]
	v_rcp_f64_e32 v[20:21], v[18:19]
	v_fma_f64 v[22:23], -v[18:19], v[20:21], 1.0
	v_fma_f64 v[20:21], v[20:21], v[22:23], v[20:21]
	v_fma_f64 v[22:23], -v[18:19], v[20:21], 1.0
	v_fma_f64 v[20:21], v[20:21], v[22:23], v[20:21]
	v_mul_f64 v[22:23], v[35:36], v[20:21]
	v_fma_f64 v[18:19], -v[18:19], v[22:23], v[35:36]
	v_div_fmas_f64 v[18:19], v[18:19], v[20:21], v[22:23]
	v_div_fixup_f64 v[0:1], v[18:19], v[2:3], v[0:1]
	v_fma_f64 v[0:1], v[0:1], v[0:1], 1.0
	v_cmp_gt_f64_e32 vcc_lo, 0x10000000, v[0:1]
	v_cndmask_b32_e64 v8, 0, 0x100, vcc_lo
	v_ldexp_f64 v[0:1], v[0:1], v8
	v_cndmask_b32_e64 v8, 0, 0xffffff80, vcc_lo
	v_rsq_f64_e32 v[18:19], v[0:1]
	v_cmp_class_f64_e64 vcc_lo, v[0:1], 0x260
	v_mul_f64 v[20:21], v[0:1], v[18:19]
	v_mul_f64 v[18:19], v[18:19], 0.5
	v_fma_f64 v[22:23], -v[18:19], v[20:21], 0.5
	v_fma_f64 v[20:21], v[20:21], v[22:23], v[20:21]
	v_fma_f64 v[18:19], v[18:19], v[22:23], v[18:19]
	v_fma_f64 v[22:23], -v[20:21], v[20:21], v[0:1]
	v_fma_f64 v[20:21], v[22:23], v[18:19], v[20:21]
	v_fma_f64 v[22:23], -v[20:21], v[20:21], v[0:1]
	v_fma_f64 v[18:19], v[22:23], v[18:19], v[20:21]
	v_ldexp_f64 v[18:19], v[18:19], v8
	v_cndmask_b32_e32 v1, v19, v1, vcc_lo
	v_cndmask_b32_e32 v0, v18, v0, vcc_lo
	v_mul_f64 v[18:19], v[2:3], v[0:1]
.LBB48_32:                              ;   in Loop: Header=BB48_9 Depth=3
	s_or_b32 exec_lo, exec_lo, s48
                                        ; implicit-def: $vgpr0_vgpr1
                                        ; implicit-def: $vgpr2_vgpr3
	s_andn2_saveexec_b32 s47, s47
	s_cbranch_execz .LBB48_29
.LBB48_33:                              ;   in Loop: Header=BB48_9 Depth=3
	v_div_scale_f64 v[18:19], null, v[0:1], v[0:1], v[2:3]
	v_div_scale_f64 v[35:36], vcc_lo, v[2:3], v[0:1], v[2:3]
	v_rcp_f64_e32 v[20:21], v[18:19]
	v_fma_f64 v[22:23], -v[18:19], v[20:21], 1.0
	v_fma_f64 v[20:21], v[20:21], v[22:23], v[20:21]
	v_fma_f64 v[22:23], -v[18:19], v[20:21], 1.0
	v_fma_f64 v[20:21], v[20:21], v[22:23], v[20:21]
	v_mul_f64 v[22:23], v[35:36], v[20:21]
	v_fma_f64 v[18:19], -v[18:19], v[22:23], v[35:36]
	v_div_fmas_f64 v[18:19], v[18:19], v[20:21], v[22:23]
	v_div_fixup_f64 v[2:3], v[18:19], v[0:1], v[2:3]
	v_fma_f64 v[2:3], v[2:3], v[2:3], 1.0
	v_cmp_gt_f64_e32 vcc_lo, 0x10000000, v[2:3]
	v_cndmask_b32_e64 v8, 0, 0x100, vcc_lo
	v_ldexp_f64 v[2:3], v[2:3], v8
	v_cndmask_b32_e64 v8, 0, 0xffffff80, vcc_lo
	v_rsq_f64_e32 v[18:19], v[2:3]
	v_cmp_class_f64_e64 vcc_lo, v[2:3], 0x260
	v_mul_f64 v[20:21], v[2:3], v[18:19]
	v_mul_f64 v[18:19], v[18:19], 0.5
	v_fma_f64 v[22:23], -v[18:19], v[20:21], 0.5
	v_fma_f64 v[20:21], v[20:21], v[22:23], v[20:21]
	v_fma_f64 v[18:19], v[18:19], v[22:23], v[18:19]
	v_fma_f64 v[22:23], -v[20:21], v[20:21], v[2:3]
	v_fma_f64 v[20:21], v[22:23], v[18:19], v[20:21]
	v_fma_f64 v[22:23], -v[20:21], v[20:21], v[2:3]
	v_fma_f64 v[18:19], v[22:23], v[18:19], v[20:21]
	v_ldexp_f64 v[18:19], v[18:19], v8
	v_cndmask_b32_e32 v3, v19, v3, vcc_lo
	v_cndmask_b32_e32 v2, v18, v2, vcc_lo
	v_mul_f64 v[18:19], v[0:1], v[2:3]
	s_or_b32 exec_lo, exec_lo, s47
	v_cmp_class_f64_e64 s48, v[18:19], 0x1f8
	s_and_saveexec_b32 s47, s48
	s_cbranch_execz .LBB48_8
.LBB48_34:                              ;   in Loop: Header=BB48_9 Depth=3
	s_mov_b32 s48, 0
                                        ; implicit-def: $vgpr0_vgpr1
	s_and_saveexec_b32 s49, s3
	s_xor_b32 s3, exec_lo, s49
	s_cbranch_execnz .LBB48_37
; %bb.35:                               ;   in Loop: Header=BB48_9 Depth=3
	s_andn2_saveexec_b32 s3, s3
	s_cbranch_execnz .LBB48_50
.LBB48_36:                              ;   in Loop: Header=BB48_9 Depth=3
	s_or_b32 exec_lo, exec_lo, s3
	s_and_b32 exec_lo, exec_lo, s48
	s_cbranch_execz .LBB48_8
	s_branch .LBB48_59
.LBB48_37:                              ;   in Loop: Header=BB48_9 Depth=3
	s_mov_b32 s49, exec_lo
                                        ; implicit-def: $vgpr0_vgpr1
	v_cmpx_ge_i32_e64 v6, v10
	s_xor_b32 s49, exec_lo, s49
	s_cbranch_execz .LBB48_39
; %bb.38:                               ;   in Loop: Header=BB48_9 Depth=3
	v_lshlrev_b64 v[0:1], 4, v[10:11]
	s_mov_b32 s48, exec_lo
                                        ; implicit-def: $vgpr15
                                        ; implicit-def: $vgpr34
                                        ; implicit-def: $vgpr14
	v_add_co_u32 v0, vcc_lo, s38, v0
	v_add_co_ci_u32_e64 v1, null, s39, v1, vcc_lo
	global_store_dwordx2 v[0:1], v[16:17], off
                                        ; implicit-def: $vgpr16_vgpr17
.LBB48_39:                              ;   in Loop: Header=BB48_9 Depth=3
	s_andn2_saveexec_b32 s49, s49
	s_cbranch_execz .LBB48_49
; %bb.40:                               ;   in Loop: Header=BB48_9 Depth=3
	s_mov_b32 s51, s48
	s_mov_b32 s50, exec_lo
                                        ; implicit-def: $vgpr0_vgpr1
	v_cmpx_lt_i32_e64 v15, v34
	s_cbranch_execz .LBB48_48
; %bb.41:                               ;   in Loop: Header=BB48_9 Depth=3
	s_mov_b32 s52, 0
                                        ; implicit-def: $sgpr51
                                        ; implicit-def: $sgpr54
                                        ; implicit-def: $sgpr53
	s_inst_prefetch 0x1
	s_branch .LBB48_43
	.p2align	6
.LBB48_42:                              ;   in Loop: Header=BB48_43 Depth=4
	s_or_b32 exec_lo, exec_lo, s55
	s_and_b32 s55, exec_lo, s54
	s_or_b32 s52, s55, s52
	s_andn2_b32 s51, s51, exec_lo
	s_and_b32 s55, s53, exec_lo
	s_or_b32 s51, s51, s55
	s_andn2_b32 exec_lo, exec_lo, s52
	s_cbranch_execz .LBB48_45
.LBB48_43:                              ;   Parent Loop BB48_3 Depth=1
                                        ;     Parent Loop BB48_5 Depth=2
                                        ;       Parent Loop BB48_9 Depth=3
                                        ; =>      This Inner Loop Header: Depth=4
	v_add_nc_u32_e32 v2, v14, v15
	s_or_b32 s53, s53, exec_lo
	s_or_b32 s54, s54, exec_lo
	s_mov_b32 s55, exec_lo
	v_ashrrev_i32_e32 v3, 31, v2
	v_lshlrev_b64 v[0:1], 2, v[2:3]
	v_add_co_u32 v0, vcc_lo, s12, v0
	v_add_co_ci_u32_e64 v1, null, s13, v1, vcc_lo
	global_load_dword v0, v[0:1], off
	s_waitcnt vmcnt(0)
	v_subrev_nc_u32_e32 v0, s44, v0
	v_cmpx_ne_u32_e64 v0, v6
	s_cbranch_execz .LBB48_42
; %bb.44:                               ;   in Loop: Header=BB48_43 Depth=4
	v_add_nc_u32_e32 v15, 1, v15
	s_andn2_b32 s54, s54, exec_lo
	s_andn2_b32 s53, s53, exec_lo
	v_cmp_ge_i32_e32 vcc_lo, v15, v34
	s_and_b32 s56, vcc_lo, exec_lo
	s_or_b32 s54, s54, s56
	s_branch .LBB48_42
.LBB48_45:                              ;   in Loop: Header=BB48_9 Depth=3
	s_inst_prefetch 0x2
	s_or_b32 exec_lo, exec_lo, s52
	s_mov_b32 s52, s48
                                        ; implicit-def: $vgpr0_vgpr1
	s_and_saveexec_b32 s53, s51
	s_xor_b32 s51, exec_lo, s53
	s_cbranch_execz .LBB48_47
; %bb.46:                               ;   in Loop: Header=BB48_9 Depth=3
	v_lshlrev_b64 v[0:1], 4, v[2:3]
	s_or_b32 s52, s48, exec_lo
	v_add_co_u32 v0, vcc_lo, s6, v0
	v_add_co_ci_u32_e64 v1, null, s7, v1, vcc_lo
	global_store_dwordx2 v[0:1], v[16:17], off
.LBB48_47:                              ;   in Loop: Header=BB48_9 Depth=3
	s_or_b32 exec_lo, exec_lo, s51
	s_andn2_b32 s51, s48, exec_lo
	s_and_b32 s52, s52, exec_lo
	s_or_b32 s51, s51, s52
.LBB48_48:                              ;   in Loop: Header=BB48_9 Depth=3
	s_or_b32 exec_lo, exec_lo, s50
	s_andn2_b32 s48, s48, exec_lo
	s_and_b32 s50, s51, exec_lo
	s_or_b32 s48, s48, s50
.LBB48_49:                              ;   in Loop: Header=BB48_9 Depth=3
	s_or_b32 exec_lo, exec_lo, s49
	s_and_b32 s48, s48, exec_lo
                                        ; implicit-def: $vgpr16_vgpr17
                                        ; implicit-def: $vgpr10_vgpr11
	s_andn2_saveexec_b32 s3, s3
	s_cbranch_execz .LBB48_36
.LBB48_50:                              ;   in Loop: Header=BB48_9 Depth=3
	s_mov_b32 s50, s48
	s_mov_b32 s49, exec_lo
                                        ; implicit-def: $vgpr0_vgpr1
	v_cmpx_lt_i32_e64 v4, v29
	s_cbranch_execz .LBB48_58
; %bb.51:                               ;   in Loop: Header=BB48_9 Depth=3
	s_mov_b32 s51, 0
                                        ; implicit-def: $sgpr50
                                        ; implicit-def: $sgpr53
                                        ; implicit-def: $sgpr52
	s_inst_prefetch 0x1
	s_branch .LBB48_53
	.p2align	6
.LBB48_52:                              ;   in Loop: Header=BB48_53 Depth=4
	s_or_b32 exec_lo, exec_lo, s54
	s_and_b32 s54, exec_lo, s53
	s_or_b32 s51, s54, s51
	s_andn2_b32 s50, s50, exec_lo
	s_and_b32 s54, s52, exec_lo
	s_or_b32 s50, s50, s54
	s_andn2_b32 exec_lo, exec_lo, s51
	s_cbranch_execz .LBB48_55
.LBB48_53:                              ;   Parent Loop BB48_3 Depth=1
                                        ;     Parent Loop BB48_5 Depth=2
                                        ;       Parent Loop BB48_9 Depth=3
                                        ; =>      This Inner Loop Header: Depth=4
	v_add_nc_u32_e32 v2, v9, v4
	s_or_b32 s52, s52, exec_lo
	s_or_b32 s53, s53, exec_lo
	s_mov_b32 s54, exec_lo
	v_ashrrev_i32_e32 v3, 31, v2
	v_lshlrev_b64 v[0:1], 2, v[2:3]
	v_add_co_u32 v0, vcc_lo, s20, v0
	v_add_co_ci_u32_e64 v1, null, s21, v1, vcc_lo
	global_load_dword v0, v[0:1], off
	s_waitcnt vmcnt(0)
	v_subrev_nc_u32_e32 v0, s43, v0
	v_cmpx_ne_u32_e64 v0, v10
	s_cbranch_execz .LBB48_52
; %bb.54:                               ;   in Loop: Header=BB48_53 Depth=4
	v_add_nc_u32_e32 v4, 1, v4
	s_andn2_b32 s53, s53, exec_lo
	s_andn2_b32 s52, s52, exec_lo
	v_cmp_ge_i32_e32 vcc_lo, v4, v29
	s_and_b32 s55, vcc_lo, exec_lo
	s_or_b32 s53, s53, s55
	s_branch .LBB48_52
.LBB48_55:                              ;   in Loop: Header=BB48_9 Depth=3
	s_inst_prefetch 0x2
	s_or_b32 exec_lo, exec_lo, s51
	s_mov_b32 s51, s48
                                        ; implicit-def: $vgpr0_vgpr1
	s_and_saveexec_b32 s52, s50
	s_xor_b32 s50, exec_lo, s52
	s_cbranch_execz .LBB48_57
; %bb.56:                               ;   in Loop: Header=BB48_9 Depth=3
	v_lshlrev_b64 v[0:1], 4, v[2:3]
	s_or_b32 s51, s48, exec_lo
	v_add_co_u32 v0, vcc_lo, s40, v0
	v_add_co_ci_u32_e64 v1, null, s41, v1, vcc_lo
	global_store_dwordx2 v[0:1], v[16:17], off
.LBB48_57:                              ;   in Loop: Header=BB48_9 Depth=3
	s_or_b32 exec_lo, exec_lo, s50
	s_andn2_b32 s50, s48, exec_lo
	s_and_b32 s51, s51, exec_lo
	s_or_b32 s50, s50, s51
.LBB48_58:                              ;   in Loop: Header=BB48_9 Depth=3
	s_or_b32 exec_lo, exec_lo, s49
	s_andn2_b32 s48, s48, exec_lo
	s_and_b32 s49, s50, exec_lo
	s_or_b32 s48, s48, s49
	s_or_b32 exec_lo, exec_lo, s3
	s_and_b32 exec_lo, exec_lo, s48
	s_cbranch_execz .LBB48_8
.LBB48_59:                              ;   in Loop: Header=BB48_9 Depth=3
	global_store_dwordx2 v[0:1], v[12:13], off offset:8
	s_branch .LBB48_8
.LBB48_60:                              ;   in Loop: Header=BB48_3 Depth=1
	s_and_saveexec_b32 s3, s0
	s_cbranch_execz .LBB48_2
; %bb.61:                               ;   in Loop: Header=BB48_3 Depth=1
	v_mov_b32_e32 v0, v24
	s_mov_b32 s5, 0
	s_branch .LBB48_63
.LBB48_62:                              ;   in Loop: Header=BB48_63 Depth=2
	s_or_b32 exec_lo, exec_lo, s45
	v_add_nc_u32_e32 v0, 16, v0
	v_cmp_le_u32_e32 vcc_lo, s4, v0
	s_or_b32 s5, vcc_lo, s5
	s_andn2_b32 exec_lo, exec_lo, s5
	s_cbranch_execz .LBB48_2
.LBB48_63:                              ;   Parent Loop BB48_3 Depth=1
                                        ; =>  This Loop Header: Depth=2
                                        ;       Child Loop BB48_66 Depth 3
                                        ;       Child Loop BB48_69 Depth 3
	s_mov_b32 s45, exec_lo
	v_cmpx_gt_i32_e64 s35, v0
	s_cbranch_execz .LBB48_62
; %bb.64:                               ;   in Loop: Header=BB48_63 Depth=2
	v_ashrrev_i32_e32 v1, 31, v0
	s_mov_b32 s46, exec_lo
	v_lshlrev_b64 v[2:3], 2, v[0:1]
	v_add_co_u32 v6, vcc_lo, s16, v2
	v_add_co_ci_u32_e64 v7, null, s17, v3, vcc_lo
	v_add_co_u32 v8, vcc_lo, s18, v2
	v_add_co_ci_u32_e64 v9, null, s19, v3, vcc_lo
	global_load_dword v4, v[6:7], off
	global_load_dword v7, v[8:9], off
	s_waitcnt vmcnt(1)
	v_add_nc_u32_e32 v6, v26, v4
	s_waitcnt vmcnt(0)
	v_subrev_nc_u32_e32 v4, s43, v7
	v_cmpx_lt_i32_e64 v6, v4
	s_cbranch_execz .LBB48_67
; %bb.65:                               ;   in Loop: Header=BB48_63 Depth=2
	v_ashrrev_i32_e32 v7, 31, v6
	s_mov_b32 s47, 0
	v_lshlrev_b64 v[9:10], 4, v[6:7]
	v_add_co_u32 v7, vcc_lo, s22, v9
	v_add_co_ci_u32_e64 v8, null, s23, v10, vcc_lo
	v_add_co_u32 v9, vcc_lo, s40, v9
	v_add_co_ci_u32_e64 v10, null, s41, v10, vcc_lo
	.p2align	6
.LBB48_66:                              ;   Parent Loop BB48_3 Depth=1
                                        ;     Parent Loop BB48_63 Depth=2
                                        ; =>    This Inner Loop Header: Depth=3
	global_load_dwordx4 v[11:14], v[9:10], off
	v_add_nc_u32_e32 v6, 64, v6
	v_add_co_u32 v9, vcc_lo, 0x400, v9
	v_add_co_ci_u32_e64 v10, null, 0, v10, vcc_lo
	v_cmp_ge_i32_e32 vcc_lo, v6, v4
	s_or_b32 s47, vcc_lo, s47
	s_waitcnt vmcnt(0)
	global_store_dwordx4 v[7:8], v[11:14], off
	v_add_co_u32 v7, s2, 0x400, v7
	v_add_co_ci_u32_e64 v8, null, 0, v8, s2
	s_andn2_b32 exec_lo, exec_lo, s47
	s_cbranch_execnz .LBB48_66
.LBB48_67:                              ;   in Loop: Header=BB48_63 Depth=2
	s_or_b32 exec_lo, exec_lo, s46
	v_add_co_u32 v6, vcc_lo, s8, v2
	v_add_co_ci_u32_e64 v7, null, s9, v3, vcc_lo
	v_add_co_u32 v2, vcc_lo, s10, v2
	v_add_co_ci_u32_e64 v3, null, s11, v3, vcc_lo
	global_load_dword v4, v[6:7], off
	global_load_dword v3, v[2:3], off
	s_mov_b32 s46, exec_lo
	s_waitcnt vmcnt(1)
	v_add_nc_u32_e32 v2, v27, v4
	s_waitcnt vmcnt(0)
	v_subrev_nc_u32_e32 v8, s44, v3
	v_cmpx_lt_i32_e64 v2, v8
	s_cbranch_execz .LBB48_70
; %bb.68:                               ;   in Loop: Header=BB48_63 Depth=2
	v_ashrrev_i32_e32 v3, 31, v2
	s_mov_b32 s47, 0
	v_lshlrev_b64 v[6:7], 4, v[2:3]
	v_add_co_u32 v3, vcc_lo, s14, v6
	v_add_co_ci_u32_e64 v4, null, s15, v7, vcc_lo
	v_add_co_u32 v6, vcc_lo, s6, v6
	v_add_co_ci_u32_e64 v7, null, s7, v7, vcc_lo
	.p2align	6
.LBB48_69:                              ;   Parent Loop BB48_3 Depth=1
                                        ;     Parent Loop BB48_63 Depth=2
                                        ; =>    This Inner Loop Header: Depth=3
	global_load_dwordx4 v[9:12], v[6:7], off
	v_add_nc_u32_e32 v2, 64, v2
	v_add_co_u32 v6, vcc_lo, 0x400, v6
	v_add_co_ci_u32_e64 v7, null, 0, v7, vcc_lo
	v_cmp_ge_i32_e32 vcc_lo, v2, v8
	s_or_b32 s47, vcc_lo, s47
	s_waitcnt vmcnt(0)
	global_store_dwordx4 v[3:4], v[9:12], off
	v_add_co_u32 v3, s2, 0x400, v3
	v_add_co_ci_u32_e64 v4, null, 0, v4, s2
	s_andn2_b32 exec_lo, exec_lo, s47
	s_cbranch_execnz .LBB48_69
.LBB48_70:                              ;   in Loop: Header=BB48_63 Depth=2
	s_or_b32 exec_lo, exec_lo, s46
	s_and_b32 exec_lo, exec_lo, s1
	s_cbranch_execz .LBB48_62
; %bb.71:                               ;   in Loop: Header=BB48_63 Depth=2
	v_lshlrev_b64 v[6:7], 4, v[0:1]
	v_add_co_u32 v1, vcc_lo, s38, v6
	v_add_co_ci_u32_e64 v2, null, s39, v7, vcc_lo
	v_add_co_u32 v6, vcc_lo, s36, v6
	v_add_co_ci_u32_e64 v7, null, s37, v7, vcc_lo
	global_load_dwordx4 v[1:4], v[1:2], off
	s_waitcnt vmcnt(0)
	global_store_dwordx4 v[6:7], v[1:4], off
	s_branch .LBB48_62
.LBB48_72:
	s_endpgm
	.section	.rodata,"a",@progbits
	.p2align	6, 0x0
	.amdhsa_kernel _ZN9rocsparseL14kernel_freerunILi1024ELi64E21rocsparse_complex_numIdEiiEEvT3_S3_T2_PKS4_S6_PKS3_PKT1_21rocsparse_index_base_S6_S6_S8_PS9_SD_SC_S6_S6_S8_SD_SD_SC_SD_SD_
		.amdhsa_group_segment_fixed_size 0
		.amdhsa_private_segment_fixed_size 0
		.amdhsa_kernarg_size 168
		.amdhsa_user_sgpr_count 6
		.amdhsa_user_sgpr_private_segment_buffer 1
		.amdhsa_user_sgpr_dispatch_ptr 0
		.amdhsa_user_sgpr_queue_ptr 0
		.amdhsa_user_sgpr_kernarg_segment_ptr 1
		.amdhsa_user_sgpr_dispatch_id 0
		.amdhsa_user_sgpr_flat_scratch_init 0
		.amdhsa_user_sgpr_private_segment_size 0
		.amdhsa_wavefront_size32 1
		.amdhsa_uses_dynamic_stack 0
		.amdhsa_system_sgpr_private_segment_wavefront_offset 0
		.amdhsa_system_sgpr_workgroup_id_x 1
		.amdhsa_system_sgpr_workgroup_id_y 0
		.amdhsa_system_sgpr_workgroup_id_z 0
		.amdhsa_system_sgpr_workgroup_info 0
		.amdhsa_system_vgpr_workitem_id 0
		.amdhsa_next_free_vgpr 43
		.amdhsa_next_free_sgpr 57
		.amdhsa_reserve_vcc 1
		.amdhsa_reserve_flat_scratch 0
		.amdhsa_float_round_mode_32 0
		.amdhsa_float_round_mode_16_64 0
		.amdhsa_float_denorm_mode_32 3
		.amdhsa_float_denorm_mode_16_64 3
		.amdhsa_dx10_clamp 1
		.amdhsa_ieee_mode 1
		.amdhsa_fp16_overflow 0
		.amdhsa_workgroup_processor_mode 1
		.amdhsa_memory_ordered 1
		.amdhsa_forward_progress 1
		.amdhsa_shared_vgpr_count 0
		.amdhsa_exception_fp_ieee_invalid_op 0
		.amdhsa_exception_fp_denorm_src 0
		.amdhsa_exception_fp_ieee_div_zero 0
		.amdhsa_exception_fp_ieee_overflow 0
		.amdhsa_exception_fp_ieee_underflow 0
		.amdhsa_exception_fp_ieee_inexact 0
		.amdhsa_exception_int_div_zero 0
	.end_amdhsa_kernel
	.section	.text._ZN9rocsparseL14kernel_freerunILi1024ELi64E21rocsparse_complex_numIdEiiEEvT3_S3_T2_PKS4_S6_PKS3_PKT1_21rocsparse_index_base_S6_S6_S8_PS9_SD_SC_S6_S6_S8_SD_SD_SC_SD_SD_,"axG",@progbits,_ZN9rocsparseL14kernel_freerunILi1024ELi64E21rocsparse_complex_numIdEiiEEvT3_S3_T2_PKS4_S6_PKS3_PKT1_21rocsparse_index_base_S6_S6_S8_PS9_SD_SC_S6_S6_S8_SD_SD_SC_SD_SD_,comdat
.Lfunc_end48:
	.size	_ZN9rocsparseL14kernel_freerunILi1024ELi64E21rocsparse_complex_numIdEiiEEvT3_S3_T2_PKS4_S6_PKS3_PKT1_21rocsparse_index_base_S6_S6_S8_PS9_SD_SC_S6_S6_S8_SD_SD_SC_SD_SD_, .Lfunc_end48-_ZN9rocsparseL14kernel_freerunILi1024ELi64E21rocsparse_complex_numIdEiiEEvT3_S3_T2_PKS4_S6_PKS3_PKT1_21rocsparse_index_base_S6_S6_S8_PS9_SD_SC_S6_S6_S8_SD_SD_SC_SD_SD_
                                        ; -- End function
	.set _ZN9rocsparseL14kernel_freerunILi1024ELi64E21rocsparse_complex_numIdEiiEEvT3_S3_T2_PKS4_S6_PKS3_PKT1_21rocsparse_index_base_S6_S6_S8_PS9_SD_SC_S6_S6_S8_SD_SD_SC_SD_SD_.num_vgpr, 43
	.set _ZN9rocsparseL14kernel_freerunILi1024ELi64E21rocsparse_complex_numIdEiiEEvT3_S3_T2_PKS4_S6_PKS3_PKT1_21rocsparse_index_base_S6_S6_S8_PS9_SD_SC_S6_S6_S8_SD_SD_SC_SD_SD_.num_agpr, 0
	.set _ZN9rocsparseL14kernel_freerunILi1024ELi64E21rocsparse_complex_numIdEiiEEvT3_S3_T2_PKS4_S6_PKS3_PKT1_21rocsparse_index_base_S6_S6_S8_PS9_SD_SC_S6_S6_S8_SD_SD_SC_SD_SD_.numbered_sgpr, 57
	.set _ZN9rocsparseL14kernel_freerunILi1024ELi64E21rocsparse_complex_numIdEiiEEvT3_S3_T2_PKS4_S6_PKS3_PKT1_21rocsparse_index_base_S6_S6_S8_PS9_SD_SC_S6_S6_S8_SD_SD_SC_SD_SD_.num_named_barrier, 0
	.set _ZN9rocsparseL14kernel_freerunILi1024ELi64E21rocsparse_complex_numIdEiiEEvT3_S3_T2_PKS4_S6_PKS3_PKT1_21rocsparse_index_base_S6_S6_S8_PS9_SD_SC_S6_S6_S8_SD_SD_SC_SD_SD_.private_seg_size, 0
	.set _ZN9rocsparseL14kernel_freerunILi1024ELi64E21rocsparse_complex_numIdEiiEEvT3_S3_T2_PKS4_S6_PKS3_PKT1_21rocsparse_index_base_S6_S6_S8_PS9_SD_SC_S6_S6_S8_SD_SD_SC_SD_SD_.uses_vcc, 1
	.set _ZN9rocsparseL14kernel_freerunILi1024ELi64E21rocsparse_complex_numIdEiiEEvT3_S3_T2_PKS4_S6_PKS3_PKT1_21rocsparse_index_base_S6_S6_S8_PS9_SD_SC_S6_S6_S8_SD_SD_SC_SD_SD_.uses_flat_scratch, 0
	.set _ZN9rocsparseL14kernel_freerunILi1024ELi64E21rocsparse_complex_numIdEiiEEvT3_S3_T2_PKS4_S6_PKS3_PKT1_21rocsparse_index_base_S6_S6_S8_PS9_SD_SC_S6_S6_S8_SD_SD_SC_SD_SD_.has_dyn_sized_stack, 0
	.set _ZN9rocsparseL14kernel_freerunILi1024ELi64E21rocsparse_complex_numIdEiiEEvT3_S3_T2_PKS4_S6_PKS3_PKT1_21rocsparse_index_base_S6_S6_S8_PS9_SD_SC_S6_S6_S8_SD_SD_SC_SD_SD_.has_recursion, 0
	.set _ZN9rocsparseL14kernel_freerunILi1024ELi64E21rocsparse_complex_numIdEiiEEvT3_S3_T2_PKS4_S6_PKS3_PKT1_21rocsparse_index_base_S6_S6_S8_PS9_SD_SC_S6_S6_S8_SD_SD_SC_SD_SD_.has_indirect_call, 0
	.section	.AMDGPU.csdata,"",@progbits
; Kernel info:
; codeLenInByte = 3872
; TotalNumSgprs: 59
; NumVgprs: 43
; ScratchSize: 0
; MemoryBound: 1
; FloatMode: 240
; IeeeMode: 1
; LDSByteSize: 0 bytes/workgroup (compile time only)
; SGPRBlocks: 0
; VGPRBlocks: 5
; NumSGPRsForWavesPerEU: 59
; NumVGPRsForWavesPerEU: 43
; Occupancy: 16
; WaveLimiterHint : 1
; COMPUTE_PGM_RSRC2:SCRATCH_EN: 0
; COMPUTE_PGM_RSRC2:USER_SGPR: 6
; COMPUTE_PGM_RSRC2:TRAP_HANDLER: 0
; COMPUTE_PGM_RSRC2:TGID_X_EN: 1
; COMPUTE_PGM_RSRC2:TGID_Y_EN: 0
; COMPUTE_PGM_RSRC2:TGID_Z_EN: 0
; COMPUTE_PGM_RSRC2:TIDIG_COMP_CNT: 0
	.section	.text._ZN9rocsparseL6kernelILi1024ELi1E21rocsparse_complex_numIdEiiEEvbbbT3_PS3_NS_15floating_traitsIT1_E6data_tES3_T2_PKS9_SB_PKS3_PKS6_21rocsparse_index_base_SB_SB_SD_PS6_SH_SG_SB_SB_SD_SH_SH_SG_SH_SH_PS8_SI_PKS8_,"axG",@progbits,_ZN9rocsparseL6kernelILi1024ELi1E21rocsparse_complex_numIdEiiEEvbbbT3_PS3_NS_15floating_traitsIT1_E6data_tES3_T2_PKS9_SB_PKS3_PKS6_21rocsparse_index_base_SB_SB_SD_PS6_SH_SG_SB_SB_SD_SH_SH_SG_SH_SH_PS8_SI_PKS8_,comdat
	.globl	_ZN9rocsparseL6kernelILi1024ELi1E21rocsparse_complex_numIdEiiEEvbbbT3_PS3_NS_15floating_traitsIT1_E6data_tES3_T2_PKS9_SB_PKS3_PKS6_21rocsparse_index_base_SB_SB_SD_PS6_SH_SG_SB_SB_SD_SH_SH_SG_SH_SH_PS8_SI_PKS8_ ; -- Begin function _ZN9rocsparseL6kernelILi1024ELi1E21rocsparse_complex_numIdEiiEEvbbbT3_PS3_NS_15floating_traitsIT1_E6data_tES3_T2_PKS9_SB_PKS3_PKS6_21rocsparse_index_base_SB_SB_SD_PS6_SH_SG_SB_SB_SD_SH_SH_SG_SH_SH_PS8_SI_PKS8_
	.p2align	8
	.type	_ZN9rocsparseL6kernelILi1024ELi1E21rocsparse_complex_numIdEiiEEvbbbT3_PS3_NS_15floating_traitsIT1_E6data_tES3_T2_PKS9_SB_PKS3_PKS6_21rocsparse_index_base_SB_SB_SD_PS6_SH_SG_SB_SB_SD_SH_SH_SG_SH_SH_PS8_SI_PKS8_,@function
_ZN9rocsparseL6kernelILi1024ELi1E21rocsparse_complex_numIdEiiEEvbbbT3_PS3_NS_15floating_traitsIT1_E6data_tES3_T2_PKS9_SB_PKS3_PKS6_21rocsparse_index_base_SB_SB_SD_PS6_SH_SG_SB_SB_SD_SH_SH_SG_SH_SH_PS8_SI_PKS8_: ; @_ZN9rocsparseL6kernelILi1024ELi1E21rocsparse_complex_numIdEiiEEvbbbT3_PS3_NS_15floating_traitsIT1_E6data_tES3_T2_PKS9_SB_PKS3_PKS6_21rocsparse_index_base_SB_SB_SD_PS6_SH_SG_SB_SB_SD_SH_SH_SG_SH_SH_PS8_SI_PKS8_
; %bb.0:
	s_clause 0x4
	s_load_dword s0, s[4:5], 0x0
	s_load_dwordx2 s[14:15], s[4:5], 0x0
	s_load_dword s57, s[4:5], 0x18
	s_load_dwordx4 s[48:51], s[4:5], 0x8
	s_load_dwordx4 s[44:47], s[4:5], 0xb8
	v_mov_b32_e32 v1, 0
	v_mov_b32_e32 v16, 0
	v_mov_b32_e32 v14, 0
	v_lshlrev_b32_e32 v37, 3, v0
	v_mov_b32_e32 v17, 0
	v_mov_b32_e32 v2, v1
	;; [unrolled: 1-line block ×3, first 2 shown]
	s_mov_b32 s58, 0
	ds_write_b64 v37, v[1:2]
	s_waitcnt lgkmcnt(0)
	s_barrier
	buffer_gl0_inv
	s_bitcmp1_b32 s0, 0
	s_cselect_b32 s56, -1, 0
	s_bitcmp1_b32 s0, 8
	s_cselect_b32 s33, -1, 0
	;; [unrolled: 2-line block ×3, first 2 shown]
	s_lshl_b32 s63, s6, 10
	s_cmp_gt_i32 s15, 0
	v_or_b32_e32 v13, s63, v0
	s_cselect_b32 s0, -1, 0
	v_cmp_gt_i32_e32 vcc_lo, s57, v13
	s_and_b32 s0, s0, vcc_lo
	s_and_saveexec_b32 s59, s0
	s_cbranch_execnz .LBB49_3
; %bb.1:
	s_or_b32 exec_lo, exec_lo, s59
	s_andn2_b32 vcc_lo, exec_lo, s56
	s_cbranch_vccz .LBB49_185
.LBB49_2:
	v_cmp_eq_u32_e32 vcc_lo, 0, v0
	s_and_b32 s0, vcc_lo, s33
	s_and_saveexec_b32 s1, s0
	s_cbranch_execnz .LBB49_209
	s_branch .LBB49_215
.LBB49_3:
	s_clause 0x1
	s_load_dwordx8 s[16:23], s[4:5], 0x48
	s_load_dwordx8 s[24:31], s[4:5], 0x20
	v_ashrrev_i32_e32 v14, 31, v13
	s_addk_i32 s63, 0x400
	v_mov_b32_e32 v16, 0
	v_cmp_gt_u32_e64 s0, 0x200, v0
	v_cmp_gt_u32_e64 s1, 0x100, v0
	v_lshlrev_b64 v[1:2], 2, v[13:14]
	v_mov_b32_e32 v14, 0
	v_cmp_gt_u32_e64 s2, 0x80, v0
	v_cmp_gt_u32_e64 s3, 64, v0
	v_cmp_gt_u32_e64 s6, 8, v0
	v_cmp_gt_u32_e64 s7, 4, v0
	v_cmp_gt_u32_e64 s8, 2, v0
	v_cmp_eq_u32_e64 s9, 0, v0
	v_mov_b32_e32 v15, 0
	v_mov_b32_e32 v17, 0
	v_cmp_gt_u32_e64 s10, s63, v13
	v_mov_b32_e32 v20, 0
	s_and_b32 s13, s33, s14
	s_waitcnt lgkmcnt(0)
	v_add_co_u32 v3, vcc_lo, s16, v1
	v_add_co_ci_u32_e64 v4, null, s17, v2, vcc_lo
	v_add_co_u32 v5, vcc_lo, s18, v1
	v_add_co_ci_u32_e64 v6, null, s19, v2, vcc_lo
	global_load_dword v7, v[3:4], off
	v_add_co_u32 v3, vcc_lo, s26, v1
	v_add_co_ci_u32_e64 v4, null, s27, v2, vcc_lo
	v_add_co_u32 v1, vcc_lo, s24, v1
	v_add_co_ci_u32_e64 v2, null, s25, v2, vcc_lo
	global_load_dword v5, v[5:6], off
	global_load_dword v3, v[3:4], off
	;; [unrolled: 1-line block ×3, first 2 shown]
	s_clause 0x7
	s_load_dword s60, s[4:5], 0x70
	s_load_dwordx2 s[34:35], s[4:5], 0x68
	s_load_dwordx2 s[52:53], s[4:5], 0xc8
	s_load_dwordx4 s[24:27], s[4:5], 0xa8
	s_load_dwordx8 s[36:43], s[4:5], 0x78
	s_load_dword s61, s[4:5], 0x40
	s_load_dwordx2 s[54:55], s[4:5], 0x98
	s_load_dword s62, s[4:5], 0xa0
	v_cmp_gt_u32_e64 s4, 32, v0
	v_cmp_gt_u32_e64 s5, 16, v0
	s_xor_b32 s64, s33, -1
	s_xor_b32 s65, s13, -1
	s_mov_b32 s66, 0
	s_waitcnt vmcnt(3) lgkmcnt(0)
	v_subrev_nc_u32_e32 v18, s60, v7
	v_ashrrev_i32_e32 v19, 31, v18
	s_waitcnt vmcnt(2)
	v_sub_nc_u32_e32 v38, v5, v7
	s_waitcnt vmcnt(1)
	v_subrev_nc_u32_e32 v39, s61, v3
	v_lshlrev_b64 v[1:2], 2, v[18:19]
	s_waitcnt vmcnt(0)
	v_cmp_lt_i32_e64 s11, v4, v3
	v_subrev_nc_u32_e32 v40, s61, v4
	v_lshlrev_b64 v[3:4], 4, v[18:19]
	v_cmp_lt_i32_e64 s12, 0, v38
	v_add_co_u32 v41, vcc_lo, s20, v1
	v_add_co_ci_u32_e64 v42, null, s21, v2, vcc_lo
	v_add_co_u32 v43, vcc_lo, s22, v3
	v_add_co_ci_u32_e64 v44, null, s23, v4, vcc_lo
	s_branch .LBB49_5
.LBB49_4:                               ;   in Loop: Header=BB49_5 Depth=1
	s_or_b32 exec_lo, exec_lo, s13
	s_and_b32 s13, exec_lo, s67
	s_or_b32 s58, s13, s58
	s_andn2_b32 exec_lo, exec_lo, s58
	s_cbranch_execz .LBB49_184
.LBB49_5:                               ; =>This Loop Header: Depth=1
                                        ;     Child Loop BB49_12 Depth 2
                                        ;       Child Loop BB49_16 Depth 3
                                        ;       Child Loop BB49_51 Depth 3
	;; [unrolled: 1-line block ×5, first 2 shown]
                                        ;     Child Loop BB49_165 Depth 2
                                        ;       Child Loop BB49_168 Depth 3
                                        ;       Child Loop BB49_171 Depth 3
	v_cndmask_b32_e64 v17, v17, 0, s33
	v_cndmask_b32_e64 v16, v16, 0, s33
	;; [unrolled: 1-line block ×4, first 2 shown]
	s_and_saveexec_b32 s67, s11
	s_cbranch_execnz .LBB49_9
; %bb.6:                                ;   in Loop: Header=BB49_5 Depth=1
	s_or_b32 exec_lo, exec_lo, s67
	s_andn2_b32 vcc_lo, exec_lo, s33
	s_cbranch_vccz .LBB49_120
.LBB49_7:                               ;   in Loop: Header=BB49_5 Depth=1
	s_andn2_b32 vcc_lo, exec_lo, s14
	s_cbranch_vccz .LBB49_141
.LBB49_8:                               ;   in Loop: Header=BB49_5 Depth=1
	s_and_saveexec_b32 s67, s10
	s_cbranch_execnz .LBB49_162
	s_branch .LBB49_172
.LBB49_9:                               ;   in Loop: Header=BB49_5 Depth=1
	v_mov_b32_e32 v21, v40
	s_mov_b32 s68, 0
	s_branch .LBB49_12
.LBB49_10:                              ;   in Loop: Header=BB49_12 Depth=2
	s_or_b32 exec_lo, exec_lo, s69
.LBB49_11:                              ;   in Loop: Header=BB49_12 Depth=2
	s_or_b32 exec_lo, exec_lo, s13
	v_add_nc_u32_e32 v21, 1, v21
	v_cmp_ge_i32_e32 vcc_lo, v21, v39
	s_or_b32 s68, vcc_lo, s68
	s_andn2_b32 exec_lo, exec_lo, s68
	s_cbranch_execz .LBB49_119
.LBB49_12:                              ;   Parent Loop BB49_5 Depth=1
                                        ; =>  This Loop Header: Depth=2
                                        ;       Child Loop BB49_16 Depth 3
                                        ;       Child Loop BB49_51 Depth 3
	;; [unrolled: 1-line block ×5, first 2 shown]
	v_ashrrev_i32_e32 v22, 31, v21
	v_mov_b32_e32 v19, 0
	v_mov_b32_e32 v25, 0
	;; [unrolled: 1-line block ×4, first 2 shown]
	v_lshlrev_b64 v[1:2], 2, v[21:22]
	v_mov_b32_e32 v28, 0
	v_mov_b32_e32 v30, v19
	v_add_co_u32 v1, vcc_lo, s28, v1
	v_add_co_ci_u32_e64 v2, null, s29, v2, vcc_lo
	global_load_dword v1, v[1:2], off
	s_waitcnt vmcnt(0)
	v_subrev_nc_u32_e32 v23, s61, v1
	v_ashrrev_i32_e32 v24, 31, v23
	v_lshlrev_b64 v[1:2], 2, v[23:24]
	v_add_co_u32 v3, vcc_lo, s36, v1
	v_add_co_ci_u32_e64 v4, null, s37, v2, vcc_lo
	v_add_co_u32 v1, vcc_lo, s38, v1
	v_add_co_ci_u32_e64 v2, null, s39, v2, vcc_lo
	global_load_dword v3, v[3:4], off
	global_load_dword v1, v[1:2], off
	s_waitcnt vmcnt(1)
	v_subrev_nc_u32_e32 v29, s62, v3
	s_waitcnt vmcnt(0)
	v_sub_nc_u32_e32 v45, v1, v3
	s_and_saveexec_b32 s69, s12
	s_cbranch_execz .LBB49_20
; %bb.13:                               ;   in Loop: Header=BB49_12 Depth=2
	v_ashrrev_i32_e32 v30, 31, v29
	v_mov_b32_e32 v25, 0
	v_mov_b32_e32 v27, 0
	;; [unrolled: 1-line block ×4, first 2 shown]
	v_lshlrev_b64 v[1:2], 2, v[29:30]
	v_lshlrev_b64 v[3:4], 4, v[29:30]
	v_mov_b32_e32 v30, 0
	v_mov_b32_e32 v19, 0
	s_mov_b32 s70, 0
                                        ; implicit-def: $sgpr71
	v_add_co_u32 v1, vcc_lo, s40, v1
	v_add_co_ci_u32_e64 v2, null, s41, v2, vcc_lo
	v_add_co_u32 v3, vcc_lo, s42, v3
	v_add_co_ci_u32_e64 v4, null, s43, v4, vcc_lo
	s_branch .LBB49_16
.LBB49_14:                              ;   in Loop: Header=BB49_16 Depth=3
	s_or_b32 exec_lo, exec_lo, s13
	v_cmp_le_i32_e32 vcc_lo, v5, v6
	v_cmp_ge_i32_e64 s13, v5, v6
	v_add_co_ci_u32_e64 v19, null, 0, v19, vcc_lo
	v_add_co_ci_u32_e64 v30, null, 0, v30, s13
	s_andn2_b32 s13, s71, exec_lo
	v_cmp_ge_i32_e32 vcc_lo, v19, v38
	s_and_b32 s71, vcc_lo, exec_lo
	s_or_b32 s71, s13, s71
.LBB49_15:                              ;   in Loop: Header=BB49_16 Depth=3
	s_or_b32 exec_lo, exec_lo, s72
	s_and_b32 s13, exec_lo, s71
	s_or_b32 s70, s13, s70
	s_andn2_b32 exec_lo, exec_lo, s70
	s_cbranch_execz .LBB49_19
.LBB49_16:                              ;   Parent Loop BB49_5 Depth=1
                                        ;     Parent Loop BB49_12 Depth=2
                                        ; =>    This Inner Loop Header: Depth=3
	s_or_b32 s71, s71, exec_lo
	s_mov_b32 s72, exec_lo
	v_cmpx_lt_i32_e64 v30, v45
	s_cbranch_execz .LBB49_15
; %bb.17:                               ;   in Loop: Header=BB49_16 Depth=3
	v_mov_b32_e32 v31, v20
	v_lshlrev_b64 v[5:6], 2, v[19:20]
	s_mov_b32 s13, exec_lo
	v_lshlrev_b64 v[7:8], 2, v[30:31]
	v_add_co_u32 v5, vcc_lo, v41, v5
	v_add_co_ci_u32_e64 v6, null, v42, v6, vcc_lo
	v_add_co_u32 v7, vcc_lo, v1, v7
	v_add_co_ci_u32_e64 v8, null, v2, v8, vcc_lo
	global_load_dword v5, v[5:6], off
	global_load_dword v6, v[7:8], off
	s_waitcnt vmcnt(1)
	v_subrev_nc_u32_e32 v5, s60, v5
	s_waitcnt vmcnt(0)
	v_subrev_nc_u32_e32 v6, s62, v6
	v_cmpx_eq_u32_e64 v5, v6
	s_cbranch_execz .LBB49_14
; %bb.18:                               ;   in Loop: Header=BB49_16 Depth=3
	v_lshlrev_b64 v[7:8], 4, v[19:20]
	v_lshlrev_b64 v[9:10], 4, v[30:31]
	v_add_co_u32 v7, vcc_lo, v43, v7
	v_add_co_ci_u32_e64 v8, null, v44, v8, vcc_lo
	v_add_co_u32 v11, vcc_lo, v3, v9
	v_add_co_ci_u32_e64 v12, null, v4, v10, vcc_lo
	global_load_dwordx4 v[7:10], v[7:8], off
	global_load_dwordx4 v[31:34], v[11:12], off
	s_waitcnt vmcnt(0)
	v_fma_f64 v[11:12], v[7:8], v[31:32], v[25:26]
	v_fma_f64 v[27:28], v[9:10], v[31:32], v[27:28]
	v_fma_f64 v[25:26], -v[9:10], v[33:34], v[11:12]
	v_fma_f64 v[27:28], v[7:8], v[33:34], v[27:28]
	s_branch .LBB49_14
.LBB49_19:                              ;   in Loop: Header=BB49_12 Depth=2
	s_or_b32 exec_lo, exec_lo, s70
.LBB49_20:                              ;   in Loop: Header=BB49_12 Depth=2
	s_or_b32 exec_lo, exec_lo, s69
	v_lshlrev_b64 v[1:2], 4, v[21:22]
	v_cmp_le_i32_e64 s13, v13, v23
	s_mov_b32 s69, exec_lo
	v_add_co_u32 v1, vcc_lo, s30, v1
	v_add_co_ci_u32_e64 v2, null, s31, v2, vcc_lo
	global_load_dwordx4 v[1:4], v[1:2], off
	s_waitcnt vmcnt(0)
	v_add_f64 v[5:6], v[1:2], -v[25:26]
	v_add_f64 v[7:8], v[3:4], -v[27:28]
	v_cmpx_gt_i32_e64 v13, v23
	s_cbranch_execz .LBB49_30
; %bb.21:                               ;   in Loop: Header=BB49_12 Depth=2
	v_lshlrev_b64 v[9:10], 4, v[23:24]
	s_mov_b32 s70, exec_lo
                                        ; implicit-def: $vgpr35_vgpr36
	v_add_co_u32 v9, vcc_lo, s24, v9
	v_add_co_ci_u32_e64 v10, null, s25, v10, vcc_lo
	global_load_dwordx4 v[9:12], v[9:10], off
	s_waitcnt vmcnt(0)
	v_cmp_gt_f64_e32 vcc_lo, 0, v[9:10]
	v_xor_b32_e32 v22, 0x80000000, v10
	v_xor_b32_e32 v33, 0x80000000, v12
	v_mov_b32_e32 v31, v9
	v_cndmask_b32_e32 v32, v10, v22, vcc_lo
	v_cmp_gt_f64_e32 vcc_lo, 0, v[11:12]
	v_cndmask_b32_e32 v34, v12, v33, vcc_lo
	v_mov_b32_e32 v33, v11
	v_cmpx_ngt_f64_e32 v[31:32], v[33:34]
	s_xor_b32 s70, exec_lo, s70
	s_cbranch_execz .LBB49_25
; %bb.22:                               ;   in Loop: Header=BB49_12 Depth=2
	v_mov_b32_e32 v35, 0
	v_mov_b32_e32 v36, 0
	s_mov_b32 s71, exec_lo
	v_cmpx_neq_f64_e32 0, v[11:12]
	s_cbranch_execz .LBB49_24
; %bb.23:                               ;   in Loop: Header=BB49_12 Depth=2
	v_div_scale_f64 v[35:36], null, v[33:34], v[33:34], v[31:32]
	v_div_scale_f64 v[50:51], vcc_lo, v[31:32], v[33:34], v[31:32]
	v_rcp_f64_e32 v[46:47], v[35:36]
	v_fma_f64 v[48:49], -v[35:36], v[46:47], 1.0
	v_fma_f64 v[46:47], v[46:47], v[48:49], v[46:47]
	v_fma_f64 v[48:49], -v[35:36], v[46:47], 1.0
	v_fma_f64 v[46:47], v[46:47], v[48:49], v[46:47]
	v_mul_f64 v[48:49], v[50:51], v[46:47]
	v_fma_f64 v[35:36], -v[35:36], v[48:49], v[50:51]
	v_div_fmas_f64 v[35:36], v[35:36], v[46:47], v[48:49]
	v_div_fixup_f64 v[31:32], v[35:36], v[33:34], v[31:32]
	v_fma_f64 v[31:32], v[31:32], v[31:32], 1.0
	v_cmp_gt_f64_e32 vcc_lo, 0x10000000, v[31:32]
	v_cndmask_b32_e64 v22, 0, 0x100, vcc_lo
	v_ldexp_f64 v[31:32], v[31:32], v22
	v_cndmask_b32_e64 v22, 0, 0xffffff80, vcc_lo
	v_rsq_f64_e32 v[35:36], v[31:32]
	v_cmp_class_f64_e64 vcc_lo, v[31:32], 0x260
	v_mul_f64 v[46:47], v[31:32], v[35:36]
	v_mul_f64 v[35:36], v[35:36], 0.5
	v_fma_f64 v[48:49], -v[35:36], v[46:47], 0.5
	v_fma_f64 v[46:47], v[46:47], v[48:49], v[46:47]
	v_fma_f64 v[35:36], v[35:36], v[48:49], v[35:36]
	v_fma_f64 v[48:49], -v[46:47], v[46:47], v[31:32]
	v_fma_f64 v[46:47], v[48:49], v[35:36], v[46:47]
	v_fma_f64 v[48:49], -v[46:47], v[46:47], v[31:32]
	v_fma_f64 v[35:36], v[48:49], v[35:36], v[46:47]
	v_ldexp_f64 v[35:36], v[35:36], v22
	v_cndmask_b32_e32 v32, v36, v32, vcc_lo
	v_cndmask_b32_e32 v31, v35, v31, vcc_lo
	v_mul_f64 v[35:36], v[33:34], v[31:32]
.LBB49_24:                              ;   in Loop: Header=BB49_12 Depth=2
	s_or_b32 exec_lo, exec_lo, s71
                                        ; implicit-def: $vgpr31_vgpr32
                                        ; implicit-def: $vgpr33_vgpr34
.LBB49_25:                              ;   in Loop: Header=BB49_12 Depth=2
	s_andn2_saveexec_b32 s70, s70
	s_cbranch_execz .LBB49_27
; %bb.26:                               ;   in Loop: Header=BB49_12 Depth=2
	v_div_scale_f64 v[35:36], null, v[31:32], v[31:32], v[33:34]
	v_div_scale_f64 v[50:51], vcc_lo, v[33:34], v[31:32], v[33:34]
	v_rcp_f64_e32 v[46:47], v[35:36]
	v_fma_f64 v[48:49], -v[35:36], v[46:47], 1.0
	v_fma_f64 v[46:47], v[46:47], v[48:49], v[46:47]
	v_fma_f64 v[48:49], -v[35:36], v[46:47], 1.0
	v_fma_f64 v[46:47], v[46:47], v[48:49], v[46:47]
	v_mul_f64 v[48:49], v[50:51], v[46:47]
	v_fma_f64 v[35:36], -v[35:36], v[48:49], v[50:51]
	v_div_fmas_f64 v[35:36], v[35:36], v[46:47], v[48:49]
	v_div_fixup_f64 v[33:34], v[35:36], v[31:32], v[33:34]
	v_fma_f64 v[33:34], v[33:34], v[33:34], 1.0
	v_cmp_gt_f64_e32 vcc_lo, 0x10000000, v[33:34]
	v_cndmask_b32_e64 v22, 0, 0x100, vcc_lo
	v_ldexp_f64 v[33:34], v[33:34], v22
	v_cndmask_b32_e64 v22, 0, 0xffffff80, vcc_lo
	v_rsq_f64_e32 v[35:36], v[33:34]
	v_cmp_class_f64_e64 vcc_lo, v[33:34], 0x260
	v_mul_f64 v[46:47], v[33:34], v[35:36]
	v_mul_f64 v[35:36], v[35:36], 0.5
	v_fma_f64 v[48:49], -v[35:36], v[46:47], 0.5
	v_fma_f64 v[46:47], v[46:47], v[48:49], v[46:47]
	v_fma_f64 v[35:36], v[35:36], v[48:49], v[35:36]
	v_fma_f64 v[48:49], -v[46:47], v[46:47], v[33:34]
	v_fma_f64 v[46:47], v[48:49], v[35:36], v[46:47]
	v_fma_f64 v[48:49], -v[46:47], v[46:47], v[33:34]
	v_fma_f64 v[35:36], v[48:49], v[35:36], v[46:47]
	v_ldexp_f64 v[35:36], v[35:36], v22
	v_cndmask_b32_e32 v34, v36, v34, vcc_lo
	v_cndmask_b32_e32 v33, v35, v33, vcc_lo
	v_mul_f64 v[35:36], v[31:32], v[33:34]
.LBB49_27:                              ;   in Loop: Header=BB49_12 Depth=2
	s_or_b32 exec_lo, exec_lo, s70
	v_mov_b32_e32 v31, 0
	v_mov_b32_e32 v33, 0
	;; [unrolled: 1-line block ×4, first 2 shown]
	s_mov_b32 s70, exec_lo
	v_cmpx_lt_f64_e32 0, v[35:36]
	s_cbranch_execz .LBB49_29
; %bb.28:                               ;   in Loop: Header=BB49_12 Depth=2
	v_mul_f64 v[31:32], v[11:12], v[11:12]
	v_fma_f64 v[31:32], v[9:10], v[9:10], v[31:32]
	v_div_scale_f64 v[33:34], null, v[31:32], v[31:32], 1.0
	v_div_scale_f64 v[48:49], vcc_lo, 1.0, v[31:32], 1.0
	v_rcp_f64_e32 v[35:36], v[33:34]
	v_fma_f64 v[46:47], -v[33:34], v[35:36], 1.0
	v_fma_f64 v[35:36], v[35:36], v[46:47], v[35:36]
	v_fma_f64 v[46:47], -v[33:34], v[35:36], 1.0
	v_fma_f64 v[35:36], v[35:36], v[46:47], v[35:36]
	v_mul_f64 v[46:47], v[48:49], v[35:36]
	v_fma_f64 v[33:34], -v[33:34], v[46:47], v[48:49]
	v_mul_f64 v[48:49], v[7:8], v[11:12]
	v_mul_f64 v[11:12], v[11:12], -v[5:6]
	v_div_fmas_f64 v[33:34], v[33:34], v[35:36], v[46:47]
	v_fma_f64 v[5:6], v[5:6], v[9:10], v[48:49]
	v_fma_f64 v[7:8], v[7:8], v[9:10], v[11:12]
	v_div_fixup_f64 v[31:32], v[33:34], v[31:32], 1.0
	v_mul_f64 v[33:34], v[5:6], v[31:32]
	v_mul_f64 v[31:32], v[7:8], v[31:32]
.LBB49_29:                              ;   in Loop: Header=BB49_12 Depth=2
	s_or_b32 exec_lo, exec_lo, s70
	v_mov_b32_e32 v7, v31
	v_mov_b32_e32 v5, v33
	v_mov_b32_e32 v8, v32
	v_mov_b32_e32 v6, v34
.LBB49_30:                              ;   in Loop: Header=BB49_12 Depth=2
	s_or_b32 exec_lo, exec_lo, s69
	v_cmp_gt_f64_e32 vcc_lo, 0, v[5:6]
	v_xor_b32_e32 v10, 0x80000000, v6
	v_xor_b32_e32 v11, 0x80000000, v8
	v_mov_b32_e32 v9, v5
	s_mov_b32 s69, exec_lo
                                        ; implicit-def: $vgpr31_vgpr32
	v_cndmask_b32_e32 v10, v6, v10, vcc_lo
	v_cmp_gt_f64_e32 vcc_lo, 0, v[7:8]
	v_cndmask_b32_e32 v12, v8, v11, vcc_lo
	v_mov_b32_e32 v11, v7
	v_cmpx_ngt_f64_e32 v[9:10], v[11:12]
	s_xor_b32 s69, exec_lo, s69
	s_cbranch_execnz .LBB49_34
; %bb.31:                               ;   in Loop: Header=BB49_12 Depth=2
	s_andn2_saveexec_b32 s69, s69
	s_cbranch_execnz .LBB49_37
.LBB49_32:                              ;   in Loop: Header=BB49_12 Depth=2
	s_or_b32 exec_lo, exec_lo, s69
	v_cmp_class_f64_e64 s69, v[31:32], 0x1f8
	s_and_saveexec_b32 s70, s69
	s_cbranch_execnz .LBB49_38
.LBB49_33:                              ;   in Loop: Header=BB49_12 Depth=2
	s_or_b32 exec_lo, exec_lo, s70
	s_and_b32 s69, s14, s69
	s_and_saveexec_b32 s13, s69
	s_cbranch_execz .LBB49_11
	s_branch .LBB49_79
.LBB49_34:                              ;   in Loop: Header=BB49_12 Depth=2
	v_mov_b32_e32 v31, 0
	v_mov_b32_e32 v32, 0
	s_mov_b32 s70, exec_lo
	v_cmpx_neq_f64_e32 0, v[7:8]
	s_cbranch_execz .LBB49_36
; %bb.35:                               ;   in Loop: Header=BB49_12 Depth=2
	v_div_scale_f64 v[31:32], null, v[11:12], v[11:12], v[9:10]
	v_div_scale_f64 v[46:47], vcc_lo, v[9:10], v[11:12], v[9:10]
	v_rcp_f64_e32 v[33:34], v[31:32]
	v_fma_f64 v[35:36], -v[31:32], v[33:34], 1.0
	v_fma_f64 v[33:34], v[33:34], v[35:36], v[33:34]
	v_fma_f64 v[35:36], -v[31:32], v[33:34], 1.0
	v_fma_f64 v[33:34], v[33:34], v[35:36], v[33:34]
	v_mul_f64 v[35:36], v[46:47], v[33:34]
	v_fma_f64 v[31:32], -v[31:32], v[35:36], v[46:47]
	v_div_fmas_f64 v[31:32], v[31:32], v[33:34], v[35:36]
	v_div_fixup_f64 v[9:10], v[31:32], v[11:12], v[9:10]
	v_fma_f64 v[9:10], v[9:10], v[9:10], 1.0
	v_cmp_gt_f64_e32 vcc_lo, 0x10000000, v[9:10]
	v_cndmask_b32_e64 v22, 0, 0x100, vcc_lo
	v_ldexp_f64 v[9:10], v[9:10], v22
	v_cndmask_b32_e64 v22, 0, 0xffffff80, vcc_lo
	v_rsq_f64_e32 v[31:32], v[9:10]
	v_cmp_class_f64_e64 vcc_lo, v[9:10], 0x260
	v_mul_f64 v[33:34], v[9:10], v[31:32]
	v_mul_f64 v[31:32], v[31:32], 0.5
	v_fma_f64 v[35:36], -v[31:32], v[33:34], 0.5
	v_fma_f64 v[33:34], v[33:34], v[35:36], v[33:34]
	v_fma_f64 v[31:32], v[31:32], v[35:36], v[31:32]
	v_fma_f64 v[35:36], -v[33:34], v[33:34], v[9:10]
	v_fma_f64 v[33:34], v[35:36], v[31:32], v[33:34]
	v_fma_f64 v[35:36], -v[33:34], v[33:34], v[9:10]
	v_fma_f64 v[31:32], v[35:36], v[31:32], v[33:34]
	v_ldexp_f64 v[31:32], v[31:32], v22
	v_cndmask_b32_e32 v10, v32, v10, vcc_lo
	v_cndmask_b32_e32 v9, v31, v9, vcc_lo
	v_mul_f64 v[31:32], v[11:12], v[9:10]
.LBB49_36:                              ;   in Loop: Header=BB49_12 Depth=2
	s_or_b32 exec_lo, exec_lo, s70
                                        ; implicit-def: $vgpr9_vgpr10
                                        ; implicit-def: $vgpr11_vgpr12
	s_andn2_saveexec_b32 s69, s69
	s_cbranch_execz .LBB49_32
.LBB49_37:                              ;   in Loop: Header=BB49_12 Depth=2
	v_div_scale_f64 v[31:32], null, v[9:10], v[9:10], v[11:12]
	v_div_scale_f64 v[46:47], vcc_lo, v[11:12], v[9:10], v[11:12]
	v_rcp_f64_e32 v[33:34], v[31:32]
	v_fma_f64 v[35:36], -v[31:32], v[33:34], 1.0
	v_fma_f64 v[33:34], v[33:34], v[35:36], v[33:34]
	v_fma_f64 v[35:36], -v[31:32], v[33:34], 1.0
	v_fma_f64 v[33:34], v[33:34], v[35:36], v[33:34]
	v_mul_f64 v[35:36], v[46:47], v[33:34]
	v_fma_f64 v[31:32], -v[31:32], v[35:36], v[46:47]
	v_div_fmas_f64 v[31:32], v[31:32], v[33:34], v[35:36]
	v_div_fixup_f64 v[11:12], v[31:32], v[9:10], v[11:12]
	v_fma_f64 v[11:12], v[11:12], v[11:12], 1.0
	v_cmp_gt_f64_e32 vcc_lo, 0x10000000, v[11:12]
	v_cndmask_b32_e64 v22, 0, 0x100, vcc_lo
	v_ldexp_f64 v[11:12], v[11:12], v22
	v_cndmask_b32_e64 v22, 0, 0xffffff80, vcc_lo
	v_rsq_f64_e32 v[31:32], v[11:12]
	v_cmp_class_f64_e64 vcc_lo, v[11:12], 0x260
	v_mul_f64 v[33:34], v[11:12], v[31:32]
	v_mul_f64 v[31:32], v[31:32], 0.5
	v_fma_f64 v[35:36], -v[31:32], v[33:34], 0.5
	v_fma_f64 v[33:34], v[33:34], v[35:36], v[33:34]
	v_fma_f64 v[31:32], v[31:32], v[35:36], v[31:32]
	v_fma_f64 v[35:36], -v[33:34], v[33:34], v[11:12]
	v_fma_f64 v[33:34], v[35:36], v[31:32], v[33:34]
	v_fma_f64 v[35:36], -v[33:34], v[33:34], v[11:12]
	v_fma_f64 v[31:32], v[35:36], v[31:32], v[33:34]
	v_ldexp_f64 v[31:32], v[31:32], v22
	v_cndmask_b32_e32 v12, v32, v12, vcc_lo
	v_cndmask_b32_e32 v11, v31, v11, vcc_lo
	v_mul_f64 v[31:32], v[9:10], v[11:12]
	s_or_b32 exec_lo, exec_lo, s69
	v_cmp_class_f64_e64 s69, v[31:32], 0x1f8
	s_and_saveexec_b32 s70, s69
	s_cbranch_execz .LBB49_33
.LBB49_38:                              ;   in Loop: Header=BB49_12 Depth=2
	s_and_saveexec_b32 s71, s13
	s_xor_b32 s13, exec_lo, s71
	s_cbranch_execz .LBB49_63
; %bb.39:                               ;   in Loop: Header=BB49_12 Depth=2
	s_mov_b32 s71, exec_lo
	v_cmpx_ge_i32_e64 v13, v23
	s_xor_b32 s71, exec_lo, s71
	s_cbranch_execz .LBB49_47
; %bb.40:                               ;   in Loop: Header=BB49_12 Depth=2
	v_lshlrev_b64 v[9:10], 4, v[23:24]
	v_add_co_u32 v11, vcc_lo, s26, v9
	v_add_co_ci_u32_e64 v12, null, s27, v10, vcc_lo
	s_andn2_b32 vcc_lo, exec_lo, s33
	global_store_dwordx4 v[11:12], v[5:8], off
	s_cbranch_vccnz .LBB49_46
; %bb.41:                               ;   in Loop: Header=BB49_12 Depth=2
	v_add_co_u32 v9, vcc_lo, s24, v9
	v_add_co_ci_u32_e64 v10, null, s25, v10, vcc_lo
	s_mov_b32 s72, exec_lo
	global_load_dwordx4 v[9:12], v[9:10], off
	s_waitcnt vmcnt(0)
	v_add_f64 v[5:6], v[9:10], -v[5:6]
	v_add_f64 v[11:12], v[11:12], -v[7:8]
                                        ; implicit-def: $vgpr9_vgpr10
	v_cmp_gt_f64_e32 vcc_lo, 0, v[5:6]
	v_xor_b32_e32 v7, 0x80000000, v6
	v_xor_b32_e32 v8, 0x80000000, v12
	v_cndmask_b32_e32 v6, v6, v7, vcc_lo
	v_cmp_gt_f64_e32 vcc_lo, 0, v[11:12]
	v_mov_b32_e32 v7, v11
	v_cndmask_b32_e32 v8, v12, v8, vcc_lo
	v_cmpx_ngt_f64_e32 v[5:6], v[7:8]
	s_xor_b32 s72, exec_lo, s72
	s_cbranch_execnz .LBB49_107
; %bb.42:                               ;   in Loop: Header=BB49_12 Depth=2
	s_andn2_saveexec_b32 s72, s72
	s_cbranch_execnz .LBB49_110
.LBB49_43:                              ;   in Loop: Header=BB49_12 Depth=2
	s_or_b32 exec_lo, exec_lo, s72
	v_cmp_class_f64_e64 s73, v[9:10], 0x1f8
	s_and_saveexec_b32 s72, s73
.LBB49_44:                              ;   in Loop: Header=BB49_12 Depth=2
	v_cmp_lt_f64_e32 vcc_lo, v[16:17], v[9:10]
	v_cndmask_b32_e32 v17, v17, v10, vcc_lo
	v_cndmask_b32_e32 v16, v16, v9, vcc_lo
.LBB49_45:                              ;   in Loop: Header=BB49_12 Depth=2
	s_or_b32 exec_lo, exec_lo, s72
.LBB49_46:                              ;   in Loop: Header=BB49_12 Depth=2
                                        ; implicit-def: $vgpr5_vgpr6
.LBB49_47:                              ;   in Loop: Header=BB49_12 Depth=2
	s_andn2_saveexec_b32 s71, s71
	s_cbranch_execz .LBB49_62
; %bb.48:                               ;   in Loop: Header=BB49_12 Depth=2
	s_mov_b32 s72, exec_lo
	v_cmpx_lt_i32_e64 v30, v45
	s_cbranch_execz .LBB49_61
; %bb.49:                               ;   in Loop: Header=BB49_12 Depth=2
	v_mov_b32_e32 v11, v30
	s_mov_b32 s73, 0
                                        ; implicit-def: $sgpr74
                                        ; implicit-def: $sgpr76
                                        ; implicit-def: $sgpr75
	s_inst_prefetch 0x1
	s_branch .LBB49_51
	.p2align	6
.LBB49_50:                              ;   in Loop: Header=BB49_51 Depth=3
	s_or_b32 exec_lo, exec_lo, s77
	s_and_b32 s77, exec_lo, s76
	s_or_b32 s73, s77, s73
	s_andn2_b32 s74, s74, exec_lo
	s_and_b32 s77, s75, exec_lo
	s_or_b32 s74, s74, s77
	s_andn2_b32 exec_lo, exec_lo, s73
	s_cbranch_execz .LBB49_53
.LBB49_51:                              ;   Parent Loop BB49_5 Depth=1
                                        ;     Parent Loop BB49_12 Depth=2
                                        ; =>    This Inner Loop Header: Depth=3
	v_add_nc_u32_e32 v9, v29, v11
	s_or_b32 s75, s75, exec_lo
	s_or_b32 s76, s76, exec_lo
	s_mov_b32 s77, exec_lo
	v_ashrrev_i32_e32 v10, 31, v9
	v_lshlrev_b64 v[31:32], 2, v[9:10]
	v_add_co_u32 v31, vcc_lo, s40, v31
	v_add_co_ci_u32_e64 v32, null, s41, v32, vcc_lo
	global_load_dword v12, v[31:32], off
	s_waitcnt vmcnt(0)
	v_subrev_nc_u32_e32 v12, s62, v12
	v_cmpx_ne_u32_e64 v12, v13
	s_cbranch_execz .LBB49_50
; %bb.52:                               ;   in Loop: Header=BB49_51 Depth=3
	v_add_nc_u32_e32 v11, 1, v11
	s_andn2_b32 s76, s76, exec_lo
	s_andn2_b32 s75, s75, exec_lo
	v_cmp_ge_i32_e32 vcc_lo, v11, v45
	s_and_b32 s78, vcc_lo, exec_lo
	s_or_b32 s76, s76, s78
	s_branch .LBB49_50
.LBB49_53:                              ;   in Loop: Header=BB49_12 Depth=2
	s_inst_prefetch 0x2
	s_or_b32 exec_lo, exec_lo, s73
	s_and_saveexec_b32 s73, s74
	s_xor_b32 s73, exec_lo, s73
	s_cbranch_execz .LBB49_60
; %bb.54:                               ;   in Loop: Header=BB49_12 Depth=2
	v_lshlrev_b64 v[9:10], 4, v[9:10]
	v_add_co_u32 v11, vcc_lo, s54, v9
	v_add_co_ci_u32_e64 v12, null, s55, v10, vcc_lo
	s_andn2_b32 vcc_lo, exec_lo, s33
	global_store_dwordx4 v[11:12], v[5:8], off
	s_cbranch_vccnz .LBB49_60
; %bb.55:                               ;   in Loop: Header=BB49_12 Depth=2
	v_add_co_u32 v9, vcc_lo, s42, v9
	v_add_co_ci_u32_e64 v10, null, s43, v10, vcc_lo
	s_mov_b32 s74, exec_lo
	global_load_dwordx4 v[9:12], v[9:10], off
	s_waitcnt vmcnt(0)
	v_add_f64 v[5:6], v[9:10], -v[5:6]
	v_add_f64 v[11:12], v[11:12], -v[7:8]
                                        ; implicit-def: $vgpr9_vgpr10
	v_cmp_gt_f64_e32 vcc_lo, 0, v[5:6]
	v_xor_b32_e32 v7, 0x80000000, v6
	v_xor_b32_e32 v8, 0x80000000, v12
	v_cndmask_b32_e32 v6, v6, v7, vcc_lo
	v_cmp_gt_f64_e32 vcc_lo, 0, v[11:12]
	v_mov_b32_e32 v7, v11
	v_cndmask_b32_e32 v8, v12, v8, vcc_lo
	v_cmpx_ngt_f64_e32 v[5:6], v[7:8]
	s_xor_b32 s74, exec_lo, s74
	s_cbranch_execnz .LBB49_115
; %bb.56:                               ;   in Loop: Header=BB49_12 Depth=2
	s_andn2_saveexec_b32 s74, s74
	s_cbranch_execnz .LBB49_118
.LBB49_57:                              ;   in Loop: Header=BB49_12 Depth=2
	s_or_b32 exec_lo, exec_lo, s74
	v_cmp_class_f64_e64 s75, v[9:10], 0x1f8
	s_and_saveexec_b32 s74, s75
.LBB49_58:                              ;   in Loop: Header=BB49_12 Depth=2
	v_cmp_lt_f64_e32 vcc_lo, v[16:17], v[9:10]
	v_cndmask_b32_e32 v17, v17, v10, vcc_lo
	v_cndmask_b32_e32 v16, v16, v9, vcc_lo
.LBB49_59:                              ;   in Loop: Header=BB49_12 Depth=2
	s_or_b32 exec_lo, exec_lo, s74
.LBB49_60:                              ;   in Loop: Header=BB49_12 Depth=2
	s_or_b32 exec_lo, exec_lo, s73
.LBB49_61:                              ;   in Loop: Header=BB49_12 Depth=2
	s_or_b32 exec_lo, exec_lo, s72
.LBB49_62:                              ;   in Loop: Header=BB49_12 Depth=2
	s_or_b32 exec_lo, exec_lo, s71
                                        ; implicit-def: $vgpr5_vgpr6
.LBB49_63:                              ;   in Loop: Header=BB49_12 Depth=2
	s_andn2_saveexec_b32 s13, s13
	s_cbranch_execz .LBB49_78
; %bb.64:                               ;   in Loop: Header=BB49_12 Depth=2
	s_mov_b32 s71, exec_lo
	v_cmpx_lt_i32_e64 v19, v38
	s_cbranch_execz .LBB49_77
; %bb.65:                               ;   in Loop: Header=BB49_12 Depth=2
	v_mov_b32_e32 v11, v19
	s_mov_b32 s72, 0
                                        ; implicit-def: $sgpr73
                                        ; implicit-def: $sgpr75
                                        ; implicit-def: $sgpr74
	s_inst_prefetch 0x1
	s_branch .LBB49_67
	.p2align	6
.LBB49_66:                              ;   in Loop: Header=BB49_67 Depth=3
	s_or_b32 exec_lo, exec_lo, s76
	s_and_b32 s76, exec_lo, s75
	s_or_b32 s72, s76, s72
	s_andn2_b32 s73, s73, exec_lo
	s_and_b32 s76, s74, exec_lo
	s_or_b32 s73, s73, s76
	s_andn2_b32 exec_lo, exec_lo, s72
	s_cbranch_execz .LBB49_69
.LBB49_67:                              ;   Parent Loop BB49_5 Depth=1
                                        ;     Parent Loop BB49_12 Depth=2
                                        ; =>    This Inner Loop Header: Depth=3
	v_add_nc_u32_e32 v9, v18, v11
	s_or_b32 s74, s74, exec_lo
	s_or_b32 s75, s75, exec_lo
	s_mov_b32 s76, exec_lo
	v_ashrrev_i32_e32 v10, 31, v9
	v_lshlrev_b64 v[31:32], 2, v[9:10]
	v_add_co_u32 v31, vcc_lo, s20, v31
	v_add_co_ci_u32_e64 v32, null, s21, v32, vcc_lo
	global_load_dword v12, v[31:32], off
	s_waitcnt vmcnt(0)
	v_subrev_nc_u32_e32 v12, s60, v12
	v_cmpx_ne_u32_e64 v12, v23
	s_cbranch_execz .LBB49_66
; %bb.68:                               ;   in Loop: Header=BB49_67 Depth=3
	v_add_nc_u32_e32 v11, 1, v11
	s_andn2_b32 s75, s75, exec_lo
	s_andn2_b32 s74, s74, exec_lo
	v_cmp_ge_i32_e32 vcc_lo, v11, v38
	s_and_b32 s77, vcc_lo, exec_lo
	s_or_b32 s75, s75, s77
	s_branch .LBB49_66
.LBB49_69:                              ;   in Loop: Header=BB49_12 Depth=2
	s_inst_prefetch 0x2
	s_or_b32 exec_lo, exec_lo, s72
	s_and_saveexec_b32 s72, s73
	s_xor_b32 s72, exec_lo, s72
	s_cbranch_execz .LBB49_76
; %bb.70:                               ;   in Loop: Header=BB49_12 Depth=2
	v_lshlrev_b64 v[9:10], 4, v[9:10]
	v_add_co_u32 v11, vcc_lo, s34, v9
	v_add_co_ci_u32_e64 v12, null, s35, v10, vcc_lo
	s_andn2_b32 vcc_lo, exec_lo, s33
	global_store_dwordx4 v[11:12], v[5:8], off
	s_cbranch_vccnz .LBB49_76
; %bb.71:                               ;   in Loop: Header=BB49_12 Depth=2
	v_add_co_u32 v9, vcc_lo, s22, v9
	v_add_co_ci_u32_e64 v10, null, s23, v10, vcc_lo
	s_mov_b32 s73, exec_lo
	global_load_dwordx4 v[9:12], v[9:10], off
	s_waitcnt vmcnt(0)
	v_add_f64 v[5:6], v[9:10], -v[5:6]
	v_add_f64 v[11:12], v[11:12], -v[7:8]
                                        ; implicit-def: $vgpr9_vgpr10
	v_cmp_gt_f64_e32 vcc_lo, 0, v[5:6]
	v_xor_b32_e32 v7, 0x80000000, v6
	v_xor_b32_e32 v8, 0x80000000, v12
	v_cndmask_b32_e32 v6, v6, v7, vcc_lo
	v_cmp_gt_f64_e32 vcc_lo, 0, v[11:12]
	v_mov_b32_e32 v7, v11
	v_cndmask_b32_e32 v8, v12, v8, vcc_lo
	v_cmpx_ngt_f64_e32 v[5:6], v[7:8]
	s_xor_b32 s73, exec_lo, s73
	s_cbranch_execnz .LBB49_111
; %bb.72:                               ;   in Loop: Header=BB49_12 Depth=2
	s_andn2_saveexec_b32 s73, s73
	s_cbranch_execnz .LBB49_114
.LBB49_73:                              ;   in Loop: Header=BB49_12 Depth=2
	s_or_b32 exec_lo, exec_lo, s73
	v_cmp_class_f64_e64 s74, v[9:10], 0x1f8
	s_and_saveexec_b32 s73, s74
.LBB49_74:                              ;   in Loop: Header=BB49_12 Depth=2
	v_cmp_lt_f64_e32 vcc_lo, v[16:17], v[9:10]
	v_cndmask_b32_e32 v17, v17, v10, vcc_lo
	v_cndmask_b32_e32 v16, v16, v9, vcc_lo
.LBB49_75:                              ;   in Loop: Header=BB49_12 Depth=2
	s_or_b32 exec_lo, exec_lo, s73
.LBB49_76:                              ;   in Loop: Header=BB49_12 Depth=2
	s_or_b32 exec_lo, exec_lo, s72
.LBB49_77:                              ;   in Loop: Header=BB49_12 Depth=2
	s_or_b32 exec_lo, exec_lo, s71
.LBB49_78:                              ;   in Loop: Header=BB49_12 Depth=2
	s_or_b32 exec_lo, exec_lo, s13
	s_or_b32 exec_lo, exec_lo, s70
	s_and_b32 s69, s14, s69
	s_and_saveexec_b32 s13, s69
	s_cbranch_execz .LBB49_11
.LBB49_79:                              ;   in Loop: Header=BB49_12 Depth=2
	s_mov_b32 s69, exec_lo
	v_cmpx_ge_i32_e64 v30, v45
	s_xor_b32 s69, exec_lo, s69
	s_cbranch_execnz .LBB49_86
; %bb.80:                               ;   in Loop: Header=BB49_12 Depth=2
	s_andn2_saveexec_b32 s69, s69
	s_cbranch_execnz .LBB49_100
.LBB49_81:                              ;   in Loop: Header=BB49_12 Depth=2
	s_or_b32 exec_lo, exec_lo, s69
	s_mov_b32 s69, exec_lo
	v_cmpx_eq_u32_e64 v13, v23
	s_cbranch_execz .LBB49_83
.LBB49_82:                              ;   in Loop: Header=BB49_12 Depth=2
	v_lshlrev_b64 v[5:6], 4, v[23:24]
	v_add_co_u32 v5, vcc_lo, s24, v5
	v_add_co_ci_u32_e64 v6, null, s25, v6, vcc_lo
	global_load_dwordx4 v[5:8], v[5:6], off
	s_waitcnt vmcnt(0)
	v_add_f64 v[25:26], v[25:26], v[5:6]
	v_add_f64 v[27:28], v[27:28], v[7:8]
.LBB49_83:                              ;   in Loop: Header=BB49_12 Depth=2
	s_or_b32 exec_lo, exec_lo, s69
	v_add_f64 v[1:2], v[1:2], -v[25:26]
	v_add_f64 v[7:8], v[3:4], -v[27:28]
	s_mov_b32 s69, exec_lo
                                        ; implicit-def: $vgpr5_vgpr6
	v_cmp_gt_f64_e32 vcc_lo, 0, v[1:2]
	v_xor_b32_e32 v3, 0x80000000, v2
	v_xor_b32_e32 v4, 0x80000000, v8
	v_cndmask_b32_e32 v2, v2, v3, vcc_lo
	v_cmp_gt_f64_e32 vcc_lo, 0, v[7:8]
	v_mov_b32_e32 v3, v7
	v_cndmask_b32_e32 v4, v8, v4, vcc_lo
	v_cmpx_ngt_f64_e32 v[1:2], v[3:4]
	s_xor_b32 s69, exec_lo, s69
	s_cbranch_execnz .LBB49_91
; %bb.84:                               ;   in Loop: Header=BB49_12 Depth=2
	s_andn2_saveexec_b32 s69, s69
	s_cbranch_execnz .LBB49_94
.LBB49_85:                              ;   in Loop: Header=BB49_12 Depth=2
	s_or_b32 exec_lo, exec_lo, s69
	v_cmp_class_f64_e64 s70, v[5:6], 0x1f8
	s_and_saveexec_b32 s69, s70
	s_cbranch_execz .LBB49_10
	s_branch .LBB49_95
.LBB49_86:                              ;   in Loop: Header=BB49_12 Depth=2
	s_mov_b32 s70, exec_lo
	v_cmpx_lt_i32_e64 v19, v38
	s_cbranch_execz .LBB49_99
; %bb.87:                               ;   in Loop: Header=BB49_12 Depth=2
	s_mov_b32 s72, 0
                                        ; implicit-def: $sgpr71
                                        ; implicit-def: $sgpr74
                                        ; implicit-def: $sgpr73
	s_inst_prefetch 0x1
	s_branch .LBB49_89
	.p2align	6
.LBB49_88:                              ;   in Loop: Header=BB49_89 Depth=3
	s_or_b32 exec_lo, exec_lo, s75
	s_and_b32 s75, exec_lo, s74
	s_or_b32 s72, s75, s72
	s_andn2_b32 s71, s71, exec_lo
	s_and_b32 s75, s73, exec_lo
	s_or_b32 s71, s71, s75
	s_andn2_b32 exec_lo, exec_lo, s72
	s_cbranch_execz .LBB49_96
.LBB49_89:                              ;   Parent Loop BB49_5 Depth=1
                                        ;     Parent Loop BB49_12 Depth=2
                                        ; =>    This Inner Loop Header: Depth=3
	v_add_nc_u32_e32 v5, v18, v19
	s_or_b32 s73, s73, exec_lo
	s_or_b32 s74, s74, exec_lo
	s_mov_b32 s75, exec_lo
	v_ashrrev_i32_e32 v6, 31, v5
	v_lshlrev_b64 v[7:8], 2, v[5:6]
	v_add_co_u32 v7, vcc_lo, s20, v7
	v_add_co_ci_u32_e64 v8, null, s21, v8, vcc_lo
	global_load_dword v7, v[7:8], off
	s_waitcnt vmcnt(0)
	v_subrev_nc_u32_e32 v7, s60, v7
	v_cmpx_ne_u32_e64 v7, v23
	s_cbranch_execz .LBB49_88
; %bb.90:                               ;   in Loop: Header=BB49_89 Depth=3
	v_add_nc_u32_e32 v19, 1, v19
	s_andn2_b32 s74, s74, exec_lo
	s_andn2_b32 s73, s73, exec_lo
	v_cmp_ge_i32_e32 vcc_lo, v19, v38
	s_and_b32 s76, vcc_lo, exec_lo
	s_or_b32 s74, s74, s76
	s_branch .LBB49_88
.LBB49_91:                              ;   in Loop: Header=BB49_12 Depth=2
	v_mov_b32_e32 v5, 0
	v_mov_b32_e32 v6, 0
	s_mov_b32 s70, exec_lo
	v_cmpx_neq_f64_e32 0, v[7:8]
	s_cbranch_execz .LBB49_93
; %bb.92:                               ;   in Loop: Header=BB49_12 Depth=2
	v_div_scale_f64 v[5:6], null, v[3:4], v[3:4], v[1:2]
	v_div_scale_f64 v[11:12], vcc_lo, v[1:2], v[3:4], v[1:2]
	v_rcp_f64_e32 v[7:8], v[5:6]
	v_fma_f64 v[9:10], -v[5:6], v[7:8], 1.0
	v_fma_f64 v[7:8], v[7:8], v[9:10], v[7:8]
	v_fma_f64 v[9:10], -v[5:6], v[7:8], 1.0
	v_fma_f64 v[7:8], v[7:8], v[9:10], v[7:8]
	v_mul_f64 v[9:10], v[11:12], v[7:8]
	v_fma_f64 v[5:6], -v[5:6], v[9:10], v[11:12]
	v_div_fmas_f64 v[5:6], v[5:6], v[7:8], v[9:10]
	v_div_fixup_f64 v[1:2], v[5:6], v[3:4], v[1:2]
	v_fma_f64 v[1:2], v[1:2], v[1:2], 1.0
	v_cmp_gt_f64_e32 vcc_lo, 0x10000000, v[1:2]
	v_cndmask_b32_e64 v5, 0, 0x100, vcc_lo
	v_ldexp_f64 v[1:2], v[1:2], v5
	v_rsq_f64_e32 v[5:6], v[1:2]
	v_mul_f64 v[7:8], v[1:2], v[5:6]
	v_mul_f64 v[5:6], v[5:6], 0.5
	v_fma_f64 v[9:10], -v[5:6], v[7:8], 0.5
	v_fma_f64 v[7:8], v[7:8], v[9:10], v[7:8]
	v_fma_f64 v[5:6], v[5:6], v[9:10], v[5:6]
	v_fma_f64 v[9:10], -v[7:8], v[7:8], v[1:2]
	v_fma_f64 v[7:8], v[9:10], v[5:6], v[7:8]
	v_fma_f64 v[9:10], -v[7:8], v[7:8], v[1:2]
	v_fma_f64 v[5:6], v[9:10], v[5:6], v[7:8]
	v_cndmask_b32_e64 v7, 0, 0xffffff80, vcc_lo
	v_cmp_class_f64_e64 vcc_lo, v[1:2], 0x260
	v_ldexp_f64 v[5:6], v[5:6], v7
	v_cndmask_b32_e32 v2, v6, v2, vcc_lo
	v_cndmask_b32_e32 v1, v5, v1, vcc_lo
	v_mul_f64 v[5:6], v[3:4], v[1:2]
.LBB49_93:                              ;   in Loop: Header=BB49_12 Depth=2
	s_or_b32 exec_lo, exec_lo, s70
                                        ; implicit-def: $vgpr1_vgpr2
                                        ; implicit-def: $vgpr3_vgpr4
	s_andn2_saveexec_b32 s69, s69
	s_cbranch_execz .LBB49_85
.LBB49_94:                              ;   in Loop: Header=BB49_12 Depth=2
	v_div_scale_f64 v[5:6], null, v[1:2], v[1:2], v[3:4]
	v_div_scale_f64 v[11:12], vcc_lo, v[3:4], v[1:2], v[3:4]
	v_rcp_f64_e32 v[7:8], v[5:6]
	v_fma_f64 v[9:10], -v[5:6], v[7:8], 1.0
	v_fma_f64 v[7:8], v[7:8], v[9:10], v[7:8]
	v_fma_f64 v[9:10], -v[5:6], v[7:8], 1.0
	v_fma_f64 v[7:8], v[7:8], v[9:10], v[7:8]
	v_mul_f64 v[9:10], v[11:12], v[7:8]
	v_fma_f64 v[5:6], -v[5:6], v[9:10], v[11:12]
	v_div_fmas_f64 v[5:6], v[5:6], v[7:8], v[9:10]
	v_div_fixup_f64 v[3:4], v[5:6], v[1:2], v[3:4]
	v_fma_f64 v[3:4], v[3:4], v[3:4], 1.0
	v_cmp_gt_f64_e32 vcc_lo, 0x10000000, v[3:4]
	v_cndmask_b32_e64 v5, 0, 0x100, vcc_lo
	v_ldexp_f64 v[3:4], v[3:4], v5
	v_rsq_f64_e32 v[5:6], v[3:4]
	v_mul_f64 v[7:8], v[3:4], v[5:6]
	v_mul_f64 v[5:6], v[5:6], 0.5
	v_fma_f64 v[9:10], -v[5:6], v[7:8], 0.5
	v_fma_f64 v[7:8], v[7:8], v[9:10], v[7:8]
	v_fma_f64 v[5:6], v[5:6], v[9:10], v[5:6]
	v_fma_f64 v[9:10], -v[7:8], v[7:8], v[3:4]
	v_fma_f64 v[7:8], v[9:10], v[5:6], v[7:8]
	v_fma_f64 v[9:10], -v[7:8], v[7:8], v[3:4]
	v_fma_f64 v[5:6], v[9:10], v[5:6], v[7:8]
	v_cndmask_b32_e64 v7, 0, 0xffffff80, vcc_lo
	v_cmp_class_f64_e64 vcc_lo, v[3:4], 0x260
	v_ldexp_f64 v[5:6], v[5:6], v7
	v_cndmask_b32_e32 v4, v6, v4, vcc_lo
	v_cndmask_b32_e32 v3, v5, v3, vcc_lo
	v_mul_f64 v[5:6], v[1:2], v[3:4]
	s_or_b32 exec_lo, exec_lo, s69
	v_cmp_class_f64_e64 s70, v[5:6], 0x1f8
	s_and_saveexec_b32 s69, s70
	s_cbranch_execz .LBB49_10
.LBB49_95:                              ;   in Loop: Header=BB49_12 Depth=2
	v_cmp_lt_f64_e32 vcc_lo, v[14:15], v[5:6]
	v_cndmask_b32_e32 v15, v15, v6, vcc_lo
	v_cndmask_b32_e32 v14, v14, v5, vcc_lo
	s_branch .LBB49_10
.LBB49_96:                              ;   in Loop: Header=BB49_12 Depth=2
	s_inst_prefetch 0x2
	s_or_b32 exec_lo, exec_lo, s72
	s_and_saveexec_b32 s72, s71
	s_xor_b32 s71, exec_lo, s72
	s_cbranch_execz .LBB49_98
; %bb.97:                               ;   in Loop: Header=BB49_12 Depth=2
	v_lshlrev_b64 v[7:8], 4, v[23:24]
	v_lshlrev_b64 v[5:6], 4, v[5:6]
	v_add_co_u32 v7, vcc_lo, s24, v7
	v_add_co_ci_u32_e64 v8, null, s25, v8, vcc_lo
	v_add_co_u32 v9, vcc_lo, s22, v5
	v_add_co_ci_u32_e64 v10, null, s23, v6, vcc_lo
	global_load_dwordx4 v[5:8], v[7:8], off
	global_load_dwordx4 v[9:12], v[9:10], off
	s_waitcnt vmcnt(0)
	v_mul_f64 v[29:30], v[7:8], -v[11:12]
	v_mul_f64 v[7:8], v[7:8], v[9:10]
	v_fma_f64 v[9:10], v[9:10], v[5:6], v[29:30]
	v_fma_f64 v[5:6], v[11:12], v[5:6], v[7:8]
	v_add_f64 v[25:26], v[25:26], v[9:10]
	v_add_f64 v[27:28], v[27:28], v[5:6]
.LBB49_98:                              ;   in Loop: Header=BB49_12 Depth=2
	s_or_b32 exec_lo, exec_lo, s71
.LBB49_99:                              ;   in Loop: Header=BB49_12 Depth=2
	s_or_b32 exec_lo, exec_lo, s70
                                        ; implicit-def: $vgpr30
                                        ; implicit-def: $vgpr29
                                        ; implicit-def: $vgpr45
	s_andn2_saveexec_b32 s69, s69
	s_cbranch_execz .LBB49_81
.LBB49_100:                             ;   in Loop: Header=BB49_12 Depth=2
	s_mov_b32 s71, 0
                                        ; implicit-def: $sgpr70
                                        ; implicit-def: $sgpr73
                                        ; implicit-def: $sgpr72
	s_inst_prefetch 0x1
	s_branch .LBB49_102
	.p2align	6
.LBB49_101:                             ;   in Loop: Header=BB49_102 Depth=3
	s_or_b32 exec_lo, exec_lo, s74
	s_and_b32 s74, exec_lo, s73
	s_or_b32 s71, s74, s71
	s_andn2_b32 s70, s70, exec_lo
	s_and_b32 s74, s72, exec_lo
	s_or_b32 s70, s70, s74
	s_andn2_b32 exec_lo, exec_lo, s71
	s_cbranch_execz .LBB49_104
.LBB49_102:                             ;   Parent Loop BB49_5 Depth=1
                                        ;     Parent Loop BB49_12 Depth=2
                                        ; =>    This Inner Loop Header: Depth=3
	v_add_nc_u32_e32 v5, v29, v30
	s_or_b32 s72, s72, exec_lo
	s_or_b32 s73, s73, exec_lo
	s_mov_b32 s74, exec_lo
	v_ashrrev_i32_e32 v6, 31, v5
	v_lshlrev_b64 v[7:8], 2, v[5:6]
	v_add_co_u32 v7, vcc_lo, s40, v7
	v_add_co_ci_u32_e64 v8, null, s41, v8, vcc_lo
	global_load_dword v7, v[7:8], off
	s_waitcnt vmcnt(0)
	v_subrev_nc_u32_e32 v7, s62, v7
	v_cmpx_ne_u32_e64 v7, v13
	s_cbranch_execz .LBB49_101
; %bb.103:                              ;   in Loop: Header=BB49_102 Depth=3
	v_add_nc_u32_e32 v30, 1, v30
	s_andn2_b32 s73, s73, exec_lo
	s_andn2_b32 s72, s72, exec_lo
	v_cmp_ge_i32_e32 vcc_lo, v30, v45
	s_and_b32 s75, vcc_lo, exec_lo
	s_or_b32 s73, s73, s75
	s_branch .LBB49_101
.LBB49_104:                             ;   in Loop: Header=BB49_12 Depth=2
	s_inst_prefetch 0x2
	s_or_b32 exec_lo, exec_lo, s71
	s_and_saveexec_b32 s71, s70
	s_xor_b32 s70, exec_lo, s71
	s_cbranch_execz .LBB49_106
; %bb.105:                              ;   in Loop: Header=BB49_12 Depth=2
	v_lshlrev_b64 v[5:6], 4, v[5:6]
	v_add_co_u32 v5, vcc_lo, s42, v5
	v_add_co_ci_u32_e64 v6, null, s43, v6, vcc_lo
	global_load_dwordx4 v[5:8], v[5:6], off
	s_waitcnt vmcnt(0)
	v_add_f64 v[25:26], v[25:26], v[5:6]
	v_add_f64 v[27:28], v[27:28], v[7:8]
.LBB49_106:                             ;   in Loop: Header=BB49_12 Depth=2
	s_or_b32 exec_lo, exec_lo, s70
	s_or_b32 exec_lo, exec_lo, s69
	s_mov_b32 s69, exec_lo
	v_cmpx_eq_u32_e64 v13, v23
	s_cbranch_execnz .LBB49_82
	s_branch .LBB49_83
.LBB49_107:                             ;   in Loop: Header=BB49_12 Depth=2
	v_mov_b32_e32 v9, 0
	v_mov_b32_e32 v10, 0
	s_mov_b32 s73, exec_lo
	v_cmpx_neq_f64_e32 0, v[11:12]
	s_cbranch_execz .LBB49_109
; %bb.108:                              ;   in Loop: Header=BB49_12 Depth=2
	v_div_scale_f64 v[9:10], null, v[7:8], v[7:8], v[5:6]
	v_div_scale_f64 v[33:34], vcc_lo, v[5:6], v[7:8], v[5:6]
	v_rcp_f64_e32 v[11:12], v[9:10]
	v_fma_f64 v[31:32], -v[9:10], v[11:12], 1.0
	v_fma_f64 v[11:12], v[11:12], v[31:32], v[11:12]
	v_fma_f64 v[31:32], -v[9:10], v[11:12], 1.0
	v_fma_f64 v[11:12], v[11:12], v[31:32], v[11:12]
	v_mul_f64 v[31:32], v[33:34], v[11:12]
	v_fma_f64 v[9:10], -v[9:10], v[31:32], v[33:34]
	v_div_fmas_f64 v[9:10], v[9:10], v[11:12], v[31:32]
	v_div_fixup_f64 v[5:6], v[9:10], v[7:8], v[5:6]
	v_fma_f64 v[5:6], v[5:6], v[5:6], 1.0
	v_cmp_gt_f64_e32 vcc_lo, 0x10000000, v[5:6]
	v_cndmask_b32_e64 v9, 0, 0x100, vcc_lo
	v_ldexp_f64 v[5:6], v[5:6], v9
	v_rsq_f64_e32 v[9:10], v[5:6]
	v_mul_f64 v[11:12], v[5:6], v[9:10]
	v_mul_f64 v[9:10], v[9:10], 0.5
	v_fma_f64 v[31:32], -v[9:10], v[11:12], 0.5
	v_fma_f64 v[11:12], v[11:12], v[31:32], v[11:12]
	v_fma_f64 v[9:10], v[9:10], v[31:32], v[9:10]
	v_fma_f64 v[31:32], -v[11:12], v[11:12], v[5:6]
	v_fma_f64 v[11:12], v[31:32], v[9:10], v[11:12]
	v_fma_f64 v[31:32], -v[11:12], v[11:12], v[5:6]
	v_fma_f64 v[9:10], v[31:32], v[9:10], v[11:12]
	v_cndmask_b32_e64 v11, 0, 0xffffff80, vcc_lo
	v_cmp_class_f64_e64 vcc_lo, v[5:6], 0x260
	v_ldexp_f64 v[9:10], v[9:10], v11
	v_cndmask_b32_e32 v6, v10, v6, vcc_lo
	v_cndmask_b32_e32 v5, v9, v5, vcc_lo
	v_mul_f64 v[9:10], v[7:8], v[5:6]
.LBB49_109:                             ;   in Loop: Header=BB49_12 Depth=2
	s_or_b32 exec_lo, exec_lo, s73
                                        ; implicit-def: $vgpr5_vgpr6
                                        ; implicit-def: $vgpr7_vgpr8
	s_andn2_saveexec_b32 s72, s72
	s_cbranch_execz .LBB49_43
.LBB49_110:                             ;   in Loop: Header=BB49_12 Depth=2
	v_div_scale_f64 v[9:10], null, v[5:6], v[5:6], v[7:8]
	v_div_scale_f64 v[33:34], vcc_lo, v[7:8], v[5:6], v[7:8]
	v_rcp_f64_e32 v[11:12], v[9:10]
	v_fma_f64 v[31:32], -v[9:10], v[11:12], 1.0
	v_fma_f64 v[11:12], v[11:12], v[31:32], v[11:12]
	v_fma_f64 v[31:32], -v[9:10], v[11:12], 1.0
	v_fma_f64 v[11:12], v[11:12], v[31:32], v[11:12]
	v_mul_f64 v[31:32], v[33:34], v[11:12]
	v_fma_f64 v[9:10], -v[9:10], v[31:32], v[33:34]
	v_div_fmas_f64 v[9:10], v[9:10], v[11:12], v[31:32]
	v_div_fixup_f64 v[7:8], v[9:10], v[5:6], v[7:8]
	v_fma_f64 v[7:8], v[7:8], v[7:8], 1.0
	v_cmp_gt_f64_e32 vcc_lo, 0x10000000, v[7:8]
	v_cndmask_b32_e64 v9, 0, 0x100, vcc_lo
	v_ldexp_f64 v[7:8], v[7:8], v9
	v_rsq_f64_e32 v[9:10], v[7:8]
	v_mul_f64 v[11:12], v[7:8], v[9:10]
	v_mul_f64 v[9:10], v[9:10], 0.5
	v_fma_f64 v[31:32], -v[9:10], v[11:12], 0.5
	v_fma_f64 v[11:12], v[11:12], v[31:32], v[11:12]
	v_fma_f64 v[9:10], v[9:10], v[31:32], v[9:10]
	v_fma_f64 v[31:32], -v[11:12], v[11:12], v[7:8]
	v_fma_f64 v[11:12], v[31:32], v[9:10], v[11:12]
	v_fma_f64 v[31:32], -v[11:12], v[11:12], v[7:8]
	v_fma_f64 v[9:10], v[31:32], v[9:10], v[11:12]
	v_cndmask_b32_e64 v11, 0, 0xffffff80, vcc_lo
	v_cmp_class_f64_e64 vcc_lo, v[7:8], 0x260
	v_ldexp_f64 v[9:10], v[9:10], v11
	v_cndmask_b32_e32 v8, v10, v8, vcc_lo
	v_cndmask_b32_e32 v7, v9, v7, vcc_lo
	v_mul_f64 v[9:10], v[5:6], v[7:8]
	s_or_b32 exec_lo, exec_lo, s72
	v_cmp_class_f64_e64 s73, v[9:10], 0x1f8
	s_and_saveexec_b32 s72, s73
	s_cbranch_execnz .LBB49_44
	s_branch .LBB49_45
.LBB49_111:                             ;   in Loop: Header=BB49_12 Depth=2
	v_mov_b32_e32 v9, 0
	v_mov_b32_e32 v10, 0
	s_mov_b32 s74, exec_lo
	v_cmpx_neq_f64_e32 0, v[11:12]
	s_cbranch_execz .LBB49_113
; %bb.112:                              ;   in Loop: Header=BB49_12 Depth=2
	v_div_scale_f64 v[9:10], null, v[7:8], v[7:8], v[5:6]
	v_div_scale_f64 v[33:34], vcc_lo, v[5:6], v[7:8], v[5:6]
	v_rcp_f64_e32 v[11:12], v[9:10]
	v_fma_f64 v[31:32], -v[9:10], v[11:12], 1.0
	v_fma_f64 v[11:12], v[11:12], v[31:32], v[11:12]
	v_fma_f64 v[31:32], -v[9:10], v[11:12], 1.0
	v_fma_f64 v[11:12], v[11:12], v[31:32], v[11:12]
	v_mul_f64 v[31:32], v[33:34], v[11:12]
	v_fma_f64 v[9:10], -v[9:10], v[31:32], v[33:34]
	v_div_fmas_f64 v[9:10], v[9:10], v[11:12], v[31:32]
	v_div_fixup_f64 v[5:6], v[9:10], v[7:8], v[5:6]
	v_fma_f64 v[5:6], v[5:6], v[5:6], 1.0
	v_cmp_gt_f64_e32 vcc_lo, 0x10000000, v[5:6]
	v_cndmask_b32_e64 v9, 0, 0x100, vcc_lo
	v_ldexp_f64 v[5:6], v[5:6], v9
	v_rsq_f64_e32 v[9:10], v[5:6]
	v_mul_f64 v[11:12], v[5:6], v[9:10]
	v_mul_f64 v[9:10], v[9:10], 0.5
	v_fma_f64 v[31:32], -v[9:10], v[11:12], 0.5
	v_fma_f64 v[11:12], v[11:12], v[31:32], v[11:12]
	v_fma_f64 v[9:10], v[9:10], v[31:32], v[9:10]
	v_fma_f64 v[31:32], -v[11:12], v[11:12], v[5:6]
	v_fma_f64 v[11:12], v[31:32], v[9:10], v[11:12]
	v_fma_f64 v[31:32], -v[11:12], v[11:12], v[5:6]
	v_fma_f64 v[9:10], v[31:32], v[9:10], v[11:12]
	v_cndmask_b32_e64 v11, 0, 0xffffff80, vcc_lo
	v_cmp_class_f64_e64 vcc_lo, v[5:6], 0x260
	v_ldexp_f64 v[9:10], v[9:10], v11
	v_cndmask_b32_e32 v6, v10, v6, vcc_lo
	v_cndmask_b32_e32 v5, v9, v5, vcc_lo
	v_mul_f64 v[9:10], v[7:8], v[5:6]
.LBB49_113:                             ;   in Loop: Header=BB49_12 Depth=2
	s_or_b32 exec_lo, exec_lo, s74
                                        ; implicit-def: $vgpr5_vgpr6
                                        ; implicit-def: $vgpr7_vgpr8
	s_andn2_saveexec_b32 s73, s73
	s_cbranch_execz .LBB49_73
.LBB49_114:                             ;   in Loop: Header=BB49_12 Depth=2
	v_div_scale_f64 v[9:10], null, v[5:6], v[5:6], v[7:8]
	v_div_scale_f64 v[33:34], vcc_lo, v[7:8], v[5:6], v[7:8]
	v_rcp_f64_e32 v[11:12], v[9:10]
	v_fma_f64 v[31:32], -v[9:10], v[11:12], 1.0
	v_fma_f64 v[11:12], v[11:12], v[31:32], v[11:12]
	v_fma_f64 v[31:32], -v[9:10], v[11:12], 1.0
	v_fma_f64 v[11:12], v[11:12], v[31:32], v[11:12]
	v_mul_f64 v[31:32], v[33:34], v[11:12]
	v_fma_f64 v[9:10], -v[9:10], v[31:32], v[33:34]
	v_div_fmas_f64 v[9:10], v[9:10], v[11:12], v[31:32]
	v_div_fixup_f64 v[7:8], v[9:10], v[5:6], v[7:8]
	v_fma_f64 v[7:8], v[7:8], v[7:8], 1.0
	v_cmp_gt_f64_e32 vcc_lo, 0x10000000, v[7:8]
	v_cndmask_b32_e64 v9, 0, 0x100, vcc_lo
	v_ldexp_f64 v[7:8], v[7:8], v9
	v_rsq_f64_e32 v[9:10], v[7:8]
	v_mul_f64 v[11:12], v[7:8], v[9:10]
	v_mul_f64 v[9:10], v[9:10], 0.5
	v_fma_f64 v[31:32], -v[9:10], v[11:12], 0.5
	v_fma_f64 v[11:12], v[11:12], v[31:32], v[11:12]
	v_fma_f64 v[9:10], v[9:10], v[31:32], v[9:10]
	v_fma_f64 v[31:32], -v[11:12], v[11:12], v[7:8]
	v_fma_f64 v[11:12], v[31:32], v[9:10], v[11:12]
	v_fma_f64 v[31:32], -v[11:12], v[11:12], v[7:8]
	v_fma_f64 v[9:10], v[31:32], v[9:10], v[11:12]
	v_cndmask_b32_e64 v11, 0, 0xffffff80, vcc_lo
	v_cmp_class_f64_e64 vcc_lo, v[7:8], 0x260
	v_ldexp_f64 v[9:10], v[9:10], v11
	v_cndmask_b32_e32 v8, v10, v8, vcc_lo
	v_cndmask_b32_e32 v7, v9, v7, vcc_lo
	v_mul_f64 v[9:10], v[5:6], v[7:8]
	s_or_b32 exec_lo, exec_lo, s73
	v_cmp_class_f64_e64 s74, v[9:10], 0x1f8
	s_and_saveexec_b32 s73, s74
	s_cbranch_execnz .LBB49_74
	s_branch .LBB49_75
.LBB49_115:                             ;   in Loop: Header=BB49_12 Depth=2
	v_mov_b32_e32 v9, 0
	v_mov_b32_e32 v10, 0
	s_mov_b32 s75, exec_lo
	v_cmpx_neq_f64_e32 0, v[11:12]
	s_cbranch_execz .LBB49_117
; %bb.116:                              ;   in Loop: Header=BB49_12 Depth=2
	v_div_scale_f64 v[9:10], null, v[7:8], v[7:8], v[5:6]
	v_div_scale_f64 v[33:34], vcc_lo, v[5:6], v[7:8], v[5:6]
	v_rcp_f64_e32 v[11:12], v[9:10]
	v_fma_f64 v[31:32], -v[9:10], v[11:12], 1.0
	v_fma_f64 v[11:12], v[11:12], v[31:32], v[11:12]
	v_fma_f64 v[31:32], -v[9:10], v[11:12], 1.0
	v_fma_f64 v[11:12], v[11:12], v[31:32], v[11:12]
	v_mul_f64 v[31:32], v[33:34], v[11:12]
	v_fma_f64 v[9:10], -v[9:10], v[31:32], v[33:34]
	v_div_fmas_f64 v[9:10], v[9:10], v[11:12], v[31:32]
	v_div_fixup_f64 v[5:6], v[9:10], v[7:8], v[5:6]
	v_fma_f64 v[5:6], v[5:6], v[5:6], 1.0
	v_cmp_gt_f64_e32 vcc_lo, 0x10000000, v[5:6]
	v_cndmask_b32_e64 v9, 0, 0x100, vcc_lo
	v_ldexp_f64 v[5:6], v[5:6], v9
	v_rsq_f64_e32 v[9:10], v[5:6]
	v_mul_f64 v[11:12], v[5:6], v[9:10]
	v_mul_f64 v[9:10], v[9:10], 0.5
	v_fma_f64 v[31:32], -v[9:10], v[11:12], 0.5
	v_fma_f64 v[11:12], v[11:12], v[31:32], v[11:12]
	v_fma_f64 v[9:10], v[9:10], v[31:32], v[9:10]
	v_fma_f64 v[31:32], -v[11:12], v[11:12], v[5:6]
	v_fma_f64 v[11:12], v[31:32], v[9:10], v[11:12]
	v_fma_f64 v[31:32], -v[11:12], v[11:12], v[5:6]
	v_fma_f64 v[9:10], v[31:32], v[9:10], v[11:12]
	v_cndmask_b32_e64 v11, 0, 0xffffff80, vcc_lo
	v_cmp_class_f64_e64 vcc_lo, v[5:6], 0x260
	v_ldexp_f64 v[9:10], v[9:10], v11
	v_cndmask_b32_e32 v6, v10, v6, vcc_lo
	v_cndmask_b32_e32 v5, v9, v5, vcc_lo
	v_mul_f64 v[9:10], v[7:8], v[5:6]
.LBB49_117:                             ;   in Loop: Header=BB49_12 Depth=2
	s_or_b32 exec_lo, exec_lo, s75
                                        ; implicit-def: $vgpr5_vgpr6
                                        ; implicit-def: $vgpr7_vgpr8
	s_andn2_saveexec_b32 s74, s74
	s_cbranch_execz .LBB49_57
.LBB49_118:                             ;   in Loop: Header=BB49_12 Depth=2
	v_div_scale_f64 v[9:10], null, v[5:6], v[5:6], v[7:8]
	v_div_scale_f64 v[33:34], vcc_lo, v[7:8], v[5:6], v[7:8]
	v_rcp_f64_e32 v[11:12], v[9:10]
	v_fma_f64 v[31:32], -v[9:10], v[11:12], 1.0
	v_fma_f64 v[11:12], v[11:12], v[31:32], v[11:12]
	v_fma_f64 v[31:32], -v[9:10], v[11:12], 1.0
	v_fma_f64 v[11:12], v[11:12], v[31:32], v[11:12]
	v_mul_f64 v[31:32], v[33:34], v[11:12]
	v_fma_f64 v[9:10], -v[9:10], v[31:32], v[33:34]
	v_div_fmas_f64 v[9:10], v[9:10], v[11:12], v[31:32]
	v_div_fixup_f64 v[7:8], v[9:10], v[5:6], v[7:8]
	v_fma_f64 v[7:8], v[7:8], v[7:8], 1.0
	v_cmp_gt_f64_e32 vcc_lo, 0x10000000, v[7:8]
	v_cndmask_b32_e64 v9, 0, 0x100, vcc_lo
	v_ldexp_f64 v[7:8], v[7:8], v9
	v_rsq_f64_e32 v[9:10], v[7:8]
	v_mul_f64 v[11:12], v[7:8], v[9:10]
	v_mul_f64 v[9:10], v[9:10], 0.5
	v_fma_f64 v[31:32], -v[9:10], v[11:12], 0.5
	v_fma_f64 v[11:12], v[11:12], v[31:32], v[11:12]
	v_fma_f64 v[9:10], v[9:10], v[31:32], v[9:10]
	v_fma_f64 v[31:32], -v[11:12], v[11:12], v[7:8]
	v_fma_f64 v[11:12], v[31:32], v[9:10], v[11:12]
	v_fma_f64 v[31:32], -v[11:12], v[11:12], v[7:8]
	v_fma_f64 v[9:10], v[31:32], v[9:10], v[11:12]
	v_cndmask_b32_e64 v11, 0, 0xffffff80, vcc_lo
	v_cmp_class_f64_e64 vcc_lo, v[7:8], 0x260
	v_ldexp_f64 v[9:10], v[9:10], v11
	v_cndmask_b32_e32 v8, v10, v8, vcc_lo
	v_cndmask_b32_e32 v7, v9, v7, vcc_lo
	v_mul_f64 v[9:10], v[5:6], v[7:8]
	s_or_b32 exec_lo, exec_lo, s74
	v_cmp_class_f64_e64 s75, v[9:10], 0x1f8
	s_and_saveexec_b32 s74, s75
	s_cbranch_execnz .LBB49_58
	s_branch .LBB49_59
.LBB49_119:                             ;   in Loop: Header=BB49_5 Depth=1
	s_or_b32 exec_lo, exec_lo, s68
	s_or_b32 exec_lo, exec_lo, s67
	s_andn2_b32 vcc_lo, exec_lo, s33
	s_cbranch_vccnz .LBB49_7
.LBB49_120:                             ;   in Loop: Header=BB49_5 Depth=1
	ds_write_b64 v37, v[16:17]
	s_waitcnt lgkmcnt(0)
	s_waitcnt_vscnt null, 0x0
	s_barrier
	buffer_gl0_inv
	s_and_saveexec_b32 s13, s0
	s_cbranch_execz .LBB49_122
; %bb.121:                              ;   in Loop: Header=BB49_5 Depth=1
	ds_read2st64_b64 v[1:4], v37 offset1:8
	s_waitcnt lgkmcnt(0)
	v_cmp_lt_f64_e32 vcc_lo, v[1:2], v[3:4]
	v_cndmask_b32_e32 v2, v2, v4, vcc_lo
	v_cndmask_b32_e32 v1, v1, v3, vcc_lo
	ds_write_b64 v37, v[1:2]
.LBB49_122:                             ;   in Loop: Header=BB49_5 Depth=1
	s_or_b32 exec_lo, exec_lo, s13
	s_waitcnt lgkmcnt(0)
	s_barrier
	buffer_gl0_inv
	s_and_saveexec_b32 s13, s1
	s_cbranch_execz .LBB49_124
; %bb.123:                              ;   in Loop: Header=BB49_5 Depth=1
	ds_read2st64_b64 v[1:4], v37 offset1:4
	s_waitcnt lgkmcnt(0)
	v_cmp_lt_f64_e32 vcc_lo, v[1:2], v[3:4]
	v_cndmask_b32_e32 v2, v2, v4, vcc_lo
	v_cndmask_b32_e32 v1, v1, v3, vcc_lo
	ds_write_b64 v37, v[1:2]
.LBB49_124:                             ;   in Loop: Header=BB49_5 Depth=1
	s_or_b32 exec_lo, exec_lo, s13
	s_waitcnt lgkmcnt(0)
	;; [unrolled: 14-line block ×4, first 2 shown]
	s_barrier
	buffer_gl0_inv
	s_and_saveexec_b32 s13, s4
	s_cbranch_execz .LBB49_130
; %bb.129:                              ;   in Loop: Header=BB49_5 Depth=1
	ds_read2_b64 v[1:4], v37 offset1:32
	s_waitcnt lgkmcnt(0)
	v_cmp_lt_f64_e32 vcc_lo, v[1:2], v[3:4]
	v_cndmask_b32_e32 v2, v2, v4, vcc_lo
	v_cndmask_b32_e32 v1, v1, v3, vcc_lo
	ds_write_b64 v37, v[1:2]
.LBB49_130:                             ;   in Loop: Header=BB49_5 Depth=1
	s_or_b32 exec_lo, exec_lo, s13
	s_waitcnt lgkmcnt(0)
	s_barrier
	buffer_gl0_inv
	s_and_saveexec_b32 s13, s5
	s_cbranch_execz .LBB49_132
; %bb.131:                              ;   in Loop: Header=BB49_5 Depth=1
	ds_read2_b64 v[1:4], v37 offset1:16
	s_waitcnt lgkmcnt(0)
	v_cmp_lt_f64_e32 vcc_lo, v[1:2], v[3:4]
	v_cndmask_b32_e32 v2, v2, v4, vcc_lo
	v_cndmask_b32_e32 v1, v1, v3, vcc_lo
	ds_write_b64 v37, v[1:2]
.LBB49_132:                             ;   in Loop: Header=BB49_5 Depth=1
	s_or_b32 exec_lo, exec_lo, s13
	s_waitcnt lgkmcnt(0)
	;; [unrolled: 14-line block ×5, first 2 shown]
	s_barrier
	buffer_gl0_inv
	s_and_saveexec_b32 s13, s9
	s_cbranch_execz .LBB49_140
; %bb.139:                              ;   in Loop: Header=BB49_5 Depth=1
	ds_read_b128 v[1:4], v20
	s_waitcnt lgkmcnt(0)
	v_cmp_lt_f64_e32 vcc_lo, v[1:2], v[3:4]
	v_cndmask_b32_e32 v2, v2, v4, vcc_lo
	v_cndmask_b32_e32 v1, v1, v3, vcc_lo
	ds_write_b64 v20, v[1:2]
.LBB49_140:                             ;   in Loop: Header=BB49_5 Depth=1
	s_or_b32 exec_lo, exec_lo, s13
	s_waitcnt lgkmcnt(0)
	s_barrier
	buffer_gl0_inv
	ds_read_b64 v[1:2], v20
	s_load_dwordx2 s[68:69], s[52:53], 0x0
	s_waitcnt lgkmcnt(0)
	v_div_scale_f64 v[3:4], null, s[68:69], s[68:69], v[1:2]
	v_rcp_f64_e32 v[5:6], v[3:4]
	v_fma_f64 v[7:8], -v[3:4], v[5:6], 1.0
	v_fma_f64 v[5:6], v[5:6], v[7:8], v[5:6]
	v_fma_f64 v[7:8], -v[3:4], v[5:6], 1.0
	v_fma_f64 v[5:6], v[5:6], v[7:8], v[5:6]
	v_div_scale_f64 v[7:8], vcc_lo, v[1:2], s[68:69], v[1:2]
	v_mul_f64 v[9:10], v[7:8], v[5:6]
	v_fma_f64 v[3:4], -v[3:4], v[9:10], v[7:8]
	v_div_fmas_f64 v[3:4], v[3:4], v[5:6], v[9:10]
	v_div_fixup_f64 v[16:17], v[3:4], s[68:69], v[1:2]
	s_andn2_b32 vcc_lo, exec_lo, s14
	s_cbranch_vccnz .LBB49_8
.LBB49_141:                             ;   in Loop: Header=BB49_5 Depth=1
	ds_write_b64 v37, v[14:15]
	s_waitcnt lgkmcnt(0)
	s_waitcnt_vscnt null, 0x0
	s_barrier
	buffer_gl0_inv
	s_and_saveexec_b32 s13, s0
	s_cbranch_execz .LBB49_143
; %bb.142:                              ;   in Loop: Header=BB49_5 Depth=1
	ds_read2st64_b64 v[1:4], v37 offset1:8
	s_waitcnt lgkmcnt(0)
	v_cmp_lt_f64_e32 vcc_lo, v[1:2], v[3:4]
	v_cndmask_b32_e32 v2, v2, v4, vcc_lo
	v_cndmask_b32_e32 v1, v1, v3, vcc_lo
	ds_write_b64 v37, v[1:2]
.LBB49_143:                             ;   in Loop: Header=BB49_5 Depth=1
	s_or_b32 exec_lo, exec_lo, s13
	s_waitcnt lgkmcnt(0)
	s_barrier
	buffer_gl0_inv
	s_and_saveexec_b32 s13, s1
	s_cbranch_execz .LBB49_145
; %bb.144:                              ;   in Loop: Header=BB49_5 Depth=1
	ds_read2st64_b64 v[1:4], v37 offset1:4
	s_waitcnt lgkmcnt(0)
	v_cmp_lt_f64_e32 vcc_lo, v[1:2], v[3:4]
	v_cndmask_b32_e32 v2, v2, v4, vcc_lo
	v_cndmask_b32_e32 v1, v1, v3, vcc_lo
	ds_write_b64 v37, v[1:2]
.LBB49_145:                             ;   in Loop: Header=BB49_5 Depth=1
	s_or_b32 exec_lo, exec_lo, s13
	s_waitcnt lgkmcnt(0)
	;; [unrolled: 14-line block ×4, first 2 shown]
	s_barrier
	buffer_gl0_inv
	s_and_saveexec_b32 s13, s4
	s_cbranch_execz .LBB49_151
; %bb.150:                              ;   in Loop: Header=BB49_5 Depth=1
	ds_read2_b64 v[1:4], v37 offset1:32
	s_waitcnt lgkmcnt(0)
	v_cmp_lt_f64_e32 vcc_lo, v[1:2], v[3:4]
	v_cndmask_b32_e32 v2, v2, v4, vcc_lo
	v_cndmask_b32_e32 v1, v1, v3, vcc_lo
	ds_write_b64 v37, v[1:2]
.LBB49_151:                             ;   in Loop: Header=BB49_5 Depth=1
	s_or_b32 exec_lo, exec_lo, s13
	s_waitcnt lgkmcnt(0)
	s_barrier
	buffer_gl0_inv
	s_and_saveexec_b32 s13, s5
	s_cbranch_execz .LBB49_153
; %bb.152:                              ;   in Loop: Header=BB49_5 Depth=1
	ds_read2_b64 v[1:4], v37 offset1:16
	s_waitcnt lgkmcnt(0)
	v_cmp_lt_f64_e32 vcc_lo, v[1:2], v[3:4]
	v_cndmask_b32_e32 v2, v2, v4, vcc_lo
	v_cndmask_b32_e32 v1, v1, v3, vcc_lo
	ds_write_b64 v37, v[1:2]
.LBB49_153:                             ;   in Loop: Header=BB49_5 Depth=1
	s_or_b32 exec_lo, exec_lo, s13
	s_waitcnt lgkmcnt(0)
	;; [unrolled: 14-line block ×5, first 2 shown]
	s_barrier
	buffer_gl0_inv
	s_and_saveexec_b32 s13, s9
	s_cbranch_execz .LBB49_161
; %bb.160:                              ;   in Loop: Header=BB49_5 Depth=1
	ds_read_b128 v[1:4], v20
	s_waitcnt lgkmcnt(0)
	v_cmp_lt_f64_e32 vcc_lo, v[1:2], v[3:4]
	v_cndmask_b32_e32 v2, v2, v4, vcc_lo
	v_cndmask_b32_e32 v1, v1, v3, vcc_lo
	ds_write_b64 v20, v[1:2]
.LBB49_161:                             ;   in Loop: Header=BB49_5 Depth=1
	s_or_b32 exec_lo, exec_lo, s13
	s_waitcnt lgkmcnt(0)
	s_barrier
	buffer_gl0_inv
	ds_read_b64 v[1:2], v20
	s_load_dwordx2 s[68:69], s[52:53], 0x0
	s_waitcnt lgkmcnt(0)
	v_div_scale_f64 v[3:4], null, s[68:69], s[68:69], v[1:2]
	v_rcp_f64_e32 v[5:6], v[3:4]
	v_fma_f64 v[7:8], -v[3:4], v[5:6], 1.0
	v_fma_f64 v[5:6], v[5:6], v[7:8], v[5:6]
	v_fma_f64 v[7:8], -v[3:4], v[5:6], 1.0
	v_fma_f64 v[5:6], v[5:6], v[7:8], v[5:6]
	v_div_scale_f64 v[7:8], vcc_lo, v[1:2], s[68:69], v[1:2]
	v_mul_f64 v[9:10], v[7:8], v[5:6]
	v_fma_f64 v[3:4], -v[3:4], v[9:10], v[7:8]
	v_div_fmas_f64 v[3:4], v[3:4], v[5:6], v[9:10]
	v_div_fixup_f64 v[14:15], v[3:4], s[68:69], v[1:2]
	s_and_saveexec_b32 s67, s10
	s_cbranch_execz .LBB49_172
.LBB49_162:                             ;   in Loop: Header=BB49_5 Depth=1
	v_mov_b32_e32 v1, v13
	s_mov_b32 s68, 0
	s_branch .LBB49_165
.LBB49_163:                             ;   in Loop: Header=BB49_165 Depth=2
	s_or_b32 exec_lo, exec_lo, s70
	v_lshlrev_b64 v[6:7], 4, v[1:2]
	v_add_co_u32 v2, vcc_lo, s26, v6
	v_add_co_ci_u32_e64 v3, null, s27, v7, vcc_lo
	v_add_co_u32 v6, vcc_lo, s24, v6
	v_add_co_ci_u32_e64 v7, null, s25, v7, vcc_lo
	global_load_dwordx4 v[2:5], v[2:3], off
	s_waitcnt vmcnt(0)
	global_store_dwordx4 v[6:7], v[2:5], off
.LBB49_164:                             ;   in Loop: Header=BB49_165 Depth=2
	s_or_b32 exec_lo, exec_lo, s69
	v_add_nc_u32_e32 v1, 0x400, v1
	v_cmp_le_u32_e32 vcc_lo, s63, v1
	s_or_b32 s68, vcc_lo, s68
	s_andn2_b32 exec_lo, exec_lo, s68
	s_cbranch_execz .LBB49_172
.LBB49_165:                             ;   Parent Loop BB49_5 Depth=1
                                        ; =>  This Loop Header: Depth=2
                                        ;       Child Loop BB49_168 Depth 3
                                        ;       Child Loop BB49_171 Depth 3
	s_mov_b32 s69, exec_lo
	v_cmpx_gt_i32_e64 s57, v1
	s_cbranch_execz .LBB49_164
; %bb.166:                              ;   in Loop: Header=BB49_165 Depth=2
	v_ashrrev_i32_e32 v2, 31, v1
	s_mov_b32 s70, exec_lo
	v_lshlrev_b64 v[3:4], 2, v[1:2]
	v_add_co_u32 v5, vcc_lo, s16, v3
	v_add_co_ci_u32_e64 v6, null, s17, v4, vcc_lo
	v_add_co_u32 v7, vcc_lo, s18, v3
	v_add_co_ci_u32_e64 v8, null, s19, v4, vcc_lo
	global_load_dword v5, v[5:6], off
	global_load_dword v7, v[7:8], off
	s_waitcnt vmcnt(0)
	v_cmpx_lt_i32_e64 v5, v7
	s_cbranch_execz .LBB49_169
; %bb.167:                              ;   in Loop: Header=BB49_165 Depth=2
	v_subrev_nc_u32_e32 v5, s60, v5
	v_subrev_nc_u32_e32 v10, s60, v7
	s_mov_b32 s71, 0
	v_ashrrev_i32_e32 v6, 31, v5
	v_lshlrev_b64 v[8:9], 4, v[5:6]
	v_add_co_u32 v6, vcc_lo, s22, v8
	v_add_co_ci_u32_e64 v7, null, s23, v9, vcc_lo
	v_add_co_u32 v8, vcc_lo, s34, v8
	v_add_co_ci_u32_e64 v9, null, s35, v9, vcc_lo
	.p2align	6
.LBB49_168:                             ;   Parent Loop BB49_5 Depth=1
                                        ;     Parent Loop BB49_165 Depth=2
                                        ; =>    This Inner Loop Header: Depth=3
	global_load_dwordx4 v[21:24], v[8:9], off
	v_add_nc_u32_e32 v5, 1, v5
	v_add_co_u32 v8, vcc_lo, v8, 16
	v_add_co_ci_u32_e64 v9, null, 0, v9, vcc_lo
	v_cmp_ge_i32_e32 vcc_lo, v5, v10
	s_or_b32 s71, vcc_lo, s71
	s_waitcnt vmcnt(0)
	global_store_dwordx4 v[6:7], v[21:24], off
	v_add_co_u32 v6, s13, v6, 16
	v_add_co_ci_u32_e64 v7, null, 0, v7, s13
	s_andn2_b32 exec_lo, exec_lo, s71
	s_cbranch_execnz .LBB49_168
.LBB49_169:                             ;   in Loop: Header=BB49_165 Depth=2
	s_or_b32 exec_lo, exec_lo, s70
	v_add_co_u32 v5, vcc_lo, s36, v3
	v_add_co_ci_u32_e64 v6, null, s37, v4, vcc_lo
	v_add_co_u32 v7, vcc_lo, s38, v3
	v_add_co_ci_u32_e64 v8, null, s39, v4, vcc_lo
	global_load_dword v3, v[5:6], off
	global_load_dword v5, v[7:8], off
	s_mov_b32 s70, exec_lo
	s_waitcnt vmcnt(0)
	v_cmpx_lt_i32_e64 v3, v5
	s_cbranch_execz .LBB49_163
; %bb.170:                              ;   in Loop: Header=BB49_165 Depth=2
	v_subrev_nc_u32_e32 v3, s62, v3
	v_subrev_nc_u32_e32 v8, s62, v5
	s_mov_b32 s71, 0
	v_ashrrev_i32_e32 v4, 31, v3
	v_lshlrev_b64 v[6:7], 4, v[3:4]
	v_add_co_u32 v4, vcc_lo, s42, v6
	v_add_co_ci_u32_e64 v5, null, s43, v7, vcc_lo
	v_add_co_u32 v6, vcc_lo, s54, v6
	v_add_co_ci_u32_e64 v7, null, s55, v7, vcc_lo
	.p2align	6
.LBB49_171:                             ;   Parent Loop BB49_5 Depth=1
                                        ;     Parent Loop BB49_165 Depth=2
                                        ; =>    This Inner Loop Header: Depth=3
	global_load_dwordx4 v[9:12], v[6:7], off
	v_add_nc_u32_e32 v3, 1, v3
	v_add_co_u32 v6, vcc_lo, v6, 16
	v_add_co_ci_u32_e64 v7, null, 0, v7, vcc_lo
	v_cmp_ge_i32_e32 vcc_lo, v3, v8
	s_or_b32 s71, vcc_lo, s71
	s_waitcnt vmcnt(0)
	global_store_dwordx4 v[4:5], v[9:12], off
	v_add_co_u32 v4, s13, v4, 16
	v_add_co_ci_u32_e64 v5, null, 0, v5, s13
	s_andn2_b32 exec_lo, exec_lo, s71
	s_cbranch_execnz .LBB49_171
	s_branch .LBB49_163
.LBB49_172:                             ;   in Loop: Header=BB49_5 Depth=1
	s_or_b32 exec_lo, exec_lo, s67
	s_mov_b32 s67, -1
	s_and_b32 vcc_lo, exec_lo, s56
	s_mov_b32 s68, -1
	s_cbranch_vccz .LBB49_182
; %bb.173:                              ;   in Loop: Header=BB49_5 Depth=1
	s_and_b32 vcc_lo, exec_lo, s65
	s_mov_b32 s13, -1
                                        ; implicit-def: $sgpr68
	s_cbranch_vccz .LBB49_179
; %bb.174:                              ;   in Loop: Header=BB49_5 Depth=1
	s_and_b32 vcc_lo, exec_lo, s64
                                        ; implicit-def: $sgpr68
	s_cbranch_vccz .LBB49_176
; %bb.175:                              ;   in Loop: Header=BB49_5 Depth=1
	v_cmp_ge_f64_e64 s68, s[50:51], v[14:15]
	s_mov_b32 s13, 0
.LBB49_176:                             ;   in Loop: Header=BB49_5 Depth=1
	s_andn2_b32 vcc_lo, exec_lo, s13
	s_cbranch_vccnz .LBB49_178
; %bb.177:                              ;   in Loop: Header=BB49_5 Depth=1
	v_cmp_ge_f64_e32 vcc_lo, s[50:51], v[16:17]
	s_andn2_b32 s13, s68, exec_lo
	s_and_b32 s68, vcc_lo, exec_lo
	s_or_b32 s68, s13, s68
.LBB49_178:                             ;   in Loop: Header=BB49_5 Depth=1
	s_mov_b32 s13, 0
.LBB49_179:                             ;   in Loop: Header=BB49_5 Depth=1
	s_andn2_b32 vcc_lo, exec_lo, s13
	s_cbranch_vccnz .LBB49_181
; %bb.180:                              ;   in Loop: Header=BB49_5 Depth=1
	v_cmp_ge_f64_e32 vcc_lo, s[50:51], v[16:17]
	v_cmp_ge_f64_e64 s13, s[50:51], v[14:15]
	s_andn2_b32 s68, s68, exec_lo
	s_and_b32 s13, vcc_lo, s13
	s_and_b32 s13, s13, exec_lo
	s_or_b32 s68, s68, s13
.LBB49_181:                             ;   in Loop: Header=BB49_5 Depth=1
	s_xor_b32 s68, s68, -1
.LBB49_182:                             ;   in Loop: Header=BB49_5 Depth=1
	v_mov_b32_e32 v1, s66
	s_and_saveexec_b32 s13, s68
	s_cbranch_execz .LBB49_4
; %bb.183:                              ;   in Loop: Header=BB49_5 Depth=1
	s_add_i32 s66, s66, 1
	v_mov_b32_e32 v1, s15
	s_cmp_eq_u32 s66, s15
	s_cselect_b32 s67, -1, 0
	s_orn2_b32 s67, s67, exec_lo
	s_branch .LBB49_4
.LBB49_184:
	s_or_b32 exec_lo, exec_lo, s58
	s_or_b32 exec_lo, exec_lo, s59
	s_andn2_b32 vcc_lo, exec_lo, s56
	s_cbranch_vccnz .LBB49_2
.LBB49_185:
	v_lshlrev_b32_e32 v3, 2, v0
	s_mov_b32 s0, exec_lo
	v_or_b32_e32 v2, 0x2000, v3
	ds_write_b32 v3, v1 offset:8192
	s_waitcnt lgkmcnt(0)
	s_waitcnt_vscnt null, 0x0
	s_barrier
	buffer_gl0_inv
	v_cmpx_gt_u32_e32 0x200, v0
	s_cbranch_execz .LBB49_187
; %bb.186:
	ds_read2st64_b32 v[3:4], v2 offset1:8
	s_waitcnt lgkmcnt(0)
	v_max_i32_e32 v1, v3, v4
	ds_write_b32 v2, v1
.LBB49_187:
	s_or_b32 exec_lo, exec_lo, s0
	s_mov_b32 s0, exec_lo
	s_waitcnt lgkmcnt(0)
	s_barrier
	buffer_gl0_inv
	v_cmpx_gt_u32_e32 0x100, v0
	s_cbranch_execz .LBB49_189
; %bb.188:
	ds_read2st64_b32 v[3:4], v2 offset1:4
	s_waitcnt lgkmcnt(0)
	v_max_i32_e32 v1, v3, v4
	ds_write_b32 v2, v1
.LBB49_189:
	s_or_b32 exec_lo, exec_lo, s0
	s_mov_b32 s0, exec_lo
	s_waitcnt lgkmcnt(0)
	;; [unrolled: 13-line block ×4, first 2 shown]
	s_barrier
	buffer_gl0_inv
	v_cmpx_gt_u32_e32 32, v0
	s_cbranch_execz .LBB49_195
; %bb.194:
	ds_read2_b32 v[3:4], v2 offset1:32
	s_waitcnt lgkmcnt(0)
	v_max_i32_e32 v1, v3, v4
	ds_write_b32 v2, v1
.LBB49_195:
	s_or_b32 exec_lo, exec_lo, s0
	s_mov_b32 s0, exec_lo
	s_waitcnt lgkmcnt(0)
	s_barrier
	buffer_gl0_inv
	v_cmpx_gt_u32_e32 16, v0
	s_cbranch_execz .LBB49_197
; %bb.196:
	ds_read2_b32 v[3:4], v2 offset1:16
	s_waitcnt lgkmcnt(0)
	v_max_i32_e32 v1, v3, v4
	ds_write_b32 v2, v1
.LBB49_197:
	s_or_b32 exec_lo, exec_lo, s0
	s_mov_b32 s0, exec_lo
	s_waitcnt lgkmcnt(0)
	;; [unrolled: 13-line block ×4, first 2 shown]
	s_barrier
	buffer_gl0_inv
	v_cmpx_gt_u32_e32 2, v0
	s_cbranch_execz .LBB49_203
; %bb.202:
	ds_read2_b32 v[3:4], v2 offset1:2
	s_waitcnt lgkmcnt(0)
	v_max_i32_e32 v1, v3, v4
	ds_write_b32 v2, v1
.LBB49_203:
	s_or_b32 exec_lo, exec_lo, s0
	v_cmp_eq_u32_e32 vcc_lo, 0, v0
	s_waitcnt lgkmcnt(0)
	s_barrier
	buffer_gl0_inv
	s_and_saveexec_b32 s0, vcc_lo
	s_cbranch_execz .LBB49_205
; %bb.204:
	v_mov_b32_e32 v3, 0
	ds_read_b64 v[1:2], v3 offset:8192
	s_waitcnt lgkmcnt(0)
	v_max_i32_e32 v1, v1, v2
	ds_write_b32 v3, v1 offset:8192
.LBB49_205:
	s_or_b32 exec_lo, exec_lo, s0
	s_waitcnt lgkmcnt(0)
	s_barrier
	buffer_gl0_inv
	s_and_saveexec_b32 s0, vcc_lo
	s_cbranch_execz .LBB49_208
; %bb.206:
	v_mbcnt_lo_u32_b32 v1, exec_lo, 0
	v_cmp_eq_u32_e32 vcc_lo, 0, v1
	s_and_b32 exec_lo, exec_lo, vcc_lo
	s_cbranch_execz .LBB49_208
; %bb.207:
	v_mov_b32_e32 v1, 0
	ds_read_b32 v2, v1 offset:8192
	s_waitcnt lgkmcnt(0)
	v_add_nc_u32_e32 v2, 1, v2
	global_atomic_smax v1, v2, s[48:49]
.LBB49_208:
	s_or_b32 exec_lo, exec_lo, s0
	v_cmp_eq_u32_e32 vcc_lo, 0, v0
	s_and_b32 s0, vcc_lo, s33
	s_and_saveexec_b32 s1, s0
	s_cbranch_execz .LBB49_215
.LBB49_209:
	v_mov_b32_e32 v0, 0
	v_mov_b32_e32 v1, 0x7ff80000
	s_mov_b32 s0, exec_lo
.LBB49_210:                             ; =>This Inner Loop Header: Depth=1
	s_ff1_i32_b32 s4, s0
	v_max_f64 v[0:1], v[0:1], v[0:1]
	v_readlane_b32 s3, v17, s4
	v_readlane_b32 s2, v16, s4
	v_max_f64 v[2:3], s[2:3], s[2:3]
	s_lshl_b32 s2, 1, s4
	s_andn2_b32 s0, s0, s2
	s_cmp_lg_u32 s0, 0
	v_max_f64 v[0:1], v[0:1], v[2:3]
	s_cbranch_scc1 .LBB49_210
; %bb.211:
	v_mbcnt_lo_u32_b32 v2, exec_lo, 0
	s_mov_b32 s2, 0
	s_mov_b32 s3, exec_lo
	v_cmpx_eq_u32_e32 0, v2
	s_xor_b32 s3, exec_lo, s3
	s_cbranch_execz .LBB49_215
; %bb.212:
	v_mov_b32_e32 v6, 0
	v_max_f64 v[4:5], v[0:1], v[0:1]
	global_load_dwordx2 v[2:3], v6, s[44:45]
.LBB49_213:                             ; =>This Inner Loop Header: Depth=1
	s_waitcnt vmcnt(0)
	v_max_f64 v[0:1], v[2:3], v[2:3]
	v_max_f64 v[0:1], v[0:1], v[4:5]
	global_atomic_cmpswap_x2 v[0:1], v6, v[0:3], s[44:45] glc
	s_waitcnt vmcnt(0)
	v_cmp_eq_u64_e64 s0, v[0:1], v[2:3]
	v_mov_b32_e32 v3, v1
	v_mov_b32_e32 v2, v0
	s_or_b32 s2, s0, s2
	s_andn2_b32 exec_lo, exec_lo, s2
	s_cbranch_execnz .LBB49_213
; %bb.214:
	s_or_b32 exec_lo, exec_lo, s2
.LBB49_215:
	s_or_b32 exec_lo, exec_lo, s1
	s_and_b32 s0, vcc_lo, s14
	s_and_saveexec_b32 s1, s0
	s_cbranch_execz .LBB49_221
; %bb.216:
	v_mov_b32_e32 v0, 0
	v_mov_b32_e32 v1, 0x7ff80000
	s_mov_b32 s0, exec_lo
.LBB49_217:                             ; =>This Inner Loop Header: Depth=1
	s_ff1_i32_b32 s1, s0
	v_max_f64 v[0:1], v[0:1], v[0:1]
	v_readlane_b32 s3, v15, s1
	v_readlane_b32 s2, v14, s1
	s_lshl_b32 s1, 1, s1
	s_andn2_b32 s0, s0, s1
	v_max_f64 v[2:3], s[2:3], s[2:3]
	s_cmp_lg_u32 s0, 0
	v_max_f64 v[0:1], v[0:1], v[2:3]
	s_cbranch_scc1 .LBB49_217
; %bb.218:
	v_mbcnt_lo_u32_b32 v2, exec_lo, 0
	s_mov_b32 s0, 0
	s_mov_b32 s1, exec_lo
	v_cmpx_eq_u32_e32 0, v2
	s_xor_b32 s1, exec_lo, s1
	s_cbranch_execz .LBB49_221
; %bb.219:
	v_mov_b32_e32 v6, 0
	v_max_f64 v[4:5], v[0:1], v[0:1]
	global_load_dwordx2 v[2:3], v6, s[46:47]
.LBB49_220:                             ; =>This Inner Loop Header: Depth=1
	s_waitcnt vmcnt(0)
	v_max_f64 v[0:1], v[2:3], v[2:3]
	v_max_f64 v[0:1], v[0:1], v[4:5]
	global_atomic_cmpswap_x2 v[0:1], v6, v[0:3], s[46:47] glc
	s_waitcnt vmcnt(0)
	v_cmp_eq_u64_e32 vcc_lo, v[0:1], v[2:3]
	v_mov_b32_e32 v3, v1
	v_mov_b32_e32 v2, v0
	s_or_b32 s0, vcc_lo, s0
	s_andn2_b32 exec_lo, exec_lo, s0
	s_cbranch_execnz .LBB49_220
.LBB49_221:
	s_endpgm
	.section	.rodata,"a",@progbits
	.p2align	6, 0x0
	.amdhsa_kernel _ZN9rocsparseL6kernelILi1024ELi1E21rocsparse_complex_numIdEiiEEvbbbT3_PS3_NS_15floating_traitsIT1_E6data_tES3_T2_PKS9_SB_PKS3_PKS6_21rocsparse_index_base_SB_SB_SD_PS6_SH_SG_SB_SB_SD_SH_SH_SG_SH_SH_PS8_SI_PKS8_
		.amdhsa_group_segment_fixed_size 12288
		.amdhsa_private_segment_fixed_size 0
		.amdhsa_kernarg_size 208
		.amdhsa_user_sgpr_count 6
		.amdhsa_user_sgpr_private_segment_buffer 1
		.amdhsa_user_sgpr_dispatch_ptr 0
		.amdhsa_user_sgpr_queue_ptr 0
		.amdhsa_user_sgpr_kernarg_segment_ptr 1
		.amdhsa_user_sgpr_dispatch_id 0
		.amdhsa_user_sgpr_flat_scratch_init 0
		.amdhsa_user_sgpr_private_segment_size 0
		.amdhsa_wavefront_size32 1
		.amdhsa_uses_dynamic_stack 0
		.amdhsa_system_sgpr_private_segment_wavefront_offset 0
		.amdhsa_system_sgpr_workgroup_id_x 1
		.amdhsa_system_sgpr_workgroup_id_y 0
		.amdhsa_system_sgpr_workgroup_id_z 0
		.amdhsa_system_sgpr_workgroup_info 0
		.amdhsa_system_vgpr_workitem_id 0
		.amdhsa_next_free_vgpr 52
		.amdhsa_next_free_sgpr 79
		.amdhsa_reserve_vcc 1
		.amdhsa_reserve_flat_scratch 0
		.amdhsa_float_round_mode_32 0
		.amdhsa_float_round_mode_16_64 0
		.amdhsa_float_denorm_mode_32 3
		.amdhsa_float_denorm_mode_16_64 3
		.amdhsa_dx10_clamp 1
		.amdhsa_ieee_mode 1
		.amdhsa_fp16_overflow 0
		.amdhsa_workgroup_processor_mode 1
		.amdhsa_memory_ordered 1
		.amdhsa_forward_progress 1
		.amdhsa_shared_vgpr_count 0
		.amdhsa_exception_fp_ieee_invalid_op 0
		.amdhsa_exception_fp_denorm_src 0
		.amdhsa_exception_fp_ieee_div_zero 0
		.amdhsa_exception_fp_ieee_overflow 0
		.amdhsa_exception_fp_ieee_underflow 0
		.amdhsa_exception_fp_ieee_inexact 0
		.amdhsa_exception_int_div_zero 0
	.end_amdhsa_kernel
	.section	.text._ZN9rocsparseL6kernelILi1024ELi1E21rocsparse_complex_numIdEiiEEvbbbT3_PS3_NS_15floating_traitsIT1_E6data_tES3_T2_PKS9_SB_PKS3_PKS6_21rocsparse_index_base_SB_SB_SD_PS6_SH_SG_SB_SB_SD_SH_SH_SG_SH_SH_PS8_SI_PKS8_,"axG",@progbits,_ZN9rocsparseL6kernelILi1024ELi1E21rocsparse_complex_numIdEiiEEvbbbT3_PS3_NS_15floating_traitsIT1_E6data_tES3_T2_PKS9_SB_PKS3_PKS6_21rocsparse_index_base_SB_SB_SD_PS6_SH_SG_SB_SB_SD_SH_SH_SG_SH_SH_PS8_SI_PKS8_,comdat
.Lfunc_end49:
	.size	_ZN9rocsparseL6kernelILi1024ELi1E21rocsparse_complex_numIdEiiEEvbbbT3_PS3_NS_15floating_traitsIT1_E6data_tES3_T2_PKS9_SB_PKS3_PKS6_21rocsparse_index_base_SB_SB_SD_PS6_SH_SG_SB_SB_SD_SH_SH_SG_SH_SH_PS8_SI_PKS8_, .Lfunc_end49-_ZN9rocsparseL6kernelILi1024ELi1E21rocsparse_complex_numIdEiiEEvbbbT3_PS3_NS_15floating_traitsIT1_E6data_tES3_T2_PKS9_SB_PKS3_PKS6_21rocsparse_index_base_SB_SB_SD_PS6_SH_SG_SB_SB_SD_SH_SH_SG_SH_SH_PS8_SI_PKS8_
                                        ; -- End function
	.set _ZN9rocsparseL6kernelILi1024ELi1E21rocsparse_complex_numIdEiiEEvbbbT3_PS3_NS_15floating_traitsIT1_E6data_tES3_T2_PKS9_SB_PKS3_PKS6_21rocsparse_index_base_SB_SB_SD_PS6_SH_SG_SB_SB_SD_SH_SH_SG_SH_SH_PS8_SI_PKS8_.num_vgpr, 52
	.set _ZN9rocsparseL6kernelILi1024ELi1E21rocsparse_complex_numIdEiiEEvbbbT3_PS3_NS_15floating_traitsIT1_E6data_tES3_T2_PKS9_SB_PKS3_PKS6_21rocsparse_index_base_SB_SB_SD_PS6_SH_SG_SB_SB_SD_SH_SH_SG_SH_SH_PS8_SI_PKS8_.num_agpr, 0
	.set _ZN9rocsparseL6kernelILi1024ELi1E21rocsparse_complex_numIdEiiEEvbbbT3_PS3_NS_15floating_traitsIT1_E6data_tES3_T2_PKS9_SB_PKS3_PKS6_21rocsparse_index_base_SB_SB_SD_PS6_SH_SG_SB_SB_SD_SH_SH_SG_SH_SH_PS8_SI_PKS8_.numbered_sgpr, 79
	.set _ZN9rocsparseL6kernelILi1024ELi1E21rocsparse_complex_numIdEiiEEvbbbT3_PS3_NS_15floating_traitsIT1_E6data_tES3_T2_PKS9_SB_PKS3_PKS6_21rocsparse_index_base_SB_SB_SD_PS6_SH_SG_SB_SB_SD_SH_SH_SG_SH_SH_PS8_SI_PKS8_.num_named_barrier, 0
	.set _ZN9rocsparseL6kernelILi1024ELi1E21rocsparse_complex_numIdEiiEEvbbbT3_PS3_NS_15floating_traitsIT1_E6data_tES3_T2_PKS9_SB_PKS3_PKS6_21rocsparse_index_base_SB_SB_SD_PS6_SH_SG_SB_SB_SD_SH_SH_SG_SH_SH_PS8_SI_PKS8_.private_seg_size, 0
	.set _ZN9rocsparseL6kernelILi1024ELi1E21rocsparse_complex_numIdEiiEEvbbbT3_PS3_NS_15floating_traitsIT1_E6data_tES3_T2_PKS9_SB_PKS3_PKS6_21rocsparse_index_base_SB_SB_SD_PS6_SH_SG_SB_SB_SD_SH_SH_SG_SH_SH_PS8_SI_PKS8_.uses_vcc, 1
	.set _ZN9rocsparseL6kernelILi1024ELi1E21rocsparse_complex_numIdEiiEEvbbbT3_PS3_NS_15floating_traitsIT1_E6data_tES3_T2_PKS9_SB_PKS3_PKS6_21rocsparse_index_base_SB_SB_SD_PS6_SH_SG_SB_SB_SD_SH_SH_SG_SH_SH_PS8_SI_PKS8_.uses_flat_scratch, 0
	.set _ZN9rocsparseL6kernelILi1024ELi1E21rocsparse_complex_numIdEiiEEvbbbT3_PS3_NS_15floating_traitsIT1_E6data_tES3_T2_PKS9_SB_PKS3_PKS6_21rocsparse_index_base_SB_SB_SD_PS6_SH_SG_SB_SB_SD_SH_SH_SG_SH_SH_PS8_SI_PKS8_.has_dyn_sized_stack, 0
	.set _ZN9rocsparseL6kernelILi1024ELi1E21rocsparse_complex_numIdEiiEEvbbbT3_PS3_NS_15floating_traitsIT1_E6data_tES3_T2_PKS9_SB_PKS3_PKS6_21rocsparse_index_base_SB_SB_SD_PS6_SH_SG_SB_SB_SD_SH_SH_SG_SH_SH_PS8_SI_PKS8_.has_recursion, 0
	.set _ZN9rocsparseL6kernelILi1024ELi1E21rocsparse_complex_numIdEiiEEvbbbT3_PS3_NS_15floating_traitsIT1_E6data_tES3_T2_PKS9_SB_PKS3_PKS6_21rocsparse_index_base_SB_SB_SD_PS6_SH_SG_SB_SB_SD_SH_SH_SG_SH_SH_PS8_SI_PKS8_.has_indirect_call, 0
	.section	.AMDGPU.csdata,"",@progbits
; Kernel info:
; codeLenInByte = 10288
; TotalNumSgprs: 81
; NumVgprs: 52
; ScratchSize: 0
; MemoryBound: 1
; FloatMode: 240
; IeeeMode: 1
; LDSByteSize: 12288 bytes/workgroup (compile time only)
; SGPRBlocks: 0
; VGPRBlocks: 6
; NumSGPRsForWavesPerEU: 81
; NumVGPRsForWavesPerEU: 52
; Occupancy: 16
; WaveLimiterHint : 1
; COMPUTE_PGM_RSRC2:SCRATCH_EN: 0
; COMPUTE_PGM_RSRC2:USER_SGPR: 6
; COMPUTE_PGM_RSRC2:TRAP_HANDLER: 0
; COMPUTE_PGM_RSRC2:TGID_X_EN: 1
; COMPUTE_PGM_RSRC2:TGID_Y_EN: 0
; COMPUTE_PGM_RSRC2:TGID_Z_EN: 0
; COMPUTE_PGM_RSRC2:TIDIG_COMP_CNT: 0
	.section	.text._ZN9rocsparseL6kernelILi1024ELi2E21rocsparse_complex_numIdEiiEEvbbbT3_PS3_NS_15floating_traitsIT1_E6data_tES3_T2_PKS9_SB_PKS3_PKS6_21rocsparse_index_base_SB_SB_SD_PS6_SH_SG_SB_SB_SD_SH_SH_SG_SH_SH_PS8_SI_PKS8_,"axG",@progbits,_ZN9rocsparseL6kernelILi1024ELi2E21rocsparse_complex_numIdEiiEEvbbbT3_PS3_NS_15floating_traitsIT1_E6data_tES3_T2_PKS9_SB_PKS3_PKS6_21rocsparse_index_base_SB_SB_SD_PS6_SH_SG_SB_SB_SD_SH_SH_SG_SH_SH_PS8_SI_PKS8_,comdat
	.globl	_ZN9rocsparseL6kernelILi1024ELi2E21rocsparse_complex_numIdEiiEEvbbbT3_PS3_NS_15floating_traitsIT1_E6data_tES3_T2_PKS9_SB_PKS3_PKS6_21rocsparse_index_base_SB_SB_SD_PS6_SH_SG_SB_SB_SD_SH_SH_SG_SH_SH_PS8_SI_PKS8_ ; -- Begin function _ZN9rocsparseL6kernelILi1024ELi2E21rocsparse_complex_numIdEiiEEvbbbT3_PS3_NS_15floating_traitsIT1_E6data_tES3_T2_PKS9_SB_PKS3_PKS6_21rocsparse_index_base_SB_SB_SD_PS6_SH_SG_SB_SB_SD_SH_SH_SG_SH_SH_PS8_SI_PKS8_
	.p2align	8
	.type	_ZN9rocsparseL6kernelILi1024ELi2E21rocsparse_complex_numIdEiiEEvbbbT3_PS3_NS_15floating_traitsIT1_E6data_tES3_T2_PKS9_SB_PKS3_PKS6_21rocsparse_index_base_SB_SB_SD_PS6_SH_SG_SB_SB_SD_SH_SH_SG_SH_SH_PS8_SI_PKS8_,@function
_ZN9rocsparseL6kernelILi1024ELi2E21rocsparse_complex_numIdEiiEEvbbbT3_PS3_NS_15floating_traitsIT1_E6data_tES3_T2_PKS9_SB_PKS3_PKS6_21rocsparse_index_base_SB_SB_SD_PS6_SH_SG_SB_SB_SD_SH_SH_SG_SH_SH_PS8_SI_PKS8_: ; @_ZN9rocsparseL6kernelILi1024ELi2E21rocsparse_complex_numIdEiiEEvbbbT3_PS3_NS_15floating_traitsIT1_E6data_tES3_T2_PKS9_SB_PKS3_PKS6_21rocsparse_index_base_SB_SB_SD_PS6_SH_SG_SB_SB_SD_SH_SH_SG_SH_SH_PS8_SI_PKS8_
; %bb.0:
	s_clause 0x4
	s_load_dword s0, s[4:5], 0x0
	s_load_dwordx2 s[14:15], s[4:5], 0x0
	s_load_dword s60, s[4:5], 0x18
	s_load_dwordx4 s[48:51], s[4:5], 0x8
	s_load_dwordx4 s[44:47], s[4:5], 0xb8
	v_lshrrev_b32_e32 v37, 1, v0
	v_mov_b32_e32 v1, 0
	v_mov_b32_e32 v15, 0
	;; [unrolled: 1-line block ×3, first 2 shown]
	v_lshlrev_b32_e32 v39, 3, v0
	v_and_b32_e32 v38, 1, v0
	v_mov_b32_e32 v2, v1
	v_mov_b32_e32 v16, 0
	;; [unrolled: 1-line block ×3, first 2 shown]
	v_mbcnt_lo_u32_b32 v40, -1, 0
	s_mov_b32 s62, 0
	ds_write_b64 v39, v[1:2]
	s_waitcnt lgkmcnt(0)
	s_barrier
	buffer_gl0_inv
	s_bitcmp1_b32 s0, 0
	s_cselect_b32 s61, -1, 0
	s_bitcmp1_b32 s0, 8
	s_cselect_b32 s33, -1, 0
	;; [unrolled: 2-line block ×3, first 2 shown]
	s_lshl_b32 s67, s6, 10
	s_cmp_gt_i32 s15, 0
	v_or_b32_e32 v41, s67, v37
	s_cselect_b32 s0, -1, 0
	v_cmp_gt_i32_e32 vcc_lo, s60, v41
	s_and_b32 s0, s0, vcc_lo
	s_and_saveexec_b32 s63, s0
	s_cbranch_execnz .LBB50_3
; %bb.1:
	s_or_b32 exec_lo, exec_lo, s63
	s_andn2_b32 vcc_lo, exec_lo, s61
	s_cbranch_vccz .LBB50_190
.LBB50_2:
	v_cmp_eq_u32_e32 vcc_lo, 0, v0
	s_and_b32 s0, vcc_lo, s33
	s_and_saveexec_b32 s1, s0
	s_cbranch_execnz .LBB50_214
	s_branch .LBB50_220
.LBB50_3:
	s_clause 0x9
	s_load_dword s64, s[4:5], 0x40
	s_load_dwordx2 s[34:35], s[4:5], 0xc8
	s_load_dwordx4 s[52:55], s[4:5], 0xa8
	s_load_dwordx2 s[56:57], s[4:5], 0x68
	s_load_dword s65, s[4:5], 0x70
	s_load_dwordx2 s[58:59], s[4:5], 0x98
	s_load_dword s66, s[4:5], 0xa0
	s_load_dwordx8 s[16:23], s[4:5], 0x78
	s_load_dwordx8 s[24:31], s[4:5], 0x48
	;; [unrolled: 1-line block ×3, first 2 shown]
	s_addk_i32 s67, 0x400
	v_mov_b32_e32 v13, 0
	v_mov_b32_e32 v15, 0
	v_cmp_eq_u32_e64 s0, 0, v38
	v_cmp_ne_u32_e64 s1, 0, v38
	v_lshlrev_b32_e32 v42, 3, v37
	v_cmp_gt_u32_e64 s2, 0x100, v0
	v_cmp_gt_u32_e64 s3, 0x80, v0
	;; [unrolled: 1-line block ×6, first 2 shown]
	s_waitcnt lgkmcnt(0)
	v_subrev_nc_u32_e32 v43, s64, v38
	v_cmp_gt_u32_e64 s8, 8, v0
	v_cmp_gt_u32_e64 s9, 4, v0
	;; [unrolled: 1-line block ×3, first 2 shown]
	v_cmp_eq_u32_e64 s11, 0, v0
	v_subrev_nc_u32_e32 v44, s65, v38
	v_subrev_nc_u32_e32 v45, s66, v38
	v_mov_b32_e32 v14, 0
	v_mov_b32_e32 v16, 0
	;; [unrolled: 1-line block ×3, first 2 shown]
	s_and_b32 s12, s33, s14
	s_xor_b32 s68, s33, -1
	s_xor_b32 s69, s12, -1
	s_mov_b32 s70, 0
	s_branch .LBB50_5
.LBB50_4:                               ;   in Loop: Header=BB50_5 Depth=1
	s_or_b32 exec_lo, exec_lo, s12
	s_and_b32 s12, exec_lo, s13
	s_or_b32 s62, s12, s62
	s_andn2_b32 exec_lo, exec_lo, s62
	s_cbranch_execz .LBB50_189
.LBB50_5:                               ; =>This Loop Header: Depth=1
                                        ;     Child Loop BB50_9 Depth 2
                                        ;       Child Loop BB50_14 Depth 3
                                        ;         Child Loop BB50_18 Depth 4
                                        ;         Child Loop BB50_53 Depth 4
	;; [unrolled: 1-line block ×5, first 2 shown]
                                        ;     Child Loop BB50_168 Depth 2
                                        ;       Child Loop BB50_171 Depth 3
                                        ;       Child Loop BB50_174 Depth 3
	v_cndmask_b32_e64 v16, v16, 0, s33
	v_cndmask_b32_e64 v15, v15, 0, s33
	;; [unrolled: 1-line block ×4, first 2 shown]
	s_mov_b32 s12, 0
	s_mov_b32 s71, -1
	s_branch .LBB50_9
.LBB50_6:                               ;   in Loop: Header=BB50_9 Depth=2
	s_or_b32 exec_lo, exec_lo, s74
.LBB50_7:                               ;   in Loop: Header=BB50_9 Depth=2
	s_or_b32 exec_lo, exec_lo, s73
.LBB50_8:                               ;   in Loop: Header=BB50_9 Depth=2
	s_or_b32 exec_lo, exec_lo, s72
	s_xor_b32 s13, s71, -1
	s_movk_i32 s12, 0x200
	s_and_b32 vcc_lo, exec_lo, s13
	s_mov_b32 s71, 0
	s_cbranch_vccnz .LBB50_121
.LBB50_9:                               ;   Parent Loop BB50_5 Depth=1
                                        ; =>  This Loop Header: Depth=2
                                        ;       Child Loop BB50_14 Depth 3
                                        ;         Child Loop BB50_18 Depth 4
                                        ;         Child Loop BB50_53 Depth 4
	;; [unrolled: 1-line block ×5, first 2 shown]
	v_or_b32_e32 v19, s12, v41
	s_mov_b32 s72, exec_lo
	v_cmpx_gt_i32_e64 s60, v19
	s_cbranch_execz .LBB50_8
; %bb.10:                               ;   in Loop: Header=BB50_9 Depth=2
	v_ashrrev_i32_e32 v20, 31, v19
	s_mov_b32 s73, exec_lo
	v_lshlrev_b64 v[1:2], 2, v[19:20]
	v_add_co_u32 v3, vcc_lo, s36, v1
	v_add_co_ci_u32_e64 v4, null, s37, v2, vcc_lo
	v_add_co_u32 v5, vcc_lo, s38, v1
	v_add_co_ci_u32_e64 v6, null, s39, v2, vcc_lo
	global_load_dword v3, v[3:4], off
	global_load_dword v4, v[5:6], off
	s_waitcnt vmcnt(1)
	v_add_nc_u32_e32 v20, v43, v3
	s_waitcnt vmcnt(0)
	v_subrev_nc_u32_e32 v46, s64, v4
	v_cmpx_lt_i32_e64 v20, v46
	s_cbranch_execz .LBB50_7
; %bb.11:                               ;   in Loop: Header=BB50_9 Depth=2
	v_add_co_u32 v3, vcc_lo, s24, v1
	v_add_co_ci_u32_e64 v4, null, s25, v2, vcc_lo
	v_add_co_u32 v1, vcc_lo, s26, v1
	v_add_co_ci_u32_e64 v2, null, s27, v2, vcc_lo
	global_load_dword v3, v[3:4], off
	s_mov_b32 s74, 0
	global_load_dword v4, v[1:2], off
	s_waitcnt vmcnt(1)
	v_subrev_nc_u32_e32 v22, s65, v3
	s_waitcnt vmcnt(0)
	v_sub_nc_u32_e32 v47, v4, v3
	v_ashrrev_i32_e32 v23, 31, v22
	v_cmp_lt_i32_e64 s12, 0, v47
	v_lshlrev_b64 v[1:2], 2, v[22:23]
	v_lshlrev_b64 v[3:4], 4, v[22:23]
	v_add_co_u32 v48, vcc_lo, s28, v1
	v_add_co_ci_u32_e64 v49, null, s29, v2, vcc_lo
	v_add_co_u32 v50, vcc_lo, s30, v3
	v_add_co_ci_u32_e64 v51, null, s31, v4, vcc_lo
	s_branch .LBB50_14
.LBB50_12:                              ;   in Loop: Header=BB50_14 Depth=3
	s_or_b32 exec_lo, exec_lo, s75
.LBB50_13:                              ;   in Loop: Header=BB50_14 Depth=3
	s_or_b32 exec_lo, exec_lo, s13
	v_add_nc_u32_e32 v20, 2, v20
	v_cmp_ge_i32_e32 vcc_lo, v20, v46
	s_or_b32 s74, vcc_lo, s74
	s_andn2_b32 exec_lo, exec_lo, s74
	s_cbranch_execz .LBB50_6
.LBB50_14:                              ;   Parent Loop BB50_5 Depth=1
                                        ;     Parent Loop BB50_9 Depth=2
                                        ; =>    This Loop Header: Depth=3
                                        ;         Child Loop BB50_18 Depth 4
                                        ;         Child Loop BB50_53 Depth 4
	;; [unrolled: 1-line block ×5, first 2 shown]
	v_ashrrev_i32_e32 v21, 31, v20
	v_mov_b32_e32 v17, 0
	v_mov_b32_e32 v25, 0
	;; [unrolled: 1-line block ×4, first 2 shown]
	v_lshlrev_b64 v[1:2], 2, v[20:21]
	v_mov_b32_e32 v28, 0
	v_mov_b32_e32 v30, v17
	v_add_co_u32 v1, vcc_lo, s40, v1
	v_add_co_ci_u32_e64 v2, null, s41, v2, vcc_lo
	global_load_dword v1, v[1:2], off
	s_waitcnt vmcnt(0)
	v_subrev_nc_u32_e32 v23, s64, v1
	v_ashrrev_i32_e32 v24, 31, v23
	v_lshlrev_b64 v[1:2], 2, v[23:24]
	v_add_co_u32 v3, vcc_lo, s16, v1
	v_add_co_ci_u32_e64 v4, null, s17, v2, vcc_lo
	v_add_co_u32 v1, vcc_lo, s18, v1
	v_add_co_ci_u32_e64 v2, null, s19, v2, vcc_lo
	global_load_dword v3, v[3:4], off
	global_load_dword v1, v[1:2], off
	s_waitcnt vmcnt(1)
	v_subrev_nc_u32_e32 v29, s66, v3
	s_waitcnt vmcnt(0)
	v_sub_nc_u32_e32 v52, v1, v3
	s_and_saveexec_b32 s75, s12
	s_cbranch_execz .LBB50_22
; %bb.15:                               ;   in Loop: Header=BB50_14 Depth=3
	v_ashrrev_i32_e32 v30, 31, v29
	v_mov_b32_e32 v25, 0
	v_mov_b32_e32 v27, 0
	;; [unrolled: 1-line block ×4, first 2 shown]
	v_lshlrev_b64 v[1:2], 2, v[29:30]
	v_lshlrev_b64 v[3:4], 4, v[29:30]
	v_mov_b32_e32 v30, 0
	v_mov_b32_e32 v17, 0
	s_mov_b32 s76, 0
                                        ; implicit-def: $sgpr77
	v_add_co_u32 v1, vcc_lo, s20, v1
	v_add_co_ci_u32_e64 v2, null, s21, v2, vcc_lo
	v_add_co_u32 v3, vcc_lo, s22, v3
	v_add_co_ci_u32_e64 v4, null, s23, v4, vcc_lo
	s_branch .LBB50_18
.LBB50_16:                              ;   in Loop: Header=BB50_18 Depth=4
	s_or_b32 exec_lo, exec_lo, s13
	v_cmp_le_i32_e32 vcc_lo, v5, v6
	v_cmp_ge_i32_e64 s13, v5, v6
	v_add_co_ci_u32_e64 v17, null, 0, v17, vcc_lo
	v_add_co_ci_u32_e64 v30, null, 0, v30, s13
	s_andn2_b32 s13, s77, exec_lo
	v_cmp_ge_i32_e32 vcc_lo, v17, v47
	s_and_b32 s77, vcc_lo, exec_lo
	s_or_b32 s77, s13, s77
.LBB50_17:                              ;   in Loop: Header=BB50_18 Depth=4
	s_or_b32 exec_lo, exec_lo, s78
	s_and_b32 s13, exec_lo, s77
	s_or_b32 s76, s13, s76
	s_andn2_b32 exec_lo, exec_lo, s76
	s_cbranch_execz .LBB50_21
.LBB50_18:                              ;   Parent Loop BB50_5 Depth=1
                                        ;     Parent Loop BB50_9 Depth=2
                                        ;       Parent Loop BB50_14 Depth=3
                                        ; =>      This Inner Loop Header: Depth=4
	s_or_b32 s77, s77, exec_lo
	s_mov_b32 s78, exec_lo
	v_cmpx_lt_i32_e64 v30, v52
	s_cbranch_execz .LBB50_17
; %bb.19:                               ;   in Loop: Header=BB50_18 Depth=4
	v_mov_b32_e32 v31, v18
	v_lshlrev_b64 v[5:6], 2, v[17:18]
	s_mov_b32 s13, exec_lo
	v_lshlrev_b64 v[7:8], 2, v[30:31]
	v_add_co_u32 v5, vcc_lo, v48, v5
	v_add_co_ci_u32_e64 v6, null, v49, v6, vcc_lo
	v_add_co_u32 v7, vcc_lo, v1, v7
	v_add_co_ci_u32_e64 v8, null, v2, v8, vcc_lo
	global_load_dword v5, v[5:6], off
	global_load_dword v6, v[7:8], off
	s_waitcnt vmcnt(1)
	v_subrev_nc_u32_e32 v5, s65, v5
	s_waitcnt vmcnt(0)
	v_subrev_nc_u32_e32 v6, s66, v6
	v_cmpx_eq_u32_e64 v5, v6
	s_cbranch_execz .LBB50_16
; %bb.20:                               ;   in Loop: Header=BB50_18 Depth=4
	v_lshlrev_b64 v[7:8], 4, v[17:18]
	v_lshlrev_b64 v[9:10], 4, v[30:31]
	v_add_co_u32 v7, vcc_lo, v50, v7
	v_add_co_ci_u32_e64 v8, null, v51, v8, vcc_lo
	v_add_co_u32 v11, vcc_lo, v3, v9
	v_add_co_ci_u32_e64 v12, null, v4, v10, vcc_lo
	global_load_dwordx4 v[7:10], v[7:8], off
	global_load_dwordx4 v[31:34], v[11:12], off
	s_waitcnt vmcnt(0)
	v_fma_f64 v[11:12], v[7:8], v[31:32], v[25:26]
	v_fma_f64 v[27:28], v[9:10], v[31:32], v[27:28]
	v_fma_f64 v[25:26], -v[9:10], v[33:34], v[11:12]
	v_fma_f64 v[27:28], v[7:8], v[33:34], v[27:28]
	s_branch .LBB50_16
.LBB50_21:                              ;   in Loop: Header=BB50_14 Depth=3
	s_or_b32 exec_lo, exec_lo, s76
.LBB50_22:                              ;   in Loop: Header=BB50_14 Depth=3
	s_or_b32 exec_lo, exec_lo, s75
	v_lshlrev_b64 v[1:2], 4, v[20:21]
	v_cmp_le_i32_e64 s13, v19, v23
	s_mov_b32 s75, exec_lo
	v_add_co_u32 v1, vcc_lo, s42, v1
	v_add_co_ci_u32_e64 v2, null, s43, v2, vcc_lo
	global_load_dwordx4 v[1:4], v[1:2], off
	s_waitcnt vmcnt(0)
	v_add_f64 v[5:6], v[1:2], -v[25:26]
	v_add_f64 v[7:8], v[3:4], -v[27:28]
	v_cmpx_gt_i32_e64 v19, v23
	s_cbranch_execz .LBB50_32
; %bb.23:                               ;   in Loop: Header=BB50_14 Depth=3
	v_lshlrev_b64 v[9:10], 4, v[23:24]
	s_mov_b32 s76, exec_lo
                                        ; implicit-def: $vgpr35_vgpr36
	v_add_co_u32 v9, vcc_lo, s52, v9
	v_add_co_ci_u32_e64 v10, null, s53, v10, vcc_lo
	global_load_dwordx4 v[9:12], v[9:10], off
	s_waitcnt vmcnt(0)
	v_cmp_gt_f64_e32 vcc_lo, 0, v[9:10]
	v_xor_b32_e32 v21, 0x80000000, v10
	v_xor_b32_e32 v33, 0x80000000, v12
	v_mov_b32_e32 v31, v9
	v_cndmask_b32_e32 v32, v10, v21, vcc_lo
	v_cmp_gt_f64_e32 vcc_lo, 0, v[11:12]
	v_cndmask_b32_e32 v34, v12, v33, vcc_lo
	v_mov_b32_e32 v33, v11
	v_cmpx_ngt_f64_e32 v[31:32], v[33:34]
	s_xor_b32 s76, exec_lo, s76
	s_cbranch_execz .LBB50_27
; %bb.24:                               ;   in Loop: Header=BB50_14 Depth=3
	v_mov_b32_e32 v35, 0
	v_mov_b32_e32 v36, 0
	s_mov_b32 s77, exec_lo
	v_cmpx_neq_f64_e32 0, v[11:12]
	s_cbranch_execz .LBB50_26
; %bb.25:                               ;   in Loop: Header=BB50_14 Depth=3
	v_div_scale_f64 v[35:36], null, v[33:34], v[33:34], v[31:32]
	v_div_scale_f64 v[57:58], vcc_lo, v[31:32], v[33:34], v[31:32]
	v_rcp_f64_e32 v[53:54], v[35:36]
	v_fma_f64 v[55:56], -v[35:36], v[53:54], 1.0
	v_fma_f64 v[53:54], v[53:54], v[55:56], v[53:54]
	v_fma_f64 v[55:56], -v[35:36], v[53:54], 1.0
	v_fma_f64 v[53:54], v[53:54], v[55:56], v[53:54]
	v_mul_f64 v[55:56], v[57:58], v[53:54]
	v_fma_f64 v[35:36], -v[35:36], v[55:56], v[57:58]
	v_div_fmas_f64 v[35:36], v[35:36], v[53:54], v[55:56]
	v_div_fixup_f64 v[31:32], v[35:36], v[33:34], v[31:32]
	v_fma_f64 v[31:32], v[31:32], v[31:32], 1.0
	v_cmp_gt_f64_e32 vcc_lo, 0x10000000, v[31:32]
	v_cndmask_b32_e64 v21, 0, 0x100, vcc_lo
	v_ldexp_f64 v[31:32], v[31:32], v21
	v_cndmask_b32_e64 v21, 0, 0xffffff80, vcc_lo
	v_rsq_f64_e32 v[35:36], v[31:32]
	v_cmp_class_f64_e64 vcc_lo, v[31:32], 0x260
	v_mul_f64 v[53:54], v[31:32], v[35:36]
	v_mul_f64 v[35:36], v[35:36], 0.5
	v_fma_f64 v[55:56], -v[35:36], v[53:54], 0.5
	v_fma_f64 v[53:54], v[53:54], v[55:56], v[53:54]
	v_fma_f64 v[35:36], v[35:36], v[55:56], v[35:36]
	v_fma_f64 v[55:56], -v[53:54], v[53:54], v[31:32]
	v_fma_f64 v[53:54], v[55:56], v[35:36], v[53:54]
	v_fma_f64 v[55:56], -v[53:54], v[53:54], v[31:32]
	v_fma_f64 v[35:36], v[55:56], v[35:36], v[53:54]
	v_ldexp_f64 v[35:36], v[35:36], v21
	v_cndmask_b32_e32 v32, v36, v32, vcc_lo
	v_cndmask_b32_e32 v31, v35, v31, vcc_lo
	v_mul_f64 v[35:36], v[33:34], v[31:32]
.LBB50_26:                              ;   in Loop: Header=BB50_14 Depth=3
	s_or_b32 exec_lo, exec_lo, s77
                                        ; implicit-def: $vgpr31_vgpr32
                                        ; implicit-def: $vgpr33_vgpr34
.LBB50_27:                              ;   in Loop: Header=BB50_14 Depth=3
	s_andn2_saveexec_b32 s76, s76
	s_cbranch_execz .LBB50_29
; %bb.28:                               ;   in Loop: Header=BB50_14 Depth=3
	v_div_scale_f64 v[35:36], null, v[31:32], v[31:32], v[33:34]
	v_div_scale_f64 v[57:58], vcc_lo, v[33:34], v[31:32], v[33:34]
	v_rcp_f64_e32 v[53:54], v[35:36]
	v_fma_f64 v[55:56], -v[35:36], v[53:54], 1.0
	v_fma_f64 v[53:54], v[53:54], v[55:56], v[53:54]
	v_fma_f64 v[55:56], -v[35:36], v[53:54], 1.0
	v_fma_f64 v[53:54], v[53:54], v[55:56], v[53:54]
	v_mul_f64 v[55:56], v[57:58], v[53:54]
	v_fma_f64 v[35:36], -v[35:36], v[55:56], v[57:58]
	v_div_fmas_f64 v[35:36], v[35:36], v[53:54], v[55:56]
	v_div_fixup_f64 v[33:34], v[35:36], v[31:32], v[33:34]
	v_fma_f64 v[33:34], v[33:34], v[33:34], 1.0
	v_cmp_gt_f64_e32 vcc_lo, 0x10000000, v[33:34]
	v_cndmask_b32_e64 v21, 0, 0x100, vcc_lo
	v_ldexp_f64 v[33:34], v[33:34], v21
	v_cndmask_b32_e64 v21, 0, 0xffffff80, vcc_lo
	v_rsq_f64_e32 v[35:36], v[33:34]
	v_cmp_class_f64_e64 vcc_lo, v[33:34], 0x260
	v_mul_f64 v[53:54], v[33:34], v[35:36]
	v_mul_f64 v[35:36], v[35:36], 0.5
	v_fma_f64 v[55:56], -v[35:36], v[53:54], 0.5
	v_fma_f64 v[53:54], v[53:54], v[55:56], v[53:54]
	v_fma_f64 v[35:36], v[35:36], v[55:56], v[35:36]
	v_fma_f64 v[55:56], -v[53:54], v[53:54], v[33:34]
	v_fma_f64 v[53:54], v[55:56], v[35:36], v[53:54]
	v_fma_f64 v[55:56], -v[53:54], v[53:54], v[33:34]
	v_fma_f64 v[35:36], v[55:56], v[35:36], v[53:54]
	v_ldexp_f64 v[35:36], v[35:36], v21
	v_cndmask_b32_e32 v34, v36, v34, vcc_lo
	v_cndmask_b32_e32 v33, v35, v33, vcc_lo
	v_mul_f64 v[35:36], v[31:32], v[33:34]
.LBB50_29:                              ;   in Loop: Header=BB50_14 Depth=3
	s_or_b32 exec_lo, exec_lo, s76
	v_mov_b32_e32 v31, 0
	v_mov_b32_e32 v33, 0
	;; [unrolled: 1-line block ×4, first 2 shown]
	s_mov_b32 s76, exec_lo
	v_cmpx_lt_f64_e32 0, v[35:36]
	s_cbranch_execz .LBB50_31
; %bb.30:                               ;   in Loop: Header=BB50_14 Depth=3
	v_mul_f64 v[31:32], v[11:12], v[11:12]
	v_fma_f64 v[31:32], v[9:10], v[9:10], v[31:32]
	v_div_scale_f64 v[33:34], null, v[31:32], v[31:32], 1.0
	v_div_scale_f64 v[55:56], vcc_lo, 1.0, v[31:32], 1.0
	v_rcp_f64_e32 v[35:36], v[33:34]
	v_fma_f64 v[53:54], -v[33:34], v[35:36], 1.0
	v_fma_f64 v[35:36], v[35:36], v[53:54], v[35:36]
	v_fma_f64 v[53:54], -v[33:34], v[35:36], 1.0
	v_fma_f64 v[35:36], v[35:36], v[53:54], v[35:36]
	v_mul_f64 v[53:54], v[55:56], v[35:36]
	v_fma_f64 v[33:34], -v[33:34], v[53:54], v[55:56]
	v_mul_f64 v[55:56], v[7:8], v[11:12]
	v_mul_f64 v[11:12], v[11:12], -v[5:6]
	v_div_fmas_f64 v[33:34], v[33:34], v[35:36], v[53:54]
	v_fma_f64 v[5:6], v[5:6], v[9:10], v[55:56]
	v_fma_f64 v[7:8], v[7:8], v[9:10], v[11:12]
	v_div_fixup_f64 v[31:32], v[33:34], v[31:32], 1.0
	v_mul_f64 v[33:34], v[5:6], v[31:32]
	v_mul_f64 v[31:32], v[7:8], v[31:32]
.LBB50_31:                              ;   in Loop: Header=BB50_14 Depth=3
	s_or_b32 exec_lo, exec_lo, s76
	v_mov_b32_e32 v7, v31
	v_mov_b32_e32 v5, v33
	;; [unrolled: 1-line block ×4, first 2 shown]
.LBB50_32:                              ;   in Loop: Header=BB50_14 Depth=3
	s_or_b32 exec_lo, exec_lo, s75
	v_cmp_gt_f64_e32 vcc_lo, 0, v[5:6]
	v_xor_b32_e32 v10, 0x80000000, v6
	v_xor_b32_e32 v11, 0x80000000, v8
	v_mov_b32_e32 v9, v5
	s_mov_b32 s75, exec_lo
                                        ; implicit-def: $vgpr31_vgpr32
	v_cndmask_b32_e32 v10, v6, v10, vcc_lo
	v_cmp_gt_f64_e32 vcc_lo, 0, v[7:8]
	v_cndmask_b32_e32 v12, v8, v11, vcc_lo
	v_mov_b32_e32 v11, v7
	v_cmpx_ngt_f64_e32 v[9:10], v[11:12]
	s_xor_b32 s75, exec_lo, s75
	s_cbranch_execnz .LBB50_36
; %bb.33:                               ;   in Loop: Header=BB50_14 Depth=3
	s_andn2_saveexec_b32 s75, s75
	s_cbranch_execnz .LBB50_39
.LBB50_34:                              ;   in Loop: Header=BB50_14 Depth=3
	s_or_b32 exec_lo, exec_lo, s75
	v_cmp_class_f64_e64 s75, v[31:32], 0x1f8
	s_and_saveexec_b32 s76, s75
	s_cbranch_execnz .LBB50_40
.LBB50_35:                              ;   in Loop: Header=BB50_14 Depth=3
	s_or_b32 exec_lo, exec_lo, s76
	s_and_b32 s75, s14, s75
	s_and_saveexec_b32 s13, s75
	s_cbranch_execz .LBB50_13
	s_branch .LBB50_81
.LBB50_36:                              ;   in Loop: Header=BB50_14 Depth=3
	v_mov_b32_e32 v31, 0
	v_mov_b32_e32 v32, 0
	s_mov_b32 s76, exec_lo
	v_cmpx_neq_f64_e32 0, v[7:8]
	s_cbranch_execz .LBB50_38
; %bb.37:                               ;   in Loop: Header=BB50_14 Depth=3
	v_div_scale_f64 v[31:32], null, v[11:12], v[11:12], v[9:10]
	v_div_scale_f64 v[53:54], vcc_lo, v[9:10], v[11:12], v[9:10]
	v_rcp_f64_e32 v[33:34], v[31:32]
	v_fma_f64 v[35:36], -v[31:32], v[33:34], 1.0
	v_fma_f64 v[33:34], v[33:34], v[35:36], v[33:34]
	v_fma_f64 v[35:36], -v[31:32], v[33:34], 1.0
	v_fma_f64 v[33:34], v[33:34], v[35:36], v[33:34]
	v_mul_f64 v[35:36], v[53:54], v[33:34]
	v_fma_f64 v[31:32], -v[31:32], v[35:36], v[53:54]
	v_div_fmas_f64 v[31:32], v[31:32], v[33:34], v[35:36]
	v_div_fixup_f64 v[9:10], v[31:32], v[11:12], v[9:10]
	v_fma_f64 v[9:10], v[9:10], v[9:10], 1.0
	v_cmp_gt_f64_e32 vcc_lo, 0x10000000, v[9:10]
	v_cndmask_b32_e64 v21, 0, 0x100, vcc_lo
	v_ldexp_f64 v[9:10], v[9:10], v21
	v_cndmask_b32_e64 v21, 0, 0xffffff80, vcc_lo
	v_rsq_f64_e32 v[31:32], v[9:10]
	v_cmp_class_f64_e64 vcc_lo, v[9:10], 0x260
	v_mul_f64 v[33:34], v[9:10], v[31:32]
	v_mul_f64 v[31:32], v[31:32], 0.5
	v_fma_f64 v[35:36], -v[31:32], v[33:34], 0.5
	v_fma_f64 v[33:34], v[33:34], v[35:36], v[33:34]
	v_fma_f64 v[31:32], v[31:32], v[35:36], v[31:32]
	v_fma_f64 v[35:36], -v[33:34], v[33:34], v[9:10]
	v_fma_f64 v[33:34], v[35:36], v[31:32], v[33:34]
	v_fma_f64 v[35:36], -v[33:34], v[33:34], v[9:10]
	v_fma_f64 v[31:32], v[35:36], v[31:32], v[33:34]
	v_ldexp_f64 v[31:32], v[31:32], v21
	v_cndmask_b32_e32 v10, v32, v10, vcc_lo
	v_cndmask_b32_e32 v9, v31, v9, vcc_lo
	v_mul_f64 v[31:32], v[11:12], v[9:10]
.LBB50_38:                              ;   in Loop: Header=BB50_14 Depth=3
	s_or_b32 exec_lo, exec_lo, s76
                                        ; implicit-def: $vgpr9_vgpr10
                                        ; implicit-def: $vgpr11_vgpr12
	s_andn2_saveexec_b32 s75, s75
	s_cbranch_execz .LBB50_34
.LBB50_39:                              ;   in Loop: Header=BB50_14 Depth=3
	v_div_scale_f64 v[31:32], null, v[9:10], v[9:10], v[11:12]
	v_div_scale_f64 v[53:54], vcc_lo, v[11:12], v[9:10], v[11:12]
	v_rcp_f64_e32 v[33:34], v[31:32]
	v_fma_f64 v[35:36], -v[31:32], v[33:34], 1.0
	v_fma_f64 v[33:34], v[33:34], v[35:36], v[33:34]
	v_fma_f64 v[35:36], -v[31:32], v[33:34], 1.0
	v_fma_f64 v[33:34], v[33:34], v[35:36], v[33:34]
	v_mul_f64 v[35:36], v[53:54], v[33:34]
	v_fma_f64 v[31:32], -v[31:32], v[35:36], v[53:54]
	v_div_fmas_f64 v[31:32], v[31:32], v[33:34], v[35:36]
	v_div_fixup_f64 v[11:12], v[31:32], v[9:10], v[11:12]
	v_fma_f64 v[11:12], v[11:12], v[11:12], 1.0
	v_cmp_gt_f64_e32 vcc_lo, 0x10000000, v[11:12]
	v_cndmask_b32_e64 v21, 0, 0x100, vcc_lo
	v_ldexp_f64 v[11:12], v[11:12], v21
	v_cndmask_b32_e64 v21, 0, 0xffffff80, vcc_lo
	v_rsq_f64_e32 v[31:32], v[11:12]
	v_cmp_class_f64_e64 vcc_lo, v[11:12], 0x260
	v_mul_f64 v[33:34], v[11:12], v[31:32]
	v_mul_f64 v[31:32], v[31:32], 0.5
	v_fma_f64 v[35:36], -v[31:32], v[33:34], 0.5
	v_fma_f64 v[33:34], v[33:34], v[35:36], v[33:34]
	v_fma_f64 v[31:32], v[31:32], v[35:36], v[31:32]
	v_fma_f64 v[35:36], -v[33:34], v[33:34], v[11:12]
	v_fma_f64 v[33:34], v[35:36], v[31:32], v[33:34]
	v_fma_f64 v[35:36], -v[33:34], v[33:34], v[11:12]
	v_fma_f64 v[31:32], v[35:36], v[31:32], v[33:34]
	v_ldexp_f64 v[31:32], v[31:32], v21
	v_cndmask_b32_e32 v12, v32, v12, vcc_lo
	v_cndmask_b32_e32 v11, v31, v11, vcc_lo
	v_mul_f64 v[31:32], v[9:10], v[11:12]
	s_or_b32 exec_lo, exec_lo, s75
	v_cmp_class_f64_e64 s75, v[31:32], 0x1f8
	s_and_saveexec_b32 s76, s75
	s_cbranch_execz .LBB50_35
.LBB50_40:                              ;   in Loop: Header=BB50_14 Depth=3
	s_and_saveexec_b32 s77, s13
	s_xor_b32 s13, exec_lo, s77
	s_cbranch_execz .LBB50_65
; %bb.41:                               ;   in Loop: Header=BB50_14 Depth=3
	s_mov_b32 s77, exec_lo
	v_cmpx_ge_i32_e64 v19, v23
	s_xor_b32 s77, exec_lo, s77
	s_cbranch_execz .LBB50_49
; %bb.42:                               ;   in Loop: Header=BB50_14 Depth=3
	v_lshlrev_b64 v[9:10], 4, v[23:24]
	v_add_co_u32 v11, vcc_lo, s54, v9
	v_add_co_ci_u32_e64 v12, null, s55, v10, vcc_lo
	s_andn2_b32 vcc_lo, exec_lo, s33
	global_store_dwordx4 v[11:12], v[5:8], off
	s_cbranch_vccnz .LBB50_48
; %bb.43:                               ;   in Loop: Header=BB50_14 Depth=3
	v_add_co_u32 v9, vcc_lo, s52, v9
	v_add_co_ci_u32_e64 v10, null, s53, v10, vcc_lo
	s_mov_b32 s78, exec_lo
	global_load_dwordx4 v[9:12], v[9:10], off
	s_waitcnt vmcnt(0)
	v_add_f64 v[5:6], v[9:10], -v[5:6]
	v_add_f64 v[11:12], v[11:12], -v[7:8]
                                        ; implicit-def: $vgpr9_vgpr10
	v_cmp_gt_f64_e32 vcc_lo, 0, v[5:6]
	v_xor_b32_e32 v7, 0x80000000, v6
	v_xor_b32_e32 v8, 0x80000000, v12
	v_cndmask_b32_e32 v6, v6, v7, vcc_lo
	v_cmp_gt_f64_e32 vcc_lo, 0, v[11:12]
	v_mov_b32_e32 v7, v11
	v_cndmask_b32_e32 v8, v12, v8, vcc_lo
	v_cmpx_ngt_f64_e32 v[5:6], v[7:8]
	s_xor_b32 s78, exec_lo, s78
	s_cbranch_execnz .LBB50_109
; %bb.44:                               ;   in Loop: Header=BB50_14 Depth=3
	s_andn2_saveexec_b32 s78, s78
	s_cbranch_execnz .LBB50_112
.LBB50_45:                              ;   in Loop: Header=BB50_14 Depth=3
	s_or_b32 exec_lo, exec_lo, s78
	v_cmp_class_f64_e64 s79, v[9:10], 0x1f8
	s_and_saveexec_b32 s78, s79
.LBB50_46:                              ;   in Loop: Header=BB50_14 Depth=3
	v_cmp_lt_f64_e32 vcc_lo, v[15:16], v[9:10]
	v_cndmask_b32_e32 v16, v16, v10, vcc_lo
	v_cndmask_b32_e32 v15, v15, v9, vcc_lo
.LBB50_47:                              ;   in Loop: Header=BB50_14 Depth=3
	s_or_b32 exec_lo, exec_lo, s78
.LBB50_48:                              ;   in Loop: Header=BB50_14 Depth=3
                                        ; implicit-def: $vgpr5_vgpr6
.LBB50_49:                              ;   in Loop: Header=BB50_14 Depth=3
	s_andn2_saveexec_b32 s77, s77
	s_cbranch_execz .LBB50_64
; %bb.50:                               ;   in Loop: Header=BB50_14 Depth=3
	s_mov_b32 s78, exec_lo
	v_cmpx_lt_i32_e64 v30, v52
	s_cbranch_execz .LBB50_63
; %bb.51:                               ;   in Loop: Header=BB50_14 Depth=3
	v_mov_b32_e32 v11, v30
	s_mov_b32 s79, 0
                                        ; implicit-def: $sgpr80
                                        ; implicit-def: $sgpr82
                                        ; implicit-def: $sgpr81
	s_inst_prefetch 0x1
	s_branch .LBB50_53
	.p2align	6
.LBB50_52:                              ;   in Loop: Header=BB50_53 Depth=4
	s_or_b32 exec_lo, exec_lo, s83
	s_and_b32 s83, exec_lo, s82
	s_or_b32 s79, s83, s79
	s_andn2_b32 s80, s80, exec_lo
	s_and_b32 s83, s81, exec_lo
	s_or_b32 s80, s80, s83
	s_andn2_b32 exec_lo, exec_lo, s79
	s_cbranch_execz .LBB50_55
.LBB50_53:                              ;   Parent Loop BB50_5 Depth=1
                                        ;     Parent Loop BB50_9 Depth=2
                                        ;       Parent Loop BB50_14 Depth=3
                                        ; =>      This Inner Loop Header: Depth=4
	v_add_nc_u32_e32 v9, v29, v11
	s_or_b32 s81, s81, exec_lo
	s_or_b32 s82, s82, exec_lo
	s_mov_b32 s83, exec_lo
	v_ashrrev_i32_e32 v10, 31, v9
	v_lshlrev_b64 v[31:32], 2, v[9:10]
	v_add_co_u32 v31, vcc_lo, s20, v31
	v_add_co_ci_u32_e64 v32, null, s21, v32, vcc_lo
	global_load_dword v12, v[31:32], off
	s_waitcnt vmcnt(0)
	v_subrev_nc_u32_e32 v12, s66, v12
	v_cmpx_ne_u32_e64 v12, v19
	s_cbranch_execz .LBB50_52
; %bb.54:                               ;   in Loop: Header=BB50_53 Depth=4
	v_add_nc_u32_e32 v11, 1, v11
	s_andn2_b32 s82, s82, exec_lo
	s_andn2_b32 s81, s81, exec_lo
	v_cmp_ge_i32_e32 vcc_lo, v11, v52
	s_and_b32 s84, vcc_lo, exec_lo
	s_or_b32 s82, s82, s84
	s_branch .LBB50_52
.LBB50_55:                              ;   in Loop: Header=BB50_14 Depth=3
	s_inst_prefetch 0x2
	s_or_b32 exec_lo, exec_lo, s79
	s_and_saveexec_b32 s79, s80
	s_xor_b32 s79, exec_lo, s79
	s_cbranch_execz .LBB50_62
; %bb.56:                               ;   in Loop: Header=BB50_14 Depth=3
	v_lshlrev_b64 v[9:10], 4, v[9:10]
	v_add_co_u32 v11, vcc_lo, s58, v9
	v_add_co_ci_u32_e64 v12, null, s59, v10, vcc_lo
	s_andn2_b32 vcc_lo, exec_lo, s33
	global_store_dwordx4 v[11:12], v[5:8], off
	s_cbranch_vccnz .LBB50_62
; %bb.57:                               ;   in Loop: Header=BB50_14 Depth=3
	v_add_co_u32 v9, vcc_lo, s22, v9
	v_add_co_ci_u32_e64 v10, null, s23, v10, vcc_lo
	s_mov_b32 s80, exec_lo
	global_load_dwordx4 v[9:12], v[9:10], off
	s_waitcnt vmcnt(0)
	v_add_f64 v[5:6], v[9:10], -v[5:6]
	v_add_f64 v[11:12], v[11:12], -v[7:8]
                                        ; implicit-def: $vgpr9_vgpr10
	v_cmp_gt_f64_e32 vcc_lo, 0, v[5:6]
	v_xor_b32_e32 v7, 0x80000000, v6
	v_xor_b32_e32 v8, 0x80000000, v12
	v_cndmask_b32_e32 v6, v6, v7, vcc_lo
	v_cmp_gt_f64_e32 vcc_lo, 0, v[11:12]
	v_mov_b32_e32 v7, v11
	v_cndmask_b32_e32 v8, v12, v8, vcc_lo
	v_cmpx_ngt_f64_e32 v[5:6], v[7:8]
	s_xor_b32 s80, exec_lo, s80
	s_cbranch_execnz .LBB50_117
; %bb.58:                               ;   in Loop: Header=BB50_14 Depth=3
	s_andn2_saveexec_b32 s80, s80
	s_cbranch_execnz .LBB50_120
.LBB50_59:                              ;   in Loop: Header=BB50_14 Depth=3
	s_or_b32 exec_lo, exec_lo, s80
	v_cmp_class_f64_e64 s81, v[9:10], 0x1f8
	s_and_saveexec_b32 s80, s81
.LBB50_60:                              ;   in Loop: Header=BB50_14 Depth=3
	v_cmp_lt_f64_e32 vcc_lo, v[15:16], v[9:10]
	v_cndmask_b32_e32 v16, v16, v10, vcc_lo
	v_cndmask_b32_e32 v15, v15, v9, vcc_lo
.LBB50_61:                              ;   in Loop: Header=BB50_14 Depth=3
	s_or_b32 exec_lo, exec_lo, s80
.LBB50_62:                              ;   in Loop: Header=BB50_14 Depth=3
	s_or_b32 exec_lo, exec_lo, s79
.LBB50_63:                              ;   in Loop: Header=BB50_14 Depth=3
	s_or_b32 exec_lo, exec_lo, s78
.LBB50_64:                              ;   in Loop: Header=BB50_14 Depth=3
	s_or_b32 exec_lo, exec_lo, s77
                                        ; implicit-def: $vgpr5_vgpr6
.LBB50_65:                              ;   in Loop: Header=BB50_14 Depth=3
	s_andn2_saveexec_b32 s13, s13
	s_cbranch_execz .LBB50_80
; %bb.66:                               ;   in Loop: Header=BB50_14 Depth=3
	s_mov_b32 s77, exec_lo
	v_cmpx_lt_i32_e64 v17, v47
	s_cbranch_execz .LBB50_79
; %bb.67:                               ;   in Loop: Header=BB50_14 Depth=3
	v_mov_b32_e32 v11, v17
	s_mov_b32 s78, 0
                                        ; implicit-def: $sgpr79
                                        ; implicit-def: $sgpr81
                                        ; implicit-def: $sgpr80
	s_inst_prefetch 0x1
	s_branch .LBB50_69
	.p2align	6
.LBB50_68:                              ;   in Loop: Header=BB50_69 Depth=4
	s_or_b32 exec_lo, exec_lo, s82
	s_and_b32 s82, exec_lo, s81
	s_or_b32 s78, s82, s78
	s_andn2_b32 s79, s79, exec_lo
	s_and_b32 s82, s80, exec_lo
	s_or_b32 s79, s79, s82
	s_andn2_b32 exec_lo, exec_lo, s78
	s_cbranch_execz .LBB50_71
.LBB50_69:                              ;   Parent Loop BB50_5 Depth=1
                                        ;     Parent Loop BB50_9 Depth=2
                                        ;       Parent Loop BB50_14 Depth=3
                                        ; =>      This Inner Loop Header: Depth=4
	v_add_nc_u32_e32 v9, v22, v11
	s_or_b32 s80, s80, exec_lo
	s_or_b32 s81, s81, exec_lo
	s_mov_b32 s82, exec_lo
	v_ashrrev_i32_e32 v10, 31, v9
	v_lshlrev_b64 v[31:32], 2, v[9:10]
	v_add_co_u32 v31, vcc_lo, s28, v31
	v_add_co_ci_u32_e64 v32, null, s29, v32, vcc_lo
	global_load_dword v12, v[31:32], off
	s_waitcnt vmcnt(0)
	v_subrev_nc_u32_e32 v12, s65, v12
	v_cmpx_ne_u32_e64 v12, v23
	s_cbranch_execz .LBB50_68
; %bb.70:                               ;   in Loop: Header=BB50_69 Depth=4
	v_add_nc_u32_e32 v11, 1, v11
	s_andn2_b32 s81, s81, exec_lo
	s_andn2_b32 s80, s80, exec_lo
	v_cmp_ge_i32_e32 vcc_lo, v11, v47
	s_and_b32 s83, vcc_lo, exec_lo
	s_or_b32 s81, s81, s83
	s_branch .LBB50_68
.LBB50_71:                              ;   in Loop: Header=BB50_14 Depth=3
	s_inst_prefetch 0x2
	s_or_b32 exec_lo, exec_lo, s78
	s_and_saveexec_b32 s78, s79
	s_xor_b32 s78, exec_lo, s78
	s_cbranch_execz .LBB50_78
; %bb.72:                               ;   in Loop: Header=BB50_14 Depth=3
	v_lshlrev_b64 v[9:10], 4, v[9:10]
	v_add_co_u32 v11, vcc_lo, s56, v9
	v_add_co_ci_u32_e64 v12, null, s57, v10, vcc_lo
	s_andn2_b32 vcc_lo, exec_lo, s33
	global_store_dwordx4 v[11:12], v[5:8], off
	s_cbranch_vccnz .LBB50_78
; %bb.73:                               ;   in Loop: Header=BB50_14 Depth=3
	v_add_co_u32 v9, vcc_lo, s30, v9
	v_add_co_ci_u32_e64 v10, null, s31, v10, vcc_lo
	s_mov_b32 s79, exec_lo
	global_load_dwordx4 v[9:12], v[9:10], off
	s_waitcnt vmcnt(0)
	v_add_f64 v[5:6], v[9:10], -v[5:6]
	v_add_f64 v[11:12], v[11:12], -v[7:8]
                                        ; implicit-def: $vgpr9_vgpr10
	v_cmp_gt_f64_e32 vcc_lo, 0, v[5:6]
	v_xor_b32_e32 v7, 0x80000000, v6
	v_xor_b32_e32 v8, 0x80000000, v12
	v_cndmask_b32_e32 v6, v6, v7, vcc_lo
	v_cmp_gt_f64_e32 vcc_lo, 0, v[11:12]
	v_mov_b32_e32 v7, v11
	v_cndmask_b32_e32 v8, v12, v8, vcc_lo
	v_cmpx_ngt_f64_e32 v[5:6], v[7:8]
	s_xor_b32 s79, exec_lo, s79
	s_cbranch_execnz .LBB50_113
; %bb.74:                               ;   in Loop: Header=BB50_14 Depth=3
	s_andn2_saveexec_b32 s79, s79
	s_cbranch_execnz .LBB50_116
.LBB50_75:                              ;   in Loop: Header=BB50_14 Depth=3
	s_or_b32 exec_lo, exec_lo, s79
	v_cmp_class_f64_e64 s80, v[9:10], 0x1f8
	s_and_saveexec_b32 s79, s80
.LBB50_76:                              ;   in Loop: Header=BB50_14 Depth=3
	v_cmp_lt_f64_e32 vcc_lo, v[15:16], v[9:10]
	v_cndmask_b32_e32 v16, v16, v10, vcc_lo
	v_cndmask_b32_e32 v15, v15, v9, vcc_lo
.LBB50_77:                              ;   in Loop: Header=BB50_14 Depth=3
	s_or_b32 exec_lo, exec_lo, s79
.LBB50_78:                              ;   in Loop: Header=BB50_14 Depth=3
	s_or_b32 exec_lo, exec_lo, s78
.LBB50_79:                              ;   in Loop: Header=BB50_14 Depth=3
	s_or_b32 exec_lo, exec_lo, s77
.LBB50_80:                              ;   in Loop: Header=BB50_14 Depth=3
	s_or_b32 exec_lo, exec_lo, s13
	s_or_b32 exec_lo, exec_lo, s76
	s_and_b32 s75, s14, s75
	s_and_saveexec_b32 s13, s75
	s_cbranch_execz .LBB50_13
.LBB50_81:                              ;   in Loop: Header=BB50_14 Depth=3
	s_mov_b32 s75, exec_lo
	v_cmpx_ge_i32_e64 v30, v52
	s_xor_b32 s75, exec_lo, s75
	s_cbranch_execnz .LBB50_88
; %bb.82:                               ;   in Loop: Header=BB50_14 Depth=3
	s_andn2_saveexec_b32 s75, s75
	s_cbranch_execnz .LBB50_102
.LBB50_83:                              ;   in Loop: Header=BB50_14 Depth=3
	s_or_b32 exec_lo, exec_lo, s75
	s_mov_b32 s75, exec_lo
	v_cmpx_eq_u32_e64 v19, v23
	s_cbranch_execz .LBB50_85
.LBB50_84:                              ;   in Loop: Header=BB50_14 Depth=3
	v_lshlrev_b64 v[5:6], 4, v[23:24]
	v_add_co_u32 v5, vcc_lo, s52, v5
	v_add_co_ci_u32_e64 v6, null, s53, v6, vcc_lo
	global_load_dwordx4 v[5:8], v[5:6], off
	s_waitcnt vmcnt(0)
	v_add_f64 v[25:26], v[25:26], v[5:6]
	v_add_f64 v[27:28], v[27:28], v[7:8]
.LBB50_85:                              ;   in Loop: Header=BB50_14 Depth=3
	s_or_b32 exec_lo, exec_lo, s75
	v_add_f64 v[1:2], v[1:2], -v[25:26]
	v_add_f64 v[7:8], v[3:4], -v[27:28]
	s_mov_b32 s75, exec_lo
                                        ; implicit-def: $vgpr5_vgpr6
	v_cmp_gt_f64_e32 vcc_lo, 0, v[1:2]
	v_xor_b32_e32 v3, 0x80000000, v2
	v_xor_b32_e32 v4, 0x80000000, v8
	v_cndmask_b32_e32 v2, v2, v3, vcc_lo
	v_cmp_gt_f64_e32 vcc_lo, 0, v[7:8]
	v_mov_b32_e32 v3, v7
	v_cndmask_b32_e32 v4, v8, v4, vcc_lo
	v_cmpx_ngt_f64_e32 v[1:2], v[3:4]
	s_xor_b32 s75, exec_lo, s75
	s_cbranch_execnz .LBB50_93
; %bb.86:                               ;   in Loop: Header=BB50_14 Depth=3
	s_andn2_saveexec_b32 s75, s75
	s_cbranch_execnz .LBB50_96
.LBB50_87:                              ;   in Loop: Header=BB50_14 Depth=3
	s_or_b32 exec_lo, exec_lo, s75
	v_cmp_class_f64_e64 s76, v[5:6], 0x1f8
	s_and_saveexec_b32 s75, s76
	s_cbranch_execz .LBB50_12
	s_branch .LBB50_97
.LBB50_88:                              ;   in Loop: Header=BB50_14 Depth=3
	s_mov_b32 s76, exec_lo
	v_cmpx_lt_i32_e64 v17, v47
	s_cbranch_execz .LBB50_101
; %bb.89:                               ;   in Loop: Header=BB50_14 Depth=3
	s_mov_b32 s78, 0
                                        ; implicit-def: $sgpr77
                                        ; implicit-def: $sgpr80
                                        ; implicit-def: $sgpr79
	s_inst_prefetch 0x1
	s_branch .LBB50_91
	.p2align	6
.LBB50_90:                              ;   in Loop: Header=BB50_91 Depth=4
	s_or_b32 exec_lo, exec_lo, s81
	s_and_b32 s81, exec_lo, s80
	s_or_b32 s78, s81, s78
	s_andn2_b32 s77, s77, exec_lo
	s_and_b32 s81, s79, exec_lo
	s_or_b32 s77, s77, s81
	s_andn2_b32 exec_lo, exec_lo, s78
	s_cbranch_execz .LBB50_98
.LBB50_91:                              ;   Parent Loop BB50_5 Depth=1
                                        ;     Parent Loop BB50_9 Depth=2
                                        ;       Parent Loop BB50_14 Depth=3
                                        ; =>      This Inner Loop Header: Depth=4
	v_add_nc_u32_e32 v5, v22, v17
	s_or_b32 s79, s79, exec_lo
	s_or_b32 s80, s80, exec_lo
	s_mov_b32 s81, exec_lo
	v_ashrrev_i32_e32 v6, 31, v5
	v_lshlrev_b64 v[7:8], 2, v[5:6]
	v_add_co_u32 v7, vcc_lo, s28, v7
	v_add_co_ci_u32_e64 v8, null, s29, v8, vcc_lo
	global_load_dword v7, v[7:8], off
	s_waitcnt vmcnt(0)
	v_subrev_nc_u32_e32 v7, s65, v7
	v_cmpx_ne_u32_e64 v7, v23
	s_cbranch_execz .LBB50_90
; %bb.92:                               ;   in Loop: Header=BB50_91 Depth=4
	v_add_nc_u32_e32 v17, 1, v17
	s_andn2_b32 s80, s80, exec_lo
	s_andn2_b32 s79, s79, exec_lo
	v_cmp_ge_i32_e32 vcc_lo, v17, v47
	s_and_b32 s82, vcc_lo, exec_lo
	s_or_b32 s80, s80, s82
	s_branch .LBB50_90
.LBB50_93:                              ;   in Loop: Header=BB50_14 Depth=3
	v_mov_b32_e32 v5, 0
	v_mov_b32_e32 v6, 0
	s_mov_b32 s76, exec_lo
	v_cmpx_neq_f64_e32 0, v[7:8]
	s_cbranch_execz .LBB50_95
; %bb.94:                               ;   in Loop: Header=BB50_14 Depth=3
	v_div_scale_f64 v[5:6], null, v[3:4], v[3:4], v[1:2]
	v_div_scale_f64 v[11:12], vcc_lo, v[1:2], v[3:4], v[1:2]
	v_rcp_f64_e32 v[7:8], v[5:6]
	v_fma_f64 v[9:10], -v[5:6], v[7:8], 1.0
	v_fma_f64 v[7:8], v[7:8], v[9:10], v[7:8]
	v_fma_f64 v[9:10], -v[5:6], v[7:8], 1.0
	v_fma_f64 v[7:8], v[7:8], v[9:10], v[7:8]
	v_mul_f64 v[9:10], v[11:12], v[7:8]
	v_fma_f64 v[5:6], -v[5:6], v[9:10], v[11:12]
	v_div_fmas_f64 v[5:6], v[5:6], v[7:8], v[9:10]
	v_div_fixup_f64 v[1:2], v[5:6], v[3:4], v[1:2]
	v_fma_f64 v[1:2], v[1:2], v[1:2], 1.0
	v_cmp_gt_f64_e32 vcc_lo, 0x10000000, v[1:2]
	v_cndmask_b32_e64 v5, 0, 0x100, vcc_lo
	v_ldexp_f64 v[1:2], v[1:2], v5
	v_rsq_f64_e32 v[5:6], v[1:2]
	v_mul_f64 v[7:8], v[1:2], v[5:6]
	v_mul_f64 v[5:6], v[5:6], 0.5
	v_fma_f64 v[9:10], -v[5:6], v[7:8], 0.5
	v_fma_f64 v[7:8], v[7:8], v[9:10], v[7:8]
	v_fma_f64 v[5:6], v[5:6], v[9:10], v[5:6]
	v_fma_f64 v[9:10], -v[7:8], v[7:8], v[1:2]
	v_fma_f64 v[7:8], v[9:10], v[5:6], v[7:8]
	v_fma_f64 v[9:10], -v[7:8], v[7:8], v[1:2]
	v_fma_f64 v[5:6], v[9:10], v[5:6], v[7:8]
	v_cndmask_b32_e64 v7, 0, 0xffffff80, vcc_lo
	v_cmp_class_f64_e64 vcc_lo, v[1:2], 0x260
	v_ldexp_f64 v[5:6], v[5:6], v7
	v_cndmask_b32_e32 v2, v6, v2, vcc_lo
	v_cndmask_b32_e32 v1, v5, v1, vcc_lo
	v_mul_f64 v[5:6], v[3:4], v[1:2]
.LBB50_95:                              ;   in Loop: Header=BB50_14 Depth=3
	s_or_b32 exec_lo, exec_lo, s76
                                        ; implicit-def: $vgpr1_vgpr2
                                        ; implicit-def: $vgpr3_vgpr4
	s_andn2_saveexec_b32 s75, s75
	s_cbranch_execz .LBB50_87
.LBB50_96:                              ;   in Loop: Header=BB50_14 Depth=3
	v_div_scale_f64 v[5:6], null, v[1:2], v[1:2], v[3:4]
	v_div_scale_f64 v[11:12], vcc_lo, v[3:4], v[1:2], v[3:4]
	v_rcp_f64_e32 v[7:8], v[5:6]
	v_fma_f64 v[9:10], -v[5:6], v[7:8], 1.0
	v_fma_f64 v[7:8], v[7:8], v[9:10], v[7:8]
	v_fma_f64 v[9:10], -v[5:6], v[7:8], 1.0
	v_fma_f64 v[7:8], v[7:8], v[9:10], v[7:8]
	v_mul_f64 v[9:10], v[11:12], v[7:8]
	v_fma_f64 v[5:6], -v[5:6], v[9:10], v[11:12]
	v_div_fmas_f64 v[5:6], v[5:6], v[7:8], v[9:10]
	v_div_fixup_f64 v[3:4], v[5:6], v[1:2], v[3:4]
	v_fma_f64 v[3:4], v[3:4], v[3:4], 1.0
	v_cmp_gt_f64_e32 vcc_lo, 0x10000000, v[3:4]
	v_cndmask_b32_e64 v5, 0, 0x100, vcc_lo
	v_ldexp_f64 v[3:4], v[3:4], v5
	v_rsq_f64_e32 v[5:6], v[3:4]
	v_mul_f64 v[7:8], v[3:4], v[5:6]
	v_mul_f64 v[5:6], v[5:6], 0.5
	v_fma_f64 v[9:10], -v[5:6], v[7:8], 0.5
	v_fma_f64 v[7:8], v[7:8], v[9:10], v[7:8]
	v_fma_f64 v[5:6], v[5:6], v[9:10], v[5:6]
	v_fma_f64 v[9:10], -v[7:8], v[7:8], v[3:4]
	v_fma_f64 v[7:8], v[9:10], v[5:6], v[7:8]
	v_fma_f64 v[9:10], -v[7:8], v[7:8], v[3:4]
	v_fma_f64 v[5:6], v[9:10], v[5:6], v[7:8]
	v_cndmask_b32_e64 v7, 0, 0xffffff80, vcc_lo
	v_cmp_class_f64_e64 vcc_lo, v[3:4], 0x260
	v_ldexp_f64 v[5:6], v[5:6], v7
	v_cndmask_b32_e32 v4, v6, v4, vcc_lo
	v_cndmask_b32_e32 v3, v5, v3, vcc_lo
	v_mul_f64 v[5:6], v[1:2], v[3:4]
	s_or_b32 exec_lo, exec_lo, s75
	v_cmp_class_f64_e64 s76, v[5:6], 0x1f8
	s_and_saveexec_b32 s75, s76
	s_cbranch_execz .LBB50_12
.LBB50_97:                              ;   in Loop: Header=BB50_14 Depth=3
	v_cmp_lt_f64_e32 vcc_lo, v[13:14], v[5:6]
	v_cndmask_b32_e32 v14, v14, v6, vcc_lo
	v_cndmask_b32_e32 v13, v13, v5, vcc_lo
	s_branch .LBB50_12
.LBB50_98:                              ;   in Loop: Header=BB50_14 Depth=3
	s_inst_prefetch 0x2
	s_or_b32 exec_lo, exec_lo, s78
	s_and_saveexec_b32 s78, s77
	s_xor_b32 s77, exec_lo, s78
	s_cbranch_execz .LBB50_100
; %bb.99:                               ;   in Loop: Header=BB50_14 Depth=3
	v_lshlrev_b64 v[7:8], 4, v[23:24]
	v_lshlrev_b64 v[5:6], 4, v[5:6]
	v_add_co_u32 v7, vcc_lo, s52, v7
	v_add_co_ci_u32_e64 v8, null, s53, v8, vcc_lo
	v_add_co_u32 v9, vcc_lo, s30, v5
	v_add_co_ci_u32_e64 v10, null, s31, v6, vcc_lo
	global_load_dwordx4 v[5:8], v[7:8], off
	global_load_dwordx4 v[9:12], v[9:10], off
	s_waitcnt vmcnt(0)
	v_mul_f64 v[29:30], v[7:8], -v[11:12]
	v_mul_f64 v[7:8], v[7:8], v[9:10]
	v_fma_f64 v[9:10], v[9:10], v[5:6], v[29:30]
	v_fma_f64 v[5:6], v[11:12], v[5:6], v[7:8]
	v_add_f64 v[25:26], v[25:26], v[9:10]
	v_add_f64 v[27:28], v[27:28], v[5:6]
.LBB50_100:                             ;   in Loop: Header=BB50_14 Depth=3
	s_or_b32 exec_lo, exec_lo, s77
.LBB50_101:                             ;   in Loop: Header=BB50_14 Depth=3
	s_or_b32 exec_lo, exec_lo, s76
                                        ; implicit-def: $vgpr30
                                        ; implicit-def: $vgpr29
                                        ; implicit-def: $vgpr52
	s_andn2_saveexec_b32 s75, s75
	s_cbranch_execz .LBB50_83
.LBB50_102:                             ;   in Loop: Header=BB50_14 Depth=3
	s_mov_b32 s77, 0
                                        ; implicit-def: $sgpr76
                                        ; implicit-def: $sgpr79
                                        ; implicit-def: $sgpr78
	s_inst_prefetch 0x1
	s_branch .LBB50_104
	.p2align	6
.LBB50_103:                             ;   in Loop: Header=BB50_104 Depth=4
	s_or_b32 exec_lo, exec_lo, s80
	s_and_b32 s80, exec_lo, s79
	s_or_b32 s77, s80, s77
	s_andn2_b32 s76, s76, exec_lo
	s_and_b32 s80, s78, exec_lo
	s_or_b32 s76, s76, s80
	s_andn2_b32 exec_lo, exec_lo, s77
	s_cbranch_execz .LBB50_106
.LBB50_104:                             ;   Parent Loop BB50_5 Depth=1
                                        ;     Parent Loop BB50_9 Depth=2
                                        ;       Parent Loop BB50_14 Depth=3
                                        ; =>      This Inner Loop Header: Depth=4
	v_add_nc_u32_e32 v5, v29, v30
	s_or_b32 s78, s78, exec_lo
	s_or_b32 s79, s79, exec_lo
	s_mov_b32 s80, exec_lo
	v_ashrrev_i32_e32 v6, 31, v5
	v_lshlrev_b64 v[7:8], 2, v[5:6]
	v_add_co_u32 v7, vcc_lo, s20, v7
	v_add_co_ci_u32_e64 v8, null, s21, v8, vcc_lo
	global_load_dword v7, v[7:8], off
	s_waitcnt vmcnt(0)
	v_subrev_nc_u32_e32 v7, s66, v7
	v_cmpx_ne_u32_e64 v7, v19
	s_cbranch_execz .LBB50_103
; %bb.105:                              ;   in Loop: Header=BB50_104 Depth=4
	v_add_nc_u32_e32 v30, 1, v30
	s_andn2_b32 s79, s79, exec_lo
	s_andn2_b32 s78, s78, exec_lo
	v_cmp_ge_i32_e32 vcc_lo, v30, v52
	s_and_b32 s81, vcc_lo, exec_lo
	s_or_b32 s79, s79, s81
	s_branch .LBB50_103
.LBB50_106:                             ;   in Loop: Header=BB50_14 Depth=3
	s_inst_prefetch 0x2
	s_or_b32 exec_lo, exec_lo, s77
	s_and_saveexec_b32 s77, s76
	s_xor_b32 s76, exec_lo, s77
	s_cbranch_execz .LBB50_108
; %bb.107:                              ;   in Loop: Header=BB50_14 Depth=3
	v_lshlrev_b64 v[5:6], 4, v[5:6]
	v_add_co_u32 v5, vcc_lo, s22, v5
	v_add_co_ci_u32_e64 v6, null, s23, v6, vcc_lo
	global_load_dwordx4 v[5:8], v[5:6], off
	s_waitcnt vmcnt(0)
	v_add_f64 v[25:26], v[25:26], v[5:6]
	v_add_f64 v[27:28], v[27:28], v[7:8]
.LBB50_108:                             ;   in Loop: Header=BB50_14 Depth=3
	s_or_b32 exec_lo, exec_lo, s76
	s_or_b32 exec_lo, exec_lo, s75
	s_mov_b32 s75, exec_lo
	v_cmpx_eq_u32_e64 v19, v23
	s_cbranch_execnz .LBB50_84
	s_branch .LBB50_85
.LBB50_109:                             ;   in Loop: Header=BB50_14 Depth=3
	v_mov_b32_e32 v9, 0
	v_mov_b32_e32 v10, 0
	s_mov_b32 s79, exec_lo
	v_cmpx_neq_f64_e32 0, v[11:12]
	s_cbranch_execz .LBB50_111
; %bb.110:                              ;   in Loop: Header=BB50_14 Depth=3
	v_div_scale_f64 v[9:10], null, v[7:8], v[7:8], v[5:6]
	v_div_scale_f64 v[33:34], vcc_lo, v[5:6], v[7:8], v[5:6]
	v_rcp_f64_e32 v[11:12], v[9:10]
	v_fma_f64 v[31:32], -v[9:10], v[11:12], 1.0
	v_fma_f64 v[11:12], v[11:12], v[31:32], v[11:12]
	v_fma_f64 v[31:32], -v[9:10], v[11:12], 1.0
	v_fma_f64 v[11:12], v[11:12], v[31:32], v[11:12]
	v_mul_f64 v[31:32], v[33:34], v[11:12]
	v_fma_f64 v[9:10], -v[9:10], v[31:32], v[33:34]
	v_div_fmas_f64 v[9:10], v[9:10], v[11:12], v[31:32]
	v_div_fixup_f64 v[5:6], v[9:10], v[7:8], v[5:6]
	v_fma_f64 v[5:6], v[5:6], v[5:6], 1.0
	v_cmp_gt_f64_e32 vcc_lo, 0x10000000, v[5:6]
	v_cndmask_b32_e64 v9, 0, 0x100, vcc_lo
	v_ldexp_f64 v[5:6], v[5:6], v9
	v_rsq_f64_e32 v[9:10], v[5:6]
	v_mul_f64 v[11:12], v[5:6], v[9:10]
	v_mul_f64 v[9:10], v[9:10], 0.5
	v_fma_f64 v[31:32], -v[9:10], v[11:12], 0.5
	v_fma_f64 v[11:12], v[11:12], v[31:32], v[11:12]
	v_fma_f64 v[9:10], v[9:10], v[31:32], v[9:10]
	v_fma_f64 v[31:32], -v[11:12], v[11:12], v[5:6]
	v_fma_f64 v[11:12], v[31:32], v[9:10], v[11:12]
	v_fma_f64 v[31:32], -v[11:12], v[11:12], v[5:6]
	v_fma_f64 v[9:10], v[31:32], v[9:10], v[11:12]
	v_cndmask_b32_e64 v11, 0, 0xffffff80, vcc_lo
	v_cmp_class_f64_e64 vcc_lo, v[5:6], 0x260
	v_ldexp_f64 v[9:10], v[9:10], v11
	v_cndmask_b32_e32 v6, v10, v6, vcc_lo
	v_cndmask_b32_e32 v5, v9, v5, vcc_lo
	v_mul_f64 v[9:10], v[7:8], v[5:6]
.LBB50_111:                             ;   in Loop: Header=BB50_14 Depth=3
	s_or_b32 exec_lo, exec_lo, s79
                                        ; implicit-def: $vgpr5_vgpr6
                                        ; implicit-def: $vgpr7_vgpr8
	s_andn2_saveexec_b32 s78, s78
	s_cbranch_execz .LBB50_45
.LBB50_112:                             ;   in Loop: Header=BB50_14 Depth=3
	v_div_scale_f64 v[9:10], null, v[5:6], v[5:6], v[7:8]
	v_div_scale_f64 v[33:34], vcc_lo, v[7:8], v[5:6], v[7:8]
	v_rcp_f64_e32 v[11:12], v[9:10]
	v_fma_f64 v[31:32], -v[9:10], v[11:12], 1.0
	v_fma_f64 v[11:12], v[11:12], v[31:32], v[11:12]
	v_fma_f64 v[31:32], -v[9:10], v[11:12], 1.0
	v_fma_f64 v[11:12], v[11:12], v[31:32], v[11:12]
	v_mul_f64 v[31:32], v[33:34], v[11:12]
	v_fma_f64 v[9:10], -v[9:10], v[31:32], v[33:34]
	v_div_fmas_f64 v[9:10], v[9:10], v[11:12], v[31:32]
	v_div_fixup_f64 v[7:8], v[9:10], v[5:6], v[7:8]
	v_fma_f64 v[7:8], v[7:8], v[7:8], 1.0
	v_cmp_gt_f64_e32 vcc_lo, 0x10000000, v[7:8]
	v_cndmask_b32_e64 v9, 0, 0x100, vcc_lo
	v_ldexp_f64 v[7:8], v[7:8], v9
	v_rsq_f64_e32 v[9:10], v[7:8]
	v_mul_f64 v[11:12], v[7:8], v[9:10]
	v_mul_f64 v[9:10], v[9:10], 0.5
	v_fma_f64 v[31:32], -v[9:10], v[11:12], 0.5
	v_fma_f64 v[11:12], v[11:12], v[31:32], v[11:12]
	v_fma_f64 v[9:10], v[9:10], v[31:32], v[9:10]
	v_fma_f64 v[31:32], -v[11:12], v[11:12], v[7:8]
	v_fma_f64 v[11:12], v[31:32], v[9:10], v[11:12]
	v_fma_f64 v[31:32], -v[11:12], v[11:12], v[7:8]
	v_fma_f64 v[9:10], v[31:32], v[9:10], v[11:12]
	v_cndmask_b32_e64 v11, 0, 0xffffff80, vcc_lo
	v_cmp_class_f64_e64 vcc_lo, v[7:8], 0x260
	v_ldexp_f64 v[9:10], v[9:10], v11
	v_cndmask_b32_e32 v8, v10, v8, vcc_lo
	v_cndmask_b32_e32 v7, v9, v7, vcc_lo
	v_mul_f64 v[9:10], v[5:6], v[7:8]
	s_or_b32 exec_lo, exec_lo, s78
	v_cmp_class_f64_e64 s79, v[9:10], 0x1f8
	s_and_saveexec_b32 s78, s79
	s_cbranch_execnz .LBB50_46
	s_branch .LBB50_47
.LBB50_113:                             ;   in Loop: Header=BB50_14 Depth=3
	v_mov_b32_e32 v9, 0
	v_mov_b32_e32 v10, 0
	s_mov_b32 s80, exec_lo
	v_cmpx_neq_f64_e32 0, v[11:12]
	s_cbranch_execz .LBB50_115
; %bb.114:                              ;   in Loop: Header=BB50_14 Depth=3
	v_div_scale_f64 v[9:10], null, v[7:8], v[7:8], v[5:6]
	v_div_scale_f64 v[33:34], vcc_lo, v[5:6], v[7:8], v[5:6]
	v_rcp_f64_e32 v[11:12], v[9:10]
	v_fma_f64 v[31:32], -v[9:10], v[11:12], 1.0
	v_fma_f64 v[11:12], v[11:12], v[31:32], v[11:12]
	v_fma_f64 v[31:32], -v[9:10], v[11:12], 1.0
	v_fma_f64 v[11:12], v[11:12], v[31:32], v[11:12]
	v_mul_f64 v[31:32], v[33:34], v[11:12]
	v_fma_f64 v[9:10], -v[9:10], v[31:32], v[33:34]
	v_div_fmas_f64 v[9:10], v[9:10], v[11:12], v[31:32]
	v_div_fixup_f64 v[5:6], v[9:10], v[7:8], v[5:6]
	v_fma_f64 v[5:6], v[5:6], v[5:6], 1.0
	v_cmp_gt_f64_e32 vcc_lo, 0x10000000, v[5:6]
	v_cndmask_b32_e64 v9, 0, 0x100, vcc_lo
	v_ldexp_f64 v[5:6], v[5:6], v9
	v_rsq_f64_e32 v[9:10], v[5:6]
	v_mul_f64 v[11:12], v[5:6], v[9:10]
	v_mul_f64 v[9:10], v[9:10], 0.5
	v_fma_f64 v[31:32], -v[9:10], v[11:12], 0.5
	v_fma_f64 v[11:12], v[11:12], v[31:32], v[11:12]
	v_fma_f64 v[9:10], v[9:10], v[31:32], v[9:10]
	v_fma_f64 v[31:32], -v[11:12], v[11:12], v[5:6]
	v_fma_f64 v[11:12], v[31:32], v[9:10], v[11:12]
	v_fma_f64 v[31:32], -v[11:12], v[11:12], v[5:6]
	v_fma_f64 v[9:10], v[31:32], v[9:10], v[11:12]
	v_cndmask_b32_e64 v11, 0, 0xffffff80, vcc_lo
	v_cmp_class_f64_e64 vcc_lo, v[5:6], 0x260
	v_ldexp_f64 v[9:10], v[9:10], v11
	v_cndmask_b32_e32 v6, v10, v6, vcc_lo
	v_cndmask_b32_e32 v5, v9, v5, vcc_lo
	v_mul_f64 v[9:10], v[7:8], v[5:6]
.LBB50_115:                             ;   in Loop: Header=BB50_14 Depth=3
	s_or_b32 exec_lo, exec_lo, s80
                                        ; implicit-def: $vgpr5_vgpr6
                                        ; implicit-def: $vgpr7_vgpr8
	s_andn2_saveexec_b32 s79, s79
	s_cbranch_execz .LBB50_75
.LBB50_116:                             ;   in Loop: Header=BB50_14 Depth=3
	v_div_scale_f64 v[9:10], null, v[5:6], v[5:6], v[7:8]
	v_div_scale_f64 v[33:34], vcc_lo, v[7:8], v[5:6], v[7:8]
	v_rcp_f64_e32 v[11:12], v[9:10]
	v_fma_f64 v[31:32], -v[9:10], v[11:12], 1.0
	v_fma_f64 v[11:12], v[11:12], v[31:32], v[11:12]
	v_fma_f64 v[31:32], -v[9:10], v[11:12], 1.0
	v_fma_f64 v[11:12], v[11:12], v[31:32], v[11:12]
	v_mul_f64 v[31:32], v[33:34], v[11:12]
	v_fma_f64 v[9:10], -v[9:10], v[31:32], v[33:34]
	v_div_fmas_f64 v[9:10], v[9:10], v[11:12], v[31:32]
	v_div_fixup_f64 v[7:8], v[9:10], v[5:6], v[7:8]
	v_fma_f64 v[7:8], v[7:8], v[7:8], 1.0
	v_cmp_gt_f64_e32 vcc_lo, 0x10000000, v[7:8]
	v_cndmask_b32_e64 v9, 0, 0x100, vcc_lo
	v_ldexp_f64 v[7:8], v[7:8], v9
	v_rsq_f64_e32 v[9:10], v[7:8]
	v_mul_f64 v[11:12], v[7:8], v[9:10]
	v_mul_f64 v[9:10], v[9:10], 0.5
	v_fma_f64 v[31:32], -v[9:10], v[11:12], 0.5
	v_fma_f64 v[11:12], v[11:12], v[31:32], v[11:12]
	v_fma_f64 v[9:10], v[9:10], v[31:32], v[9:10]
	v_fma_f64 v[31:32], -v[11:12], v[11:12], v[7:8]
	v_fma_f64 v[11:12], v[31:32], v[9:10], v[11:12]
	v_fma_f64 v[31:32], -v[11:12], v[11:12], v[7:8]
	v_fma_f64 v[9:10], v[31:32], v[9:10], v[11:12]
	v_cndmask_b32_e64 v11, 0, 0xffffff80, vcc_lo
	v_cmp_class_f64_e64 vcc_lo, v[7:8], 0x260
	v_ldexp_f64 v[9:10], v[9:10], v11
	v_cndmask_b32_e32 v8, v10, v8, vcc_lo
	v_cndmask_b32_e32 v7, v9, v7, vcc_lo
	v_mul_f64 v[9:10], v[5:6], v[7:8]
	s_or_b32 exec_lo, exec_lo, s79
	v_cmp_class_f64_e64 s80, v[9:10], 0x1f8
	s_and_saveexec_b32 s79, s80
	s_cbranch_execnz .LBB50_76
	s_branch .LBB50_77
.LBB50_117:                             ;   in Loop: Header=BB50_14 Depth=3
	v_mov_b32_e32 v9, 0
	v_mov_b32_e32 v10, 0
	s_mov_b32 s81, exec_lo
	v_cmpx_neq_f64_e32 0, v[11:12]
	s_cbranch_execz .LBB50_119
; %bb.118:                              ;   in Loop: Header=BB50_14 Depth=3
	v_div_scale_f64 v[9:10], null, v[7:8], v[7:8], v[5:6]
	v_div_scale_f64 v[33:34], vcc_lo, v[5:6], v[7:8], v[5:6]
	v_rcp_f64_e32 v[11:12], v[9:10]
	v_fma_f64 v[31:32], -v[9:10], v[11:12], 1.0
	v_fma_f64 v[11:12], v[11:12], v[31:32], v[11:12]
	v_fma_f64 v[31:32], -v[9:10], v[11:12], 1.0
	v_fma_f64 v[11:12], v[11:12], v[31:32], v[11:12]
	v_mul_f64 v[31:32], v[33:34], v[11:12]
	v_fma_f64 v[9:10], -v[9:10], v[31:32], v[33:34]
	v_div_fmas_f64 v[9:10], v[9:10], v[11:12], v[31:32]
	v_div_fixup_f64 v[5:6], v[9:10], v[7:8], v[5:6]
	v_fma_f64 v[5:6], v[5:6], v[5:6], 1.0
	v_cmp_gt_f64_e32 vcc_lo, 0x10000000, v[5:6]
	v_cndmask_b32_e64 v9, 0, 0x100, vcc_lo
	v_ldexp_f64 v[5:6], v[5:6], v9
	v_rsq_f64_e32 v[9:10], v[5:6]
	v_mul_f64 v[11:12], v[5:6], v[9:10]
	v_mul_f64 v[9:10], v[9:10], 0.5
	v_fma_f64 v[31:32], -v[9:10], v[11:12], 0.5
	v_fma_f64 v[11:12], v[11:12], v[31:32], v[11:12]
	v_fma_f64 v[9:10], v[9:10], v[31:32], v[9:10]
	v_fma_f64 v[31:32], -v[11:12], v[11:12], v[5:6]
	v_fma_f64 v[11:12], v[31:32], v[9:10], v[11:12]
	v_fma_f64 v[31:32], -v[11:12], v[11:12], v[5:6]
	v_fma_f64 v[9:10], v[31:32], v[9:10], v[11:12]
	v_cndmask_b32_e64 v11, 0, 0xffffff80, vcc_lo
	v_cmp_class_f64_e64 vcc_lo, v[5:6], 0x260
	v_ldexp_f64 v[9:10], v[9:10], v11
	v_cndmask_b32_e32 v6, v10, v6, vcc_lo
	v_cndmask_b32_e32 v5, v9, v5, vcc_lo
	v_mul_f64 v[9:10], v[7:8], v[5:6]
.LBB50_119:                             ;   in Loop: Header=BB50_14 Depth=3
	s_or_b32 exec_lo, exec_lo, s81
                                        ; implicit-def: $vgpr5_vgpr6
                                        ; implicit-def: $vgpr7_vgpr8
	s_andn2_saveexec_b32 s80, s80
	s_cbranch_execz .LBB50_59
.LBB50_120:                             ;   in Loop: Header=BB50_14 Depth=3
	v_div_scale_f64 v[9:10], null, v[5:6], v[5:6], v[7:8]
	v_div_scale_f64 v[33:34], vcc_lo, v[7:8], v[5:6], v[7:8]
	v_rcp_f64_e32 v[11:12], v[9:10]
	v_fma_f64 v[31:32], -v[9:10], v[11:12], 1.0
	v_fma_f64 v[11:12], v[11:12], v[31:32], v[11:12]
	v_fma_f64 v[31:32], -v[9:10], v[11:12], 1.0
	v_fma_f64 v[11:12], v[11:12], v[31:32], v[11:12]
	v_mul_f64 v[31:32], v[33:34], v[11:12]
	v_fma_f64 v[9:10], -v[9:10], v[31:32], v[33:34]
	v_div_fmas_f64 v[9:10], v[9:10], v[11:12], v[31:32]
	v_div_fixup_f64 v[7:8], v[9:10], v[5:6], v[7:8]
	v_fma_f64 v[7:8], v[7:8], v[7:8], 1.0
	v_cmp_gt_f64_e32 vcc_lo, 0x10000000, v[7:8]
	v_cndmask_b32_e64 v9, 0, 0x100, vcc_lo
	v_ldexp_f64 v[7:8], v[7:8], v9
	v_rsq_f64_e32 v[9:10], v[7:8]
	v_mul_f64 v[11:12], v[7:8], v[9:10]
	v_mul_f64 v[9:10], v[9:10], 0.5
	v_fma_f64 v[31:32], -v[9:10], v[11:12], 0.5
	v_fma_f64 v[11:12], v[11:12], v[31:32], v[11:12]
	v_fma_f64 v[9:10], v[9:10], v[31:32], v[9:10]
	v_fma_f64 v[31:32], -v[11:12], v[11:12], v[7:8]
	v_fma_f64 v[11:12], v[31:32], v[9:10], v[11:12]
	v_fma_f64 v[31:32], -v[11:12], v[11:12], v[7:8]
	v_fma_f64 v[9:10], v[31:32], v[9:10], v[11:12]
	v_cndmask_b32_e64 v11, 0, 0xffffff80, vcc_lo
	v_cmp_class_f64_e64 vcc_lo, v[7:8], 0x260
	v_ldexp_f64 v[9:10], v[9:10], v11
	v_cndmask_b32_e32 v8, v10, v8, vcc_lo
	v_cndmask_b32_e32 v7, v9, v7, vcc_lo
	v_mul_f64 v[9:10], v[5:6], v[7:8]
	s_or_b32 exec_lo, exec_lo, s80
	v_cmp_class_f64_e64 s81, v[9:10], 0x1f8
	s_and_saveexec_b32 s80, s81
	s_cbranch_execnz .LBB50_60
	s_branch .LBB50_61
.LBB50_121:                             ;   in Loop: Header=BB50_5 Depth=1
	v_xor_b32_e32 v3, 1, v40
	s_and_b32 vcc_lo, exec_lo, s33
	s_cbranch_vccnz .LBB50_124
; %bb.122:                              ;   in Loop: Header=BB50_5 Depth=1
	s_andn2_b32 vcc_lo, exec_lo, s14
	s_cbranch_vccz .LBB50_145
.LBB50_123:                             ;   in Loop: Header=BB50_5 Depth=1
	s_and_saveexec_b32 s13, s7
	s_cbranch_execnz .LBB50_166
	s_branch .LBB50_177
.LBB50_124:                             ;   in Loop: Header=BB50_5 Depth=1
	v_cmp_gt_i32_e32 vcc_lo, 32, v3
	v_cndmask_b32_e32 v1, v40, v3, vcc_lo
	v_lshlrev_b32_e32 v2, 2, v1
	ds_bpermute_b32 v1, v2, v15
	ds_bpermute_b32 v4, v2, v16
	s_and_saveexec_b32 s12, s1
	s_cbranch_execz .LBB50_126
; %bb.125:                              ;   in Loop: Header=BB50_5 Depth=1
	s_waitcnt lgkmcnt(0)
	v_mov_b32_e32 v2, v4
	v_cmp_lt_f64_e32 vcc_lo, v[15:16], v[1:2]
	v_cndmask_b32_e32 v2, v16, v4, vcc_lo
	v_cndmask_b32_e32 v1, v15, v1, vcc_lo
	ds_write_b64 v42, v[1:2]
.LBB50_126:                             ;   in Loop: Header=BB50_5 Depth=1
	s_or_b32 exec_lo, exec_lo, s12
	s_waitcnt lgkmcnt(0)
	s_waitcnt_vscnt null, 0x0
	s_barrier
	buffer_gl0_inv
	s_and_saveexec_b32 s12, s2
	s_cbranch_execz .LBB50_128
; %bb.127:                              ;   in Loop: Header=BB50_5 Depth=1
	ds_read2st64_b64 v[4:7], v39 offset1:4
	s_waitcnt lgkmcnt(0)
	v_cmp_lt_f64_e32 vcc_lo, v[4:5], v[6:7]
	v_cndmask_b32_e32 v2, v5, v7, vcc_lo
	v_cndmask_b32_e32 v1, v4, v6, vcc_lo
	ds_write_b64 v39, v[1:2]
.LBB50_128:                             ;   in Loop: Header=BB50_5 Depth=1
	s_or_b32 exec_lo, exec_lo, s12
	s_waitcnt lgkmcnt(0)
	s_barrier
	buffer_gl0_inv
	s_and_saveexec_b32 s12, s3
	s_cbranch_execz .LBB50_130
; %bb.129:                              ;   in Loop: Header=BB50_5 Depth=1
	ds_read2st64_b64 v[4:7], v39 offset1:2
	s_waitcnt lgkmcnt(0)
	v_cmp_lt_f64_e32 vcc_lo, v[4:5], v[6:7]
	v_cndmask_b32_e32 v2, v5, v7, vcc_lo
	v_cndmask_b32_e32 v1, v4, v6, vcc_lo
	ds_write_b64 v39, v[1:2]
.LBB50_130:                             ;   in Loop: Header=BB50_5 Depth=1
	s_or_b32 exec_lo, exec_lo, s12
	s_waitcnt lgkmcnt(0)
	;; [unrolled: 14-line block ×3, first 2 shown]
	s_barrier
	buffer_gl0_inv
	s_and_saveexec_b32 s12, s5
	s_cbranch_execz .LBB50_134
; %bb.133:                              ;   in Loop: Header=BB50_5 Depth=1
	ds_read2_b64 v[4:7], v39 offset1:32
	s_waitcnt lgkmcnt(0)
	v_cmp_lt_f64_e32 vcc_lo, v[4:5], v[6:7]
	v_cndmask_b32_e32 v2, v5, v7, vcc_lo
	v_cndmask_b32_e32 v1, v4, v6, vcc_lo
	ds_write_b64 v39, v[1:2]
.LBB50_134:                             ;   in Loop: Header=BB50_5 Depth=1
	s_or_b32 exec_lo, exec_lo, s12
	s_waitcnt lgkmcnt(0)
	s_barrier
	buffer_gl0_inv
	s_and_saveexec_b32 s12, s6
	s_cbranch_execz .LBB50_136
; %bb.135:                              ;   in Loop: Header=BB50_5 Depth=1
	ds_read2_b64 v[4:7], v39 offset1:16
	s_waitcnt lgkmcnt(0)
	v_cmp_lt_f64_e32 vcc_lo, v[4:5], v[6:7]
	v_cndmask_b32_e32 v2, v5, v7, vcc_lo
	v_cndmask_b32_e32 v1, v4, v6, vcc_lo
	ds_write_b64 v39, v[1:2]
.LBB50_136:                             ;   in Loop: Header=BB50_5 Depth=1
	s_or_b32 exec_lo, exec_lo, s12
	s_waitcnt lgkmcnt(0)
	;; [unrolled: 14-line block ×5, first 2 shown]
	s_barrier
	buffer_gl0_inv
	s_and_saveexec_b32 s12, s11
	s_cbranch_execz .LBB50_144
; %bb.143:                              ;   in Loop: Header=BB50_5 Depth=1
	ds_read_b128 v[4:7], v18
	s_waitcnt lgkmcnt(0)
	v_cmp_lt_f64_e32 vcc_lo, v[4:5], v[6:7]
	v_cndmask_b32_e32 v2, v5, v7, vcc_lo
	v_cndmask_b32_e32 v1, v4, v6, vcc_lo
	ds_write_b64 v18, v[1:2]
.LBB50_144:                             ;   in Loop: Header=BB50_5 Depth=1
	s_or_b32 exec_lo, exec_lo, s12
	s_waitcnt lgkmcnt(0)
	s_barrier
	buffer_gl0_inv
	ds_read_b64 v[1:2], v18
	s_load_dwordx2 s[12:13], s[34:35], 0x0
	s_waitcnt lgkmcnt(0)
	v_div_scale_f64 v[4:5], null, s[12:13], s[12:13], v[1:2]
	v_rcp_f64_e32 v[6:7], v[4:5]
	v_fma_f64 v[8:9], -v[4:5], v[6:7], 1.0
	v_fma_f64 v[6:7], v[6:7], v[8:9], v[6:7]
	v_fma_f64 v[8:9], -v[4:5], v[6:7], 1.0
	v_fma_f64 v[6:7], v[6:7], v[8:9], v[6:7]
	v_div_scale_f64 v[8:9], vcc_lo, v[1:2], s[12:13], v[1:2]
	v_mul_f64 v[10:11], v[8:9], v[6:7]
	v_fma_f64 v[4:5], -v[4:5], v[10:11], v[8:9]
	v_div_fmas_f64 v[4:5], v[4:5], v[6:7], v[10:11]
	v_div_fixup_f64 v[15:16], v[4:5], s[12:13], v[1:2]
	s_andn2_b32 vcc_lo, exec_lo, s14
	s_cbranch_vccnz .LBB50_123
.LBB50_145:                             ;   in Loop: Header=BB50_5 Depth=1
	v_cmp_gt_i32_e32 vcc_lo, 32, v3
	v_cndmask_b32_e32 v1, v40, v3, vcc_lo
	v_lshlrev_b32_e32 v2, 2, v1
	ds_bpermute_b32 v1, v2, v13
	ds_bpermute_b32 v3, v2, v14
	s_and_saveexec_b32 s12, s1
	s_cbranch_execz .LBB50_147
; %bb.146:                              ;   in Loop: Header=BB50_5 Depth=1
	s_waitcnt lgkmcnt(0)
	v_mov_b32_e32 v2, v3
	v_cmp_lt_f64_e32 vcc_lo, v[13:14], v[1:2]
	v_cndmask_b32_e32 v2, v14, v3, vcc_lo
	v_cndmask_b32_e32 v1, v13, v1, vcc_lo
	ds_write_b64 v42, v[1:2]
.LBB50_147:                             ;   in Loop: Header=BB50_5 Depth=1
	s_or_b32 exec_lo, exec_lo, s12
	s_waitcnt lgkmcnt(0)
	s_waitcnt_vscnt null, 0x0
	s_barrier
	buffer_gl0_inv
	s_and_saveexec_b32 s12, s2
	s_cbranch_execz .LBB50_149
; %bb.148:                              ;   in Loop: Header=BB50_5 Depth=1
	ds_read2st64_b64 v[1:4], v39 offset1:4
	s_waitcnt lgkmcnt(0)
	v_cmp_lt_f64_e32 vcc_lo, v[1:2], v[3:4]
	v_cndmask_b32_e32 v2, v2, v4, vcc_lo
	v_cndmask_b32_e32 v1, v1, v3, vcc_lo
	ds_write_b64 v39, v[1:2]
.LBB50_149:                             ;   in Loop: Header=BB50_5 Depth=1
	s_or_b32 exec_lo, exec_lo, s12
	s_waitcnt lgkmcnt(0)
	s_barrier
	buffer_gl0_inv
	s_and_saveexec_b32 s12, s3
	s_cbranch_execz .LBB50_151
; %bb.150:                              ;   in Loop: Header=BB50_5 Depth=1
	ds_read2st64_b64 v[1:4], v39 offset1:2
	s_waitcnt lgkmcnt(0)
	v_cmp_lt_f64_e32 vcc_lo, v[1:2], v[3:4]
	v_cndmask_b32_e32 v2, v2, v4, vcc_lo
	v_cndmask_b32_e32 v1, v1, v3, vcc_lo
	ds_write_b64 v39, v[1:2]
.LBB50_151:                             ;   in Loop: Header=BB50_5 Depth=1
	s_or_b32 exec_lo, exec_lo, s12
	s_waitcnt lgkmcnt(0)
	;; [unrolled: 14-line block ×3, first 2 shown]
	s_barrier
	buffer_gl0_inv
	s_and_saveexec_b32 s12, s5
	s_cbranch_execz .LBB50_155
; %bb.154:                              ;   in Loop: Header=BB50_5 Depth=1
	ds_read2_b64 v[1:4], v39 offset1:32
	s_waitcnt lgkmcnt(0)
	v_cmp_lt_f64_e32 vcc_lo, v[1:2], v[3:4]
	v_cndmask_b32_e32 v2, v2, v4, vcc_lo
	v_cndmask_b32_e32 v1, v1, v3, vcc_lo
	ds_write_b64 v39, v[1:2]
.LBB50_155:                             ;   in Loop: Header=BB50_5 Depth=1
	s_or_b32 exec_lo, exec_lo, s12
	s_waitcnt lgkmcnt(0)
	s_barrier
	buffer_gl0_inv
	s_and_saveexec_b32 s12, s6
	s_cbranch_execz .LBB50_157
; %bb.156:                              ;   in Loop: Header=BB50_5 Depth=1
	ds_read2_b64 v[1:4], v39 offset1:16
	s_waitcnt lgkmcnt(0)
	v_cmp_lt_f64_e32 vcc_lo, v[1:2], v[3:4]
	v_cndmask_b32_e32 v2, v2, v4, vcc_lo
	v_cndmask_b32_e32 v1, v1, v3, vcc_lo
	ds_write_b64 v39, v[1:2]
.LBB50_157:                             ;   in Loop: Header=BB50_5 Depth=1
	s_or_b32 exec_lo, exec_lo, s12
	s_waitcnt lgkmcnt(0)
	;; [unrolled: 14-line block ×5, first 2 shown]
	s_barrier
	buffer_gl0_inv
	s_and_saveexec_b32 s12, s11
	s_cbranch_execz .LBB50_165
; %bb.164:                              ;   in Loop: Header=BB50_5 Depth=1
	ds_read_b128 v[1:4], v18
	s_waitcnt lgkmcnt(0)
	v_cmp_lt_f64_e32 vcc_lo, v[1:2], v[3:4]
	v_cndmask_b32_e32 v2, v2, v4, vcc_lo
	v_cndmask_b32_e32 v1, v1, v3, vcc_lo
	ds_write_b64 v18, v[1:2]
.LBB50_165:                             ;   in Loop: Header=BB50_5 Depth=1
	s_or_b32 exec_lo, exec_lo, s12
	s_waitcnt lgkmcnt(0)
	s_barrier
	buffer_gl0_inv
	ds_read_b64 v[1:2], v18
	s_load_dwordx2 s[12:13], s[34:35], 0x0
	s_waitcnt lgkmcnt(0)
	v_div_scale_f64 v[3:4], null, s[12:13], s[12:13], v[1:2]
	v_rcp_f64_e32 v[5:6], v[3:4]
	v_fma_f64 v[7:8], -v[3:4], v[5:6], 1.0
	v_fma_f64 v[5:6], v[5:6], v[7:8], v[5:6]
	v_fma_f64 v[7:8], -v[3:4], v[5:6], 1.0
	v_fma_f64 v[5:6], v[5:6], v[7:8], v[5:6]
	v_div_scale_f64 v[7:8], vcc_lo, v[1:2], s[12:13], v[1:2]
	v_mul_f64 v[9:10], v[7:8], v[5:6]
	v_fma_f64 v[3:4], -v[3:4], v[9:10], v[7:8]
	v_div_fmas_f64 v[3:4], v[3:4], v[5:6], v[9:10]
	v_div_fixup_f64 v[13:14], v[3:4], s[12:13], v[1:2]
	s_and_saveexec_b32 s13, s7
	s_cbranch_execz .LBB50_177
.LBB50_166:                             ;   in Loop: Header=BB50_5 Depth=1
	v_mov_b32_e32 v1, v41
	s_branch .LBB50_168
.LBB50_167:                             ;   in Loop: Header=BB50_168 Depth=2
	s_or_b32 exec_lo, exec_lo, s72
	v_add_nc_u32_e32 v1, 0x200, v1
	v_cmp_le_u32_e32 vcc_lo, s67, v1
	s_or_b32 s71, vcc_lo, s71
	s_andn2_b32 exec_lo, exec_lo, s71
	s_cbranch_execz .LBB50_177
.LBB50_168:                             ;   Parent Loop BB50_5 Depth=1
                                        ; =>  This Loop Header: Depth=2
                                        ;       Child Loop BB50_171 Depth 3
                                        ;       Child Loop BB50_174 Depth 3
	s_mov_b32 s72, exec_lo
	v_cmpx_gt_i32_e64 s60, v1
	s_cbranch_execz .LBB50_167
; %bb.169:                              ;   in Loop: Header=BB50_168 Depth=2
	v_ashrrev_i32_e32 v2, 31, v1
	s_mov_b32 s73, exec_lo
	v_lshlrev_b64 v[3:4], 2, v[1:2]
	v_add_co_u32 v5, vcc_lo, s24, v3
	v_add_co_ci_u32_e64 v6, null, s25, v4, vcc_lo
	v_add_co_u32 v7, vcc_lo, s26, v3
	v_add_co_ci_u32_e64 v8, null, s27, v4, vcc_lo
	global_load_dword v5, v[5:6], off
	global_load_dword v6, v[7:8], off
	s_waitcnt vmcnt(1)
	v_add_nc_u32_e32 v5, v44, v5
	s_waitcnt vmcnt(0)
	v_subrev_nc_u32_e32 v10, s65, v6
	v_cmpx_lt_i32_e64 v5, v10
	s_cbranch_execz .LBB50_172
; %bb.170:                              ;   in Loop: Header=BB50_168 Depth=2
	v_ashrrev_i32_e32 v6, 31, v5
	s_mov_b32 s74, 0
	v_lshlrev_b64 v[8:9], 4, v[5:6]
	v_add_co_u32 v6, vcc_lo, s30, v8
	v_add_co_ci_u32_e64 v7, null, s31, v9, vcc_lo
	v_add_co_u32 v8, vcc_lo, s56, v8
	v_add_co_ci_u32_e64 v9, null, s57, v9, vcc_lo
	.p2align	6
.LBB50_171:                             ;   Parent Loop BB50_5 Depth=1
                                        ;     Parent Loop BB50_168 Depth=2
                                        ; =>    This Inner Loop Header: Depth=3
	global_load_dwordx4 v[19:22], v[8:9], off
	v_add_nc_u32_e32 v5, 2, v5
	v_add_co_u32 v8, vcc_lo, v8, 32
	v_add_co_ci_u32_e64 v9, null, 0, v9, vcc_lo
	v_cmp_ge_i32_e32 vcc_lo, v5, v10
	s_or_b32 s74, vcc_lo, s74
	s_waitcnt vmcnt(0)
	global_store_dwordx4 v[6:7], v[19:22], off
	v_add_co_u32 v6, s12, v6, 32
	v_add_co_ci_u32_e64 v7, null, 0, v7, s12
	s_andn2_b32 exec_lo, exec_lo, s74
	s_cbranch_execnz .LBB50_171
.LBB50_172:                             ;   in Loop: Header=BB50_168 Depth=2
	s_or_b32 exec_lo, exec_lo, s73
	v_add_co_u32 v5, vcc_lo, s16, v3
	v_add_co_ci_u32_e64 v6, null, s17, v4, vcc_lo
	v_add_co_u32 v3, vcc_lo, s18, v3
	v_add_co_ci_u32_e64 v4, null, s19, v4, vcc_lo
	global_load_dword v5, v[5:6], off
	global_load_dword v4, v[3:4], off
	s_mov_b32 s73, exec_lo
	s_waitcnt vmcnt(1)
	v_add_nc_u32_e32 v3, v45, v5
	s_waitcnt vmcnt(0)
	v_subrev_nc_u32_e32 v8, s66, v4
	v_cmpx_lt_i32_e64 v3, v8
	s_cbranch_execz .LBB50_175
; %bb.173:                              ;   in Loop: Header=BB50_168 Depth=2
	v_ashrrev_i32_e32 v4, 31, v3
	s_mov_b32 s74, 0
	v_lshlrev_b64 v[6:7], 4, v[3:4]
	v_add_co_u32 v4, vcc_lo, s22, v6
	v_add_co_ci_u32_e64 v5, null, s23, v7, vcc_lo
	v_add_co_u32 v6, vcc_lo, s58, v6
	v_add_co_ci_u32_e64 v7, null, s59, v7, vcc_lo
	.p2align	6
.LBB50_174:                             ;   Parent Loop BB50_5 Depth=1
                                        ;     Parent Loop BB50_168 Depth=2
                                        ; =>    This Inner Loop Header: Depth=3
	global_load_dwordx4 v[9:12], v[6:7], off
	v_add_nc_u32_e32 v3, 2, v3
	v_add_co_u32 v6, vcc_lo, v6, 32
	v_add_co_ci_u32_e64 v7, null, 0, v7, vcc_lo
	v_cmp_ge_i32_e32 vcc_lo, v3, v8
	s_or_b32 s74, vcc_lo, s74
	s_waitcnt vmcnt(0)
	global_store_dwordx4 v[4:5], v[9:12], off
	v_add_co_u32 v4, s12, v4, 32
	v_add_co_ci_u32_e64 v5, null, 0, v5, s12
	s_andn2_b32 exec_lo, exec_lo, s74
	s_cbranch_execnz .LBB50_174
.LBB50_175:                             ;   in Loop: Header=BB50_168 Depth=2
	s_or_b32 exec_lo, exec_lo, s73
	s_and_b32 exec_lo, exec_lo, s0
	s_cbranch_execz .LBB50_167
; %bb.176:                              ;   in Loop: Header=BB50_168 Depth=2
	v_lshlrev_b64 v[6:7], 4, v[1:2]
	v_add_co_u32 v2, vcc_lo, s54, v6
	v_add_co_ci_u32_e64 v3, null, s55, v7, vcc_lo
	v_add_co_u32 v6, vcc_lo, s52, v6
	v_add_co_ci_u32_e64 v7, null, s53, v7, vcc_lo
	global_load_dwordx4 v[2:5], v[2:3], off
	s_waitcnt vmcnt(0)
	global_store_dwordx4 v[6:7], v[2:5], off
	s_branch .LBB50_167
.LBB50_177:                             ;   in Loop: Header=BB50_5 Depth=1
	s_or_b32 exec_lo, exec_lo, s13
	s_mov_b32 s13, -1
	s_and_b32 vcc_lo, exec_lo, s61
	s_mov_b32 s71, -1
	s_cbranch_vccz .LBB50_187
; %bb.178:                              ;   in Loop: Header=BB50_5 Depth=1
	s_and_b32 vcc_lo, exec_lo, s69
	s_mov_b32 s12, -1
                                        ; implicit-def: $sgpr71
	s_cbranch_vccz .LBB50_184
; %bb.179:                              ;   in Loop: Header=BB50_5 Depth=1
	s_and_b32 vcc_lo, exec_lo, s68
                                        ; implicit-def: $sgpr71
	s_cbranch_vccz .LBB50_181
; %bb.180:                              ;   in Loop: Header=BB50_5 Depth=1
	v_cmp_ge_f64_e64 s71, s[50:51], v[13:14]
	s_mov_b32 s12, 0
.LBB50_181:                             ;   in Loop: Header=BB50_5 Depth=1
	s_andn2_b32 vcc_lo, exec_lo, s12
	s_cbranch_vccnz .LBB50_183
; %bb.182:                              ;   in Loop: Header=BB50_5 Depth=1
	v_cmp_ge_f64_e32 vcc_lo, s[50:51], v[15:16]
	s_andn2_b32 s12, s71, exec_lo
	s_and_b32 s71, vcc_lo, exec_lo
	s_or_b32 s71, s12, s71
.LBB50_183:                             ;   in Loop: Header=BB50_5 Depth=1
	s_mov_b32 s12, 0
.LBB50_184:                             ;   in Loop: Header=BB50_5 Depth=1
	s_andn2_b32 vcc_lo, exec_lo, s12
	s_cbranch_vccnz .LBB50_186
; %bb.185:                              ;   in Loop: Header=BB50_5 Depth=1
	v_cmp_ge_f64_e32 vcc_lo, s[50:51], v[15:16]
	v_cmp_ge_f64_e64 s12, s[50:51], v[13:14]
	s_andn2_b32 s71, s71, exec_lo
	s_and_b32 s12, vcc_lo, s12
	s_and_b32 s12, s12, exec_lo
	s_or_b32 s71, s71, s12
.LBB50_186:                             ;   in Loop: Header=BB50_5 Depth=1
	s_xor_b32 s71, s71, -1
.LBB50_187:                             ;   in Loop: Header=BB50_5 Depth=1
	v_mov_b32_e32 v1, s70
	s_and_saveexec_b32 s12, s71
	s_cbranch_execz .LBB50_4
; %bb.188:                              ;   in Loop: Header=BB50_5 Depth=1
	s_add_i32 s70, s70, 1
	v_mov_b32_e32 v1, s15
	s_cmp_eq_u32 s70, s15
	s_cselect_b32 s13, -1, 0
	s_orn2_b32 s13, s13, exec_lo
	s_branch .LBB50_4
.LBB50_189:
	s_or_b32 exec_lo, exec_lo, s62
	s_or_b32 exec_lo, exec_lo, s63
	s_andn2_b32 vcc_lo, exec_lo, s61
	s_cbranch_vccnz .LBB50_2
.LBB50_190:
	v_xor_b32_e32 v2, 1, v40
	s_mov_b32 s0, exec_lo
	v_cmp_gt_i32_e32 vcc_lo, 32, v2
	v_cndmask_b32_e32 v2, v40, v2, vcc_lo
	v_lshlrev_b32_e32 v2, 2, v2
	ds_bpermute_b32 v2, v2, v1
	v_cmpx_ne_u32_e32 0, v38
	s_cbranch_execz .LBB50_192
; %bb.191:
	v_lshlrev_b32_e32 v3, 2, v37
	s_waitcnt lgkmcnt(0)
	v_max_i32_e32 v1, v1, v2
	ds_write_b32 v3, v1 offset:4096
.LBB50_192:
	s_or_b32 exec_lo, exec_lo, s0
	v_lshlrev_b32_e32 v1, 2, v0
	s_mov_b32 s0, exec_lo
	s_waitcnt lgkmcnt(0)
	s_waitcnt_vscnt null, 0x0
	s_barrier
	buffer_gl0_inv
	v_cmpx_gt_u32_e32 0x100, v0
	s_cbranch_execz .LBB50_194
; %bb.193:
	ds_read2st64_b32 v[2:3], v1 offset0:16 offset1:20
	s_waitcnt lgkmcnt(0)
	v_max_i32_e32 v2, v2, v3
	ds_write_b32 v1, v2 offset:4096
.LBB50_194:
	s_or_b32 exec_lo, exec_lo, s0
	s_mov_b32 s0, exec_lo
	s_waitcnt lgkmcnt(0)
	s_barrier
	buffer_gl0_inv
	v_cmpx_gt_u32_e32 0x80, v0
	s_cbranch_execz .LBB50_196
; %bb.195:
	ds_read2st64_b32 v[2:3], v1 offset0:16 offset1:18
	s_waitcnt lgkmcnt(0)
	v_max_i32_e32 v2, v2, v3
	ds_write_b32 v1, v2 offset:4096
.LBB50_196:
	s_or_b32 exec_lo, exec_lo, s0
	s_mov_b32 s0, exec_lo
	s_waitcnt lgkmcnt(0)
	;; [unrolled: 13-line block ×3, first 2 shown]
	s_barrier
	buffer_gl0_inv
	v_cmpx_gt_u32_e32 32, v0
	s_cbranch_execz .LBB50_200
; %bb.199:
	v_add_nc_u32_e32 v2, 0x1000, v1
	ds_read2_b32 v[2:3], v2 offset1:32
	s_waitcnt lgkmcnt(0)
	v_max_i32_e32 v2, v2, v3
	ds_write_b32 v1, v2 offset:4096
.LBB50_200:
	s_or_b32 exec_lo, exec_lo, s0
	s_mov_b32 s0, exec_lo
	s_waitcnt lgkmcnt(0)
	s_barrier
	buffer_gl0_inv
	v_cmpx_gt_u32_e32 16, v0
	s_cbranch_execz .LBB50_202
; %bb.201:
	v_add_nc_u32_e32 v2, 0x1000, v1
	ds_read2_b32 v[2:3], v2 offset1:16
	s_waitcnt lgkmcnt(0)
	v_max_i32_e32 v2, v2, v3
	ds_write_b32 v1, v2 offset:4096
.LBB50_202:
	s_or_b32 exec_lo, exec_lo, s0
	s_mov_b32 s0, exec_lo
	s_waitcnt lgkmcnt(0)
	;; [unrolled: 14-line block ×4, first 2 shown]
	s_barrier
	buffer_gl0_inv
	v_cmpx_gt_u32_e32 2, v0
	s_cbranch_execz .LBB50_208
; %bb.207:
	v_add_nc_u32_e32 v2, 0x1000, v1
	ds_read2_b32 v[2:3], v2 offset1:2
	s_waitcnt lgkmcnt(0)
	v_max_i32_e32 v2, v2, v3
	ds_write_b32 v1, v2 offset:4096
.LBB50_208:
	s_or_b32 exec_lo, exec_lo, s0
	v_cmp_eq_u32_e32 vcc_lo, 0, v0
	s_waitcnt lgkmcnt(0)
	s_barrier
	buffer_gl0_inv
	s_and_saveexec_b32 s0, vcc_lo
	s_cbranch_execz .LBB50_210
; %bb.209:
	v_mov_b32_e32 v3, 0
	ds_read_b64 v[1:2], v3 offset:4096
	s_waitcnt lgkmcnt(0)
	v_max_i32_e32 v1, v1, v2
	ds_write_b32 v3, v1 offset:4096
.LBB50_210:
	s_or_b32 exec_lo, exec_lo, s0
	s_waitcnt lgkmcnt(0)
	s_barrier
	buffer_gl0_inv
	s_and_saveexec_b32 s0, vcc_lo
	s_cbranch_execz .LBB50_213
; %bb.211:
	v_mbcnt_lo_u32_b32 v1, exec_lo, 0
	v_cmp_eq_u32_e32 vcc_lo, 0, v1
	s_and_b32 exec_lo, exec_lo, vcc_lo
	s_cbranch_execz .LBB50_213
; %bb.212:
	v_mov_b32_e32 v1, 0
	ds_read_b32 v2, v1 offset:4096
	s_waitcnt lgkmcnt(0)
	v_add_nc_u32_e32 v2, 1, v2
	global_atomic_smax v1, v2, s[48:49]
.LBB50_213:
	s_or_b32 exec_lo, exec_lo, s0
	v_cmp_eq_u32_e32 vcc_lo, 0, v0
	s_and_b32 s0, vcc_lo, s33
	s_and_saveexec_b32 s1, s0
	s_cbranch_execz .LBB50_220
.LBB50_214:
	v_mov_b32_e32 v0, 0
	v_mov_b32_e32 v1, 0x7ff80000
	s_mov_b32 s0, exec_lo
.LBB50_215:                             ; =>This Inner Loop Header: Depth=1
	s_ff1_i32_b32 s4, s0
	v_max_f64 v[0:1], v[0:1], v[0:1]
	v_readlane_b32 s3, v16, s4
	v_readlane_b32 s2, v15, s4
	v_max_f64 v[2:3], s[2:3], s[2:3]
	s_lshl_b32 s2, 1, s4
	s_andn2_b32 s0, s0, s2
	s_cmp_lg_u32 s0, 0
	v_max_f64 v[0:1], v[0:1], v[2:3]
	s_cbranch_scc1 .LBB50_215
; %bb.216:
	v_mbcnt_lo_u32_b32 v2, exec_lo, 0
	s_mov_b32 s2, 0
	s_mov_b32 s3, exec_lo
	v_cmpx_eq_u32_e32 0, v2
	s_xor_b32 s3, exec_lo, s3
	s_cbranch_execz .LBB50_220
; %bb.217:
	v_mov_b32_e32 v6, 0
	v_max_f64 v[4:5], v[0:1], v[0:1]
	global_load_dwordx2 v[2:3], v6, s[44:45]
.LBB50_218:                             ; =>This Inner Loop Header: Depth=1
	s_waitcnt vmcnt(0)
	v_max_f64 v[0:1], v[2:3], v[2:3]
	v_max_f64 v[0:1], v[0:1], v[4:5]
	global_atomic_cmpswap_x2 v[0:1], v6, v[0:3], s[44:45] glc
	s_waitcnt vmcnt(0)
	v_cmp_eq_u64_e64 s0, v[0:1], v[2:3]
	v_mov_b32_e32 v3, v1
	v_mov_b32_e32 v2, v0
	s_or_b32 s2, s0, s2
	s_andn2_b32 exec_lo, exec_lo, s2
	s_cbranch_execnz .LBB50_218
; %bb.219:
	s_or_b32 exec_lo, exec_lo, s2
.LBB50_220:
	s_or_b32 exec_lo, exec_lo, s1
	s_and_b32 s0, vcc_lo, s14
	s_and_saveexec_b32 s1, s0
	s_cbranch_execz .LBB50_226
; %bb.221:
	v_mov_b32_e32 v0, 0
	v_mov_b32_e32 v1, 0x7ff80000
	s_mov_b32 s0, exec_lo
.LBB50_222:                             ; =>This Inner Loop Header: Depth=1
	s_ff1_i32_b32 s1, s0
	v_max_f64 v[0:1], v[0:1], v[0:1]
	v_readlane_b32 s3, v14, s1
	v_readlane_b32 s2, v13, s1
	s_lshl_b32 s1, 1, s1
	s_andn2_b32 s0, s0, s1
	v_max_f64 v[2:3], s[2:3], s[2:3]
	s_cmp_lg_u32 s0, 0
	v_max_f64 v[0:1], v[0:1], v[2:3]
	s_cbranch_scc1 .LBB50_222
; %bb.223:
	v_mbcnt_lo_u32_b32 v2, exec_lo, 0
	s_mov_b32 s0, 0
	s_mov_b32 s1, exec_lo
	v_cmpx_eq_u32_e32 0, v2
	s_xor_b32 s1, exec_lo, s1
	s_cbranch_execz .LBB50_226
; %bb.224:
	v_mov_b32_e32 v6, 0
	v_max_f64 v[4:5], v[0:1], v[0:1]
	global_load_dwordx2 v[2:3], v6, s[46:47]
.LBB50_225:                             ; =>This Inner Loop Header: Depth=1
	s_waitcnt vmcnt(0)
	v_max_f64 v[0:1], v[2:3], v[2:3]
	v_max_f64 v[0:1], v[0:1], v[4:5]
	global_atomic_cmpswap_x2 v[0:1], v6, v[0:3], s[46:47] glc
	s_waitcnt vmcnt(0)
	v_cmp_eq_u64_e32 vcc_lo, v[0:1], v[2:3]
	v_mov_b32_e32 v3, v1
	v_mov_b32_e32 v2, v0
	s_or_b32 s0, vcc_lo, s0
	s_andn2_b32 exec_lo, exec_lo, s0
	s_cbranch_execnz .LBB50_225
.LBB50_226:
	s_endpgm
	.section	.rodata,"a",@progbits
	.p2align	6, 0x0
	.amdhsa_kernel _ZN9rocsparseL6kernelILi1024ELi2E21rocsparse_complex_numIdEiiEEvbbbT3_PS3_NS_15floating_traitsIT1_E6data_tES3_T2_PKS9_SB_PKS3_PKS6_21rocsparse_index_base_SB_SB_SD_PS6_SH_SG_SB_SB_SD_SH_SH_SG_SH_SH_PS8_SI_PKS8_
		.amdhsa_group_segment_fixed_size 6144
		.amdhsa_private_segment_fixed_size 0
		.amdhsa_kernarg_size 208
		.amdhsa_user_sgpr_count 6
		.amdhsa_user_sgpr_private_segment_buffer 1
		.amdhsa_user_sgpr_dispatch_ptr 0
		.amdhsa_user_sgpr_queue_ptr 0
		.amdhsa_user_sgpr_kernarg_segment_ptr 1
		.amdhsa_user_sgpr_dispatch_id 0
		.amdhsa_user_sgpr_flat_scratch_init 0
		.amdhsa_user_sgpr_private_segment_size 0
		.amdhsa_wavefront_size32 1
		.amdhsa_uses_dynamic_stack 0
		.amdhsa_system_sgpr_private_segment_wavefront_offset 0
		.amdhsa_system_sgpr_workgroup_id_x 1
		.amdhsa_system_sgpr_workgroup_id_y 0
		.amdhsa_system_sgpr_workgroup_id_z 0
		.amdhsa_system_sgpr_workgroup_info 0
		.amdhsa_system_vgpr_workitem_id 0
		.amdhsa_next_free_vgpr 59
		.amdhsa_next_free_sgpr 85
		.amdhsa_reserve_vcc 1
		.amdhsa_reserve_flat_scratch 0
		.amdhsa_float_round_mode_32 0
		.amdhsa_float_round_mode_16_64 0
		.amdhsa_float_denorm_mode_32 3
		.amdhsa_float_denorm_mode_16_64 3
		.amdhsa_dx10_clamp 1
		.amdhsa_ieee_mode 1
		.amdhsa_fp16_overflow 0
		.amdhsa_workgroup_processor_mode 1
		.amdhsa_memory_ordered 1
		.amdhsa_forward_progress 1
		.amdhsa_shared_vgpr_count 0
		.amdhsa_exception_fp_ieee_invalid_op 0
		.amdhsa_exception_fp_denorm_src 0
		.amdhsa_exception_fp_ieee_div_zero 0
		.amdhsa_exception_fp_ieee_overflow 0
		.amdhsa_exception_fp_ieee_underflow 0
		.amdhsa_exception_fp_ieee_inexact 0
		.amdhsa_exception_int_div_zero 0
	.end_amdhsa_kernel
	.section	.text._ZN9rocsparseL6kernelILi1024ELi2E21rocsparse_complex_numIdEiiEEvbbbT3_PS3_NS_15floating_traitsIT1_E6data_tES3_T2_PKS9_SB_PKS3_PKS6_21rocsparse_index_base_SB_SB_SD_PS6_SH_SG_SB_SB_SD_SH_SH_SG_SH_SH_PS8_SI_PKS8_,"axG",@progbits,_ZN9rocsparseL6kernelILi1024ELi2E21rocsparse_complex_numIdEiiEEvbbbT3_PS3_NS_15floating_traitsIT1_E6data_tES3_T2_PKS9_SB_PKS3_PKS6_21rocsparse_index_base_SB_SB_SD_PS6_SH_SG_SB_SB_SD_SH_SH_SG_SH_SH_PS8_SI_PKS8_,comdat
.Lfunc_end50:
	.size	_ZN9rocsparseL6kernelILi1024ELi2E21rocsparse_complex_numIdEiiEEvbbbT3_PS3_NS_15floating_traitsIT1_E6data_tES3_T2_PKS9_SB_PKS3_PKS6_21rocsparse_index_base_SB_SB_SD_PS6_SH_SG_SB_SB_SD_SH_SH_SG_SH_SH_PS8_SI_PKS8_, .Lfunc_end50-_ZN9rocsparseL6kernelILi1024ELi2E21rocsparse_complex_numIdEiiEEvbbbT3_PS3_NS_15floating_traitsIT1_E6data_tES3_T2_PKS9_SB_PKS3_PKS6_21rocsparse_index_base_SB_SB_SD_PS6_SH_SG_SB_SB_SD_SH_SH_SG_SH_SH_PS8_SI_PKS8_
                                        ; -- End function
	.set _ZN9rocsparseL6kernelILi1024ELi2E21rocsparse_complex_numIdEiiEEvbbbT3_PS3_NS_15floating_traitsIT1_E6data_tES3_T2_PKS9_SB_PKS3_PKS6_21rocsparse_index_base_SB_SB_SD_PS6_SH_SG_SB_SB_SD_SH_SH_SG_SH_SH_PS8_SI_PKS8_.num_vgpr, 59
	.set _ZN9rocsparseL6kernelILi1024ELi2E21rocsparse_complex_numIdEiiEEvbbbT3_PS3_NS_15floating_traitsIT1_E6data_tES3_T2_PKS9_SB_PKS3_PKS6_21rocsparse_index_base_SB_SB_SD_PS6_SH_SG_SB_SB_SD_SH_SH_SG_SH_SH_PS8_SI_PKS8_.num_agpr, 0
	.set _ZN9rocsparseL6kernelILi1024ELi2E21rocsparse_complex_numIdEiiEEvbbbT3_PS3_NS_15floating_traitsIT1_E6data_tES3_T2_PKS9_SB_PKS3_PKS6_21rocsparse_index_base_SB_SB_SD_PS6_SH_SG_SB_SB_SD_SH_SH_SG_SH_SH_PS8_SI_PKS8_.numbered_sgpr, 85
	.set _ZN9rocsparseL6kernelILi1024ELi2E21rocsparse_complex_numIdEiiEEvbbbT3_PS3_NS_15floating_traitsIT1_E6data_tES3_T2_PKS9_SB_PKS3_PKS6_21rocsparse_index_base_SB_SB_SD_PS6_SH_SG_SB_SB_SD_SH_SH_SG_SH_SH_PS8_SI_PKS8_.num_named_barrier, 0
	.set _ZN9rocsparseL6kernelILi1024ELi2E21rocsparse_complex_numIdEiiEEvbbbT3_PS3_NS_15floating_traitsIT1_E6data_tES3_T2_PKS9_SB_PKS3_PKS6_21rocsparse_index_base_SB_SB_SD_PS6_SH_SG_SB_SB_SD_SH_SH_SG_SH_SH_PS8_SI_PKS8_.private_seg_size, 0
	.set _ZN9rocsparseL6kernelILi1024ELi2E21rocsparse_complex_numIdEiiEEvbbbT3_PS3_NS_15floating_traitsIT1_E6data_tES3_T2_PKS9_SB_PKS3_PKS6_21rocsparse_index_base_SB_SB_SD_PS6_SH_SG_SB_SB_SD_SH_SH_SG_SH_SH_PS8_SI_PKS8_.uses_vcc, 1
	.set _ZN9rocsparseL6kernelILi1024ELi2E21rocsparse_complex_numIdEiiEEvbbbT3_PS3_NS_15floating_traitsIT1_E6data_tES3_T2_PKS9_SB_PKS3_PKS6_21rocsparse_index_base_SB_SB_SD_PS6_SH_SG_SB_SB_SD_SH_SH_SG_SH_SH_PS8_SI_PKS8_.uses_flat_scratch, 0
	.set _ZN9rocsparseL6kernelILi1024ELi2E21rocsparse_complex_numIdEiiEEvbbbT3_PS3_NS_15floating_traitsIT1_E6data_tES3_T2_PKS9_SB_PKS3_PKS6_21rocsparse_index_base_SB_SB_SD_PS6_SH_SG_SB_SB_SD_SH_SH_SG_SH_SH_PS8_SI_PKS8_.has_dyn_sized_stack, 0
	.set _ZN9rocsparseL6kernelILi1024ELi2E21rocsparse_complex_numIdEiiEEvbbbT3_PS3_NS_15floating_traitsIT1_E6data_tES3_T2_PKS9_SB_PKS3_PKS6_21rocsparse_index_base_SB_SB_SD_PS6_SH_SG_SB_SB_SD_SH_SH_SG_SH_SH_PS8_SI_PKS8_.has_recursion, 0
	.set _ZN9rocsparseL6kernelILi1024ELi2E21rocsparse_complex_numIdEiiEEvbbbT3_PS3_NS_15floating_traitsIT1_E6data_tES3_T2_PKS9_SB_PKS3_PKS6_21rocsparse_index_base_SB_SB_SD_PS6_SH_SG_SB_SB_SD_SH_SH_SG_SH_SH_PS8_SI_PKS8_.has_indirect_call, 0
	.section	.AMDGPU.csdata,"",@progbits
; Kernel info:
; codeLenInByte = 10384
; TotalNumSgprs: 87
; NumVgprs: 59
; ScratchSize: 0
; MemoryBound: 1
; FloatMode: 240
; IeeeMode: 1
; LDSByteSize: 6144 bytes/workgroup (compile time only)
; SGPRBlocks: 0
; VGPRBlocks: 7
; NumSGPRsForWavesPerEU: 87
; NumVGPRsForWavesPerEU: 59
; Occupancy: 16
; WaveLimiterHint : 1
; COMPUTE_PGM_RSRC2:SCRATCH_EN: 0
; COMPUTE_PGM_RSRC2:USER_SGPR: 6
; COMPUTE_PGM_RSRC2:TRAP_HANDLER: 0
; COMPUTE_PGM_RSRC2:TGID_X_EN: 1
; COMPUTE_PGM_RSRC2:TGID_Y_EN: 0
; COMPUTE_PGM_RSRC2:TGID_Z_EN: 0
; COMPUTE_PGM_RSRC2:TIDIG_COMP_CNT: 0
	.section	.text._ZN9rocsparseL6kernelILi1024ELi4E21rocsparse_complex_numIdEiiEEvbbbT3_PS3_NS_15floating_traitsIT1_E6data_tES3_T2_PKS9_SB_PKS3_PKS6_21rocsparse_index_base_SB_SB_SD_PS6_SH_SG_SB_SB_SD_SH_SH_SG_SH_SH_PS8_SI_PKS8_,"axG",@progbits,_ZN9rocsparseL6kernelILi1024ELi4E21rocsparse_complex_numIdEiiEEvbbbT3_PS3_NS_15floating_traitsIT1_E6data_tES3_T2_PKS9_SB_PKS3_PKS6_21rocsparse_index_base_SB_SB_SD_PS6_SH_SG_SB_SB_SD_SH_SH_SG_SH_SH_PS8_SI_PKS8_,comdat
	.globl	_ZN9rocsparseL6kernelILi1024ELi4E21rocsparse_complex_numIdEiiEEvbbbT3_PS3_NS_15floating_traitsIT1_E6data_tES3_T2_PKS9_SB_PKS3_PKS6_21rocsparse_index_base_SB_SB_SD_PS6_SH_SG_SB_SB_SD_SH_SH_SG_SH_SH_PS8_SI_PKS8_ ; -- Begin function _ZN9rocsparseL6kernelILi1024ELi4E21rocsparse_complex_numIdEiiEEvbbbT3_PS3_NS_15floating_traitsIT1_E6data_tES3_T2_PKS9_SB_PKS3_PKS6_21rocsparse_index_base_SB_SB_SD_PS6_SH_SG_SB_SB_SD_SH_SH_SG_SH_SH_PS8_SI_PKS8_
	.p2align	8
	.type	_ZN9rocsparseL6kernelILi1024ELi4E21rocsparse_complex_numIdEiiEEvbbbT3_PS3_NS_15floating_traitsIT1_E6data_tES3_T2_PKS9_SB_PKS3_PKS6_21rocsparse_index_base_SB_SB_SD_PS6_SH_SG_SB_SB_SD_SH_SH_SG_SH_SH_PS8_SI_PKS8_,@function
_ZN9rocsparseL6kernelILi1024ELi4E21rocsparse_complex_numIdEiiEEvbbbT3_PS3_NS_15floating_traitsIT1_E6data_tES3_T2_PKS9_SB_PKS3_PKS6_21rocsparse_index_base_SB_SB_SD_PS6_SH_SG_SB_SB_SD_SH_SH_SG_SH_SH_PS8_SI_PKS8_: ; @_ZN9rocsparseL6kernelILi1024ELi4E21rocsparse_complex_numIdEiiEEvbbbT3_PS3_NS_15floating_traitsIT1_E6data_tES3_T2_PKS9_SB_PKS3_PKS6_21rocsparse_index_base_SB_SB_SD_PS6_SH_SG_SB_SB_SD_SH_SH_SG_SH_SH_PS8_SI_PKS8_
; %bb.0:
	s_clause 0x4
	s_load_dword s0, s[4:5], 0x0
	s_load_dwordx2 s[12:13], s[4:5], 0x0
	s_load_dword s59, s[4:5], 0x18
	s_load_dwordx4 s[48:51], s[4:5], 0x8
	s_load_dwordx4 s[44:47], s[4:5], 0xb8
	v_lshrrev_b32_e32 v37, 2, v0
	v_mov_b32_e32 v1, 0
	v_mov_b32_e32 v15, 0
	;; [unrolled: 1-line block ×3, first 2 shown]
	v_lshlrev_b32_e32 v40, 3, v0
	v_and_b32_e32 v38, 3, v0
	v_mov_b32_e32 v2, v1
	v_mov_b32_e32 v16, 0
	v_mov_b32_e32 v14, 0
	v_mbcnt_lo_u32_b32 v39, -1, 0
	s_mov_b32 s61, 0
	ds_write_b64 v40, v[1:2]
	s_waitcnt lgkmcnt(0)
	s_barrier
	buffer_gl0_inv
	s_bitcmp1_b32 s0, 0
	s_cselect_b32 s60, -1, 0
	s_bitcmp1_b32 s0, 8
	s_cselect_b32 s58, -1, 0
	;; [unrolled: 2-line block ×3, first 2 shown]
	s_lshl_b32 s66, s6, 10
	s_cmp_gt_i32 s13, 0
	v_or_b32_e32 v41, s66, v37
	s_cselect_b32 s0, -1, 0
	v_cmp_gt_i32_e32 vcc_lo, s59, v41
	s_and_b32 s0, s0, vcc_lo
	s_and_saveexec_b32 s62, s0
	s_cbranch_execnz .LBB51_3
; %bb.1:
	s_or_b32 exec_lo, exec_lo, s62
	s_andn2_b32 vcc_lo, exec_lo, s60
	s_cbranch_vccz .LBB51_186
.LBB51_2:
	v_cmp_eq_u32_e32 vcc_lo, 0, v0
	s_and_b32 s0, vcc_lo, s58
	s_and_saveexec_b32 s1, s0
	s_cbranch_execnz .LBB51_208
	s_branch .LBB51_214
.LBB51_3:
	s_clause 0x9
	s_load_dword s63, s[4:5], 0x40
	s_load_dwordx2 s[14:15], s[4:5], 0x68
	s_load_dword s64, s[4:5], 0x70
	s_load_dwordx2 s[34:35], s[4:5], 0x98
	;; [unrolled: 2-line block ×3, first 2 shown]
	s_load_dwordx4 s[52:55], s[4:5], 0xa8
	s_load_dwordx8 s[16:23], s[4:5], 0x78
	s_load_dwordx8 s[24:31], s[4:5], 0x48
	;; [unrolled: 1-line block ×3, first 2 shown]
	s_addk_i32 s66, 0x400
	v_mov_b32_e32 v13, 0
	v_mov_b32_e32 v15, 0
	v_cmp_eq_u32_e64 s0, 3, v38
	v_lshlrev_b32_e32 v42, 3, v37
	v_cmp_gt_u32_e64 s1, 0x80, v0
	v_cmp_gt_u32_e64 s2, 64, v0
	;; [unrolled: 1-line block ×7, first 2 shown]
	s_waitcnt lgkmcnt(0)
	v_subrev_nc_u32_e32 v43, s63, v38
	v_cmp_gt_u32_e64 s8, 2, v0
	v_cmp_eq_u32_e64 s9, 0, v0
	v_subrev_nc_u32_e32 v44, s64, v38
	v_subrev_nc_u32_e32 v45, s65, v38
	v_cmp_eq_u32_e64 s10, 0, v38
	v_mov_b32_e32 v14, 0
	v_mov_b32_e32 v16, 0
	;; [unrolled: 1-line block ×3, first 2 shown]
	s_and_b32 s11, s58, s33
	s_xor_b32 s67, s58, -1
	s_xor_b32 s68, s11, -1
	s_mov_b32 s69, 0
	s_branch .LBB51_5
.LBB51_4:                               ;   in Loop: Header=BB51_5 Depth=1
	s_or_b32 exec_lo, exec_lo, s11
	s_and_b32 s11, exec_lo, s12
	s_or_b32 s61, s11, s61
	s_andn2_b32 exec_lo, exec_lo, s61
	s_cbranch_execz .LBB51_185
.LBB51_5:                               ; =>This Loop Header: Depth=1
                                        ;     Child Loop BB51_9 Depth 2
                                        ;       Child Loop BB51_14 Depth 3
                                        ;         Child Loop BB51_18 Depth 4
                                        ;         Child Loop BB51_53 Depth 4
	;; [unrolled: 1-line block ×5, first 2 shown]
                                        ;     Child Loop BB51_164 Depth 2
                                        ;       Child Loop BB51_167 Depth 3
                                        ;       Child Loop BB51_170 Depth 3
	v_cndmask_b32_e64 v16, v16, 0, s58
	v_cndmask_b32_e64 v15, v15, 0, s58
	;; [unrolled: 1-line block ×4, first 2 shown]
	s_mov_b32 s70, 0
	s_branch .LBB51_9
.LBB51_6:                               ;   in Loop: Header=BB51_9 Depth=2
	s_or_b32 exec_lo, exec_lo, s73
.LBB51_7:                               ;   in Loop: Header=BB51_9 Depth=2
	s_or_b32 exec_lo, exec_lo, s72
.LBB51_8:                               ;   in Loop: Header=BB51_9 Depth=2
	s_or_b32 exec_lo, exec_lo, s71
	s_add_i32 s70, s70, 1
	s_cmp_eq_u32 s70, 4
	s_cbranch_scc1 .LBB51_121
.LBB51_9:                               ;   Parent Loop BB51_5 Depth=1
                                        ; =>  This Loop Header: Depth=2
                                        ;       Child Loop BB51_14 Depth 3
                                        ;         Child Loop BB51_18 Depth 4
                                        ;         Child Loop BB51_53 Depth 4
	;; [unrolled: 1-line block ×5, first 2 shown]
	v_lshl_add_u32 v19, s70, 8, v41
	s_mov_b32 s71, exec_lo
	v_cmpx_gt_i32_e64 s59, v19
	s_cbranch_execz .LBB51_8
; %bb.10:                               ;   in Loop: Header=BB51_9 Depth=2
	v_ashrrev_i32_e32 v20, 31, v19
	s_mov_b32 s72, exec_lo
	v_lshlrev_b64 v[1:2], 2, v[19:20]
	v_add_co_u32 v3, vcc_lo, s36, v1
	v_add_co_ci_u32_e64 v4, null, s37, v2, vcc_lo
	v_add_co_u32 v5, vcc_lo, s38, v1
	v_add_co_ci_u32_e64 v6, null, s39, v2, vcc_lo
	global_load_dword v3, v[3:4], off
	global_load_dword v4, v[5:6], off
	s_waitcnt vmcnt(1)
	v_add_nc_u32_e32 v20, v43, v3
	s_waitcnt vmcnt(0)
	v_subrev_nc_u32_e32 v46, s63, v4
	v_cmpx_lt_i32_e64 v20, v46
	s_cbranch_execz .LBB51_7
; %bb.11:                               ;   in Loop: Header=BB51_9 Depth=2
	v_add_co_u32 v3, vcc_lo, s24, v1
	v_add_co_ci_u32_e64 v4, null, s25, v2, vcc_lo
	v_add_co_u32 v1, vcc_lo, s26, v1
	v_add_co_ci_u32_e64 v2, null, s27, v2, vcc_lo
	global_load_dword v3, v[3:4], off
	s_mov_b32 s73, 0
	global_load_dword v4, v[1:2], off
	s_waitcnt vmcnt(1)
	v_subrev_nc_u32_e32 v22, s64, v3
	s_waitcnt vmcnt(0)
	v_sub_nc_u32_e32 v47, v4, v3
	v_ashrrev_i32_e32 v23, 31, v22
	v_cmp_lt_i32_e64 s11, 0, v47
	v_lshlrev_b64 v[1:2], 2, v[22:23]
	v_lshlrev_b64 v[3:4], 4, v[22:23]
	v_add_co_u32 v48, vcc_lo, s28, v1
	v_add_co_ci_u32_e64 v49, null, s29, v2, vcc_lo
	v_add_co_u32 v50, vcc_lo, s30, v3
	v_add_co_ci_u32_e64 v51, null, s31, v4, vcc_lo
	s_branch .LBB51_14
.LBB51_12:                              ;   in Loop: Header=BB51_14 Depth=3
	s_or_b32 exec_lo, exec_lo, s74
.LBB51_13:                              ;   in Loop: Header=BB51_14 Depth=3
	s_or_b32 exec_lo, exec_lo, s12
	v_add_nc_u32_e32 v20, 4, v20
	v_cmp_ge_i32_e32 vcc_lo, v20, v46
	s_or_b32 s73, vcc_lo, s73
	s_andn2_b32 exec_lo, exec_lo, s73
	s_cbranch_execz .LBB51_6
.LBB51_14:                              ;   Parent Loop BB51_5 Depth=1
                                        ;     Parent Loop BB51_9 Depth=2
                                        ; =>    This Loop Header: Depth=3
                                        ;         Child Loop BB51_18 Depth 4
                                        ;         Child Loop BB51_53 Depth 4
	;; [unrolled: 1-line block ×5, first 2 shown]
	v_ashrrev_i32_e32 v21, 31, v20
	v_mov_b32_e32 v17, 0
	v_mov_b32_e32 v25, 0
	;; [unrolled: 1-line block ×4, first 2 shown]
	v_lshlrev_b64 v[1:2], 2, v[20:21]
	v_mov_b32_e32 v28, 0
	v_mov_b32_e32 v30, v17
	v_add_co_u32 v1, vcc_lo, s40, v1
	v_add_co_ci_u32_e64 v2, null, s41, v2, vcc_lo
	global_load_dword v1, v[1:2], off
	s_waitcnt vmcnt(0)
	v_subrev_nc_u32_e32 v23, s63, v1
	v_ashrrev_i32_e32 v24, 31, v23
	v_lshlrev_b64 v[1:2], 2, v[23:24]
	v_add_co_u32 v3, vcc_lo, s16, v1
	v_add_co_ci_u32_e64 v4, null, s17, v2, vcc_lo
	v_add_co_u32 v1, vcc_lo, s18, v1
	v_add_co_ci_u32_e64 v2, null, s19, v2, vcc_lo
	global_load_dword v3, v[3:4], off
	global_load_dword v1, v[1:2], off
	s_waitcnt vmcnt(1)
	v_subrev_nc_u32_e32 v29, s65, v3
	s_waitcnt vmcnt(0)
	v_sub_nc_u32_e32 v52, v1, v3
	s_and_saveexec_b32 s74, s11
	s_cbranch_execz .LBB51_22
; %bb.15:                               ;   in Loop: Header=BB51_14 Depth=3
	v_ashrrev_i32_e32 v30, 31, v29
	v_mov_b32_e32 v25, 0
	v_mov_b32_e32 v27, 0
	;; [unrolled: 1-line block ×4, first 2 shown]
	v_lshlrev_b64 v[1:2], 2, v[29:30]
	v_lshlrev_b64 v[3:4], 4, v[29:30]
	v_mov_b32_e32 v30, 0
	v_mov_b32_e32 v17, 0
	s_mov_b32 s75, 0
                                        ; implicit-def: $sgpr76
	v_add_co_u32 v1, vcc_lo, s20, v1
	v_add_co_ci_u32_e64 v2, null, s21, v2, vcc_lo
	v_add_co_u32 v3, vcc_lo, s22, v3
	v_add_co_ci_u32_e64 v4, null, s23, v4, vcc_lo
	s_branch .LBB51_18
.LBB51_16:                              ;   in Loop: Header=BB51_18 Depth=4
	s_or_b32 exec_lo, exec_lo, s12
	v_cmp_le_i32_e32 vcc_lo, v5, v6
	v_cmp_ge_i32_e64 s12, v5, v6
	v_add_co_ci_u32_e64 v17, null, 0, v17, vcc_lo
	v_add_co_ci_u32_e64 v30, null, 0, v30, s12
	s_andn2_b32 s12, s76, exec_lo
	v_cmp_ge_i32_e32 vcc_lo, v17, v47
	s_and_b32 s76, vcc_lo, exec_lo
	s_or_b32 s76, s12, s76
.LBB51_17:                              ;   in Loop: Header=BB51_18 Depth=4
	s_or_b32 exec_lo, exec_lo, s77
	s_and_b32 s12, exec_lo, s76
	s_or_b32 s75, s12, s75
	s_andn2_b32 exec_lo, exec_lo, s75
	s_cbranch_execz .LBB51_21
.LBB51_18:                              ;   Parent Loop BB51_5 Depth=1
                                        ;     Parent Loop BB51_9 Depth=2
                                        ;       Parent Loop BB51_14 Depth=3
                                        ; =>      This Inner Loop Header: Depth=4
	s_or_b32 s76, s76, exec_lo
	s_mov_b32 s77, exec_lo
	v_cmpx_lt_i32_e64 v30, v52
	s_cbranch_execz .LBB51_17
; %bb.19:                               ;   in Loop: Header=BB51_18 Depth=4
	v_mov_b32_e32 v31, v18
	v_lshlrev_b64 v[5:6], 2, v[17:18]
	s_mov_b32 s12, exec_lo
	v_lshlrev_b64 v[7:8], 2, v[30:31]
	v_add_co_u32 v5, vcc_lo, v48, v5
	v_add_co_ci_u32_e64 v6, null, v49, v6, vcc_lo
	v_add_co_u32 v7, vcc_lo, v1, v7
	v_add_co_ci_u32_e64 v8, null, v2, v8, vcc_lo
	global_load_dword v5, v[5:6], off
	global_load_dword v6, v[7:8], off
	s_waitcnt vmcnt(1)
	v_subrev_nc_u32_e32 v5, s64, v5
	s_waitcnt vmcnt(0)
	v_subrev_nc_u32_e32 v6, s65, v6
	v_cmpx_eq_u32_e64 v5, v6
	s_cbranch_execz .LBB51_16
; %bb.20:                               ;   in Loop: Header=BB51_18 Depth=4
	v_lshlrev_b64 v[7:8], 4, v[17:18]
	v_lshlrev_b64 v[9:10], 4, v[30:31]
	v_add_co_u32 v7, vcc_lo, v50, v7
	v_add_co_ci_u32_e64 v8, null, v51, v8, vcc_lo
	v_add_co_u32 v11, vcc_lo, v3, v9
	v_add_co_ci_u32_e64 v12, null, v4, v10, vcc_lo
	global_load_dwordx4 v[7:10], v[7:8], off
	global_load_dwordx4 v[31:34], v[11:12], off
	s_waitcnt vmcnt(0)
	v_fma_f64 v[11:12], v[7:8], v[31:32], v[25:26]
	v_fma_f64 v[27:28], v[9:10], v[31:32], v[27:28]
	v_fma_f64 v[25:26], -v[9:10], v[33:34], v[11:12]
	v_fma_f64 v[27:28], v[7:8], v[33:34], v[27:28]
	s_branch .LBB51_16
.LBB51_21:                              ;   in Loop: Header=BB51_14 Depth=3
	s_or_b32 exec_lo, exec_lo, s75
.LBB51_22:                              ;   in Loop: Header=BB51_14 Depth=3
	s_or_b32 exec_lo, exec_lo, s74
	v_lshlrev_b64 v[1:2], 4, v[20:21]
	v_cmp_le_i32_e64 s12, v19, v23
	s_mov_b32 s74, exec_lo
	v_add_co_u32 v1, vcc_lo, s42, v1
	v_add_co_ci_u32_e64 v2, null, s43, v2, vcc_lo
	global_load_dwordx4 v[1:4], v[1:2], off
	s_waitcnt vmcnt(0)
	v_add_f64 v[5:6], v[1:2], -v[25:26]
	v_add_f64 v[7:8], v[3:4], -v[27:28]
	v_cmpx_gt_i32_e64 v19, v23
	s_cbranch_execz .LBB51_32
; %bb.23:                               ;   in Loop: Header=BB51_14 Depth=3
	v_lshlrev_b64 v[9:10], 4, v[23:24]
	s_mov_b32 s75, exec_lo
                                        ; implicit-def: $vgpr35_vgpr36
	v_add_co_u32 v9, vcc_lo, s52, v9
	v_add_co_ci_u32_e64 v10, null, s53, v10, vcc_lo
	global_load_dwordx4 v[9:12], v[9:10], off
	s_waitcnt vmcnt(0)
	v_cmp_gt_f64_e32 vcc_lo, 0, v[9:10]
	v_xor_b32_e32 v21, 0x80000000, v10
	v_xor_b32_e32 v33, 0x80000000, v12
	v_mov_b32_e32 v31, v9
	v_cndmask_b32_e32 v32, v10, v21, vcc_lo
	v_cmp_gt_f64_e32 vcc_lo, 0, v[11:12]
	v_cndmask_b32_e32 v34, v12, v33, vcc_lo
	v_mov_b32_e32 v33, v11
	v_cmpx_ngt_f64_e32 v[31:32], v[33:34]
	s_xor_b32 s75, exec_lo, s75
	s_cbranch_execz .LBB51_27
; %bb.24:                               ;   in Loop: Header=BB51_14 Depth=3
	v_mov_b32_e32 v35, 0
	v_mov_b32_e32 v36, 0
	s_mov_b32 s76, exec_lo
	v_cmpx_neq_f64_e32 0, v[11:12]
	s_cbranch_execz .LBB51_26
; %bb.25:                               ;   in Loop: Header=BB51_14 Depth=3
	v_div_scale_f64 v[35:36], null, v[33:34], v[33:34], v[31:32]
	v_div_scale_f64 v[57:58], vcc_lo, v[31:32], v[33:34], v[31:32]
	v_rcp_f64_e32 v[53:54], v[35:36]
	v_fma_f64 v[55:56], -v[35:36], v[53:54], 1.0
	v_fma_f64 v[53:54], v[53:54], v[55:56], v[53:54]
	v_fma_f64 v[55:56], -v[35:36], v[53:54], 1.0
	v_fma_f64 v[53:54], v[53:54], v[55:56], v[53:54]
	v_mul_f64 v[55:56], v[57:58], v[53:54]
	v_fma_f64 v[35:36], -v[35:36], v[55:56], v[57:58]
	v_div_fmas_f64 v[35:36], v[35:36], v[53:54], v[55:56]
	v_div_fixup_f64 v[31:32], v[35:36], v[33:34], v[31:32]
	v_fma_f64 v[31:32], v[31:32], v[31:32], 1.0
	v_cmp_gt_f64_e32 vcc_lo, 0x10000000, v[31:32]
	v_cndmask_b32_e64 v21, 0, 0x100, vcc_lo
	v_ldexp_f64 v[31:32], v[31:32], v21
	v_cndmask_b32_e64 v21, 0, 0xffffff80, vcc_lo
	v_rsq_f64_e32 v[35:36], v[31:32]
	v_cmp_class_f64_e64 vcc_lo, v[31:32], 0x260
	v_mul_f64 v[53:54], v[31:32], v[35:36]
	v_mul_f64 v[35:36], v[35:36], 0.5
	v_fma_f64 v[55:56], -v[35:36], v[53:54], 0.5
	v_fma_f64 v[53:54], v[53:54], v[55:56], v[53:54]
	v_fma_f64 v[35:36], v[35:36], v[55:56], v[35:36]
	v_fma_f64 v[55:56], -v[53:54], v[53:54], v[31:32]
	v_fma_f64 v[53:54], v[55:56], v[35:36], v[53:54]
	v_fma_f64 v[55:56], -v[53:54], v[53:54], v[31:32]
	v_fma_f64 v[35:36], v[55:56], v[35:36], v[53:54]
	v_ldexp_f64 v[35:36], v[35:36], v21
	v_cndmask_b32_e32 v32, v36, v32, vcc_lo
	v_cndmask_b32_e32 v31, v35, v31, vcc_lo
	v_mul_f64 v[35:36], v[33:34], v[31:32]
.LBB51_26:                              ;   in Loop: Header=BB51_14 Depth=3
	s_or_b32 exec_lo, exec_lo, s76
                                        ; implicit-def: $vgpr31_vgpr32
                                        ; implicit-def: $vgpr33_vgpr34
.LBB51_27:                              ;   in Loop: Header=BB51_14 Depth=3
	s_andn2_saveexec_b32 s75, s75
	s_cbranch_execz .LBB51_29
; %bb.28:                               ;   in Loop: Header=BB51_14 Depth=3
	v_div_scale_f64 v[35:36], null, v[31:32], v[31:32], v[33:34]
	v_div_scale_f64 v[57:58], vcc_lo, v[33:34], v[31:32], v[33:34]
	v_rcp_f64_e32 v[53:54], v[35:36]
	v_fma_f64 v[55:56], -v[35:36], v[53:54], 1.0
	v_fma_f64 v[53:54], v[53:54], v[55:56], v[53:54]
	v_fma_f64 v[55:56], -v[35:36], v[53:54], 1.0
	v_fma_f64 v[53:54], v[53:54], v[55:56], v[53:54]
	v_mul_f64 v[55:56], v[57:58], v[53:54]
	v_fma_f64 v[35:36], -v[35:36], v[55:56], v[57:58]
	v_div_fmas_f64 v[35:36], v[35:36], v[53:54], v[55:56]
	v_div_fixup_f64 v[33:34], v[35:36], v[31:32], v[33:34]
	v_fma_f64 v[33:34], v[33:34], v[33:34], 1.0
	v_cmp_gt_f64_e32 vcc_lo, 0x10000000, v[33:34]
	v_cndmask_b32_e64 v21, 0, 0x100, vcc_lo
	v_ldexp_f64 v[33:34], v[33:34], v21
	v_cndmask_b32_e64 v21, 0, 0xffffff80, vcc_lo
	v_rsq_f64_e32 v[35:36], v[33:34]
	v_cmp_class_f64_e64 vcc_lo, v[33:34], 0x260
	v_mul_f64 v[53:54], v[33:34], v[35:36]
	v_mul_f64 v[35:36], v[35:36], 0.5
	v_fma_f64 v[55:56], -v[35:36], v[53:54], 0.5
	v_fma_f64 v[53:54], v[53:54], v[55:56], v[53:54]
	v_fma_f64 v[35:36], v[35:36], v[55:56], v[35:36]
	v_fma_f64 v[55:56], -v[53:54], v[53:54], v[33:34]
	v_fma_f64 v[53:54], v[55:56], v[35:36], v[53:54]
	v_fma_f64 v[55:56], -v[53:54], v[53:54], v[33:34]
	v_fma_f64 v[35:36], v[55:56], v[35:36], v[53:54]
	v_ldexp_f64 v[35:36], v[35:36], v21
	v_cndmask_b32_e32 v34, v36, v34, vcc_lo
	v_cndmask_b32_e32 v33, v35, v33, vcc_lo
	v_mul_f64 v[35:36], v[31:32], v[33:34]
.LBB51_29:                              ;   in Loop: Header=BB51_14 Depth=3
	s_or_b32 exec_lo, exec_lo, s75
	v_mov_b32_e32 v31, 0
	v_mov_b32_e32 v33, 0
	;; [unrolled: 1-line block ×4, first 2 shown]
	s_mov_b32 s75, exec_lo
	v_cmpx_lt_f64_e32 0, v[35:36]
	s_cbranch_execz .LBB51_31
; %bb.30:                               ;   in Loop: Header=BB51_14 Depth=3
	v_mul_f64 v[31:32], v[11:12], v[11:12]
	v_fma_f64 v[31:32], v[9:10], v[9:10], v[31:32]
	v_div_scale_f64 v[33:34], null, v[31:32], v[31:32], 1.0
	v_div_scale_f64 v[55:56], vcc_lo, 1.0, v[31:32], 1.0
	v_rcp_f64_e32 v[35:36], v[33:34]
	v_fma_f64 v[53:54], -v[33:34], v[35:36], 1.0
	v_fma_f64 v[35:36], v[35:36], v[53:54], v[35:36]
	v_fma_f64 v[53:54], -v[33:34], v[35:36], 1.0
	v_fma_f64 v[35:36], v[35:36], v[53:54], v[35:36]
	v_mul_f64 v[53:54], v[55:56], v[35:36]
	v_fma_f64 v[33:34], -v[33:34], v[53:54], v[55:56]
	v_mul_f64 v[55:56], v[7:8], v[11:12]
	v_mul_f64 v[11:12], v[11:12], -v[5:6]
	v_div_fmas_f64 v[33:34], v[33:34], v[35:36], v[53:54]
	v_fma_f64 v[5:6], v[5:6], v[9:10], v[55:56]
	v_fma_f64 v[7:8], v[7:8], v[9:10], v[11:12]
	v_div_fixup_f64 v[31:32], v[33:34], v[31:32], 1.0
	v_mul_f64 v[33:34], v[5:6], v[31:32]
	v_mul_f64 v[31:32], v[7:8], v[31:32]
.LBB51_31:                              ;   in Loop: Header=BB51_14 Depth=3
	s_or_b32 exec_lo, exec_lo, s75
	v_mov_b32_e32 v7, v31
	v_mov_b32_e32 v5, v33
	;; [unrolled: 1-line block ×4, first 2 shown]
.LBB51_32:                              ;   in Loop: Header=BB51_14 Depth=3
	s_or_b32 exec_lo, exec_lo, s74
	v_cmp_gt_f64_e32 vcc_lo, 0, v[5:6]
	v_xor_b32_e32 v10, 0x80000000, v6
	v_xor_b32_e32 v11, 0x80000000, v8
	v_mov_b32_e32 v9, v5
	s_mov_b32 s74, exec_lo
                                        ; implicit-def: $vgpr31_vgpr32
	v_cndmask_b32_e32 v10, v6, v10, vcc_lo
	v_cmp_gt_f64_e32 vcc_lo, 0, v[7:8]
	v_cndmask_b32_e32 v12, v8, v11, vcc_lo
	v_mov_b32_e32 v11, v7
	v_cmpx_ngt_f64_e32 v[9:10], v[11:12]
	s_xor_b32 s74, exec_lo, s74
	s_cbranch_execnz .LBB51_36
; %bb.33:                               ;   in Loop: Header=BB51_14 Depth=3
	s_andn2_saveexec_b32 s74, s74
	s_cbranch_execnz .LBB51_39
.LBB51_34:                              ;   in Loop: Header=BB51_14 Depth=3
	s_or_b32 exec_lo, exec_lo, s74
	v_cmp_class_f64_e64 s74, v[31:32], 0x1f8
	s_and_saveexec_b32 s75, s74
	s_cbranch_execnz .LBB51_40
.LBB51_35:                              ;   in Loop: Header=BB51_14 Depth=3
	s_or_b32 exec_lo, exec_lo, s75
	s_and_b32 s74, s33, s74
	s_and_saveexec_b32 s12, s74
	s_cbranch_execz .LBB51_13
	s_branch .LBB51_81
.LBB51_36:                              ;   in Loop: Header=BB51_14 Depth=3
	v_mov_b32_e32 v31, 0
	v_mov_b32_e32 v32, 0
	s_mov_b32 s75, exec_lo
	v_cmpx_neq_f64_e32 0, v[7:8]
	s_cbranch_execz .LBB51_38
; %bb.37:                               ;   in Loop: Header=BB51_14 Depth=3
	v_div_scale_f64 v[31:32], null, v[11:12], v[11:12], v[9:10]
	v_div_scale_f64 v[53:54], vcc_lo, v[9:10], v[11:12], v[9:10]
	v_rcp_f64_e32 v[33:34], v[31:32]
	v_fma_f64 v[35:36], -v[31:32], v[33:34], 1.0
	v_fma_f64 v[33:34], v[33:34], v[35:36], v[33:34]
	v_fma_f64 v[35:36], -v[31:32], v[33:34], 1.0
	v_fma_f64 v[33:34], v[33:34], v[35:36], v[33:34]
	v_mul_f64 v[35:36], v[53:54], v[33:34]
	v_fma_f64 v[31:32], -v[31:32], v[35:36], v[53:54]
	v_div_fmas_f64 v[31:32], v[31:32], v[33:34], v[35:36]
	v_div_fixup_f64 v[9:10], v[31:32], v[11:12], v[9:10]
	v_fma_f64 v[9:10], v[9:10], v[9:10], 1.0
	v_cmp_gt_f64_e32 vcc_lo, 0x10000000, v[9:10]
	v_cndmask_b32_e64 v21, 0, 0x100, vcc_lo
	v_ldexp_f64 v[9:10], v[9:10], v21
	v_cndmask_b32_e64 v21, 0, 0xffffff80, vcc_lo
	v_rsq_f64_e32 v[31:32], v[9:10]
	v_cmp_class_f64_e64 vcc_lo, v[9:10], 0x260
	v_mul_f64 v[33:34], v[9:10], v[31:32]
	v_mul_f64 v[31:32], v[31:32], 0.5
	v_fma_f64 v[35:36], -v[31:32], v[33:34], 0.5
	v_fma_f64 v[33:34], v[33:34], v[35:36], v[33:34]
	v_fma_f64 v[31:32], v[31:32], v[35:36], v[31:32]
	v_fma_f64 v[35:36], -v[33:34], v[33:34], v[9:10]
	v_fma_f64 v[33:34], v[35:36], v[31:32], v[33:34]
	v_fma_f64 v[35:36], -v[33:34], v[33:34], v[9:10]
	v_fma_f64 v[31:32], v[35:36], v[31:32], v[33:34]
	v_ldexp_f64 v[31:32], v[31:32], v21
	v_cndmask_b32_e32 v10, v32, v10, vcc_lo
	v_cndmask_b32_e32 v9, v31, v9, vcc_lo
	v_mul_f64 v[31:32], v[11:12], v[9:10]
.LBB51_38:                              ;   in Loop: Header=BB51_14 Depth=3
	s_or_b32 exec_lo, exec_lo, s75
                                        ; implicit-def: $vgpr9_vgpr10
                                        ; implicit-def: $vgpr11_vgpr12
	s_andn2_saveexec_b32 s74, s74
	s_cbranch_execz .LBB51_34
.LBB51_39:                              ;   in Loop: Header=BB51_14 Depth=3
	v_div_scale_f64 v[31:32], null, v[9:10], v[9:10], v[11:12]
	v_div_scale_f64 v[53:54], vcc_lo, v[11:12], v[9:10], v[11:12]
	v_rcp_f64_e32 v[33:34], v[31:32]
	v_fma_f64 v[35:36], -v[31:32], v[33:34], 1.0
	v_fma_f64 v[33:34], v[33:34], v[35:36], v[33:34]
	v_fma_f64 v[35:36], -v[31:32], v[33:34], 1.0
	v_fma_f64 v[33:34], v[33:34], v[35:36], v[33:34]
	v_mul_f64 v[35:36], v[53:54], v[33:34]
	v_fma_f64 v[31:32], -v[31:32], v[35:36], v[53:54]
	v_div_fmas_f64 v[31:32], v[31:32], v[33:34], v[35:36]
	v_div_fixup_f64 v[11:12], v[31:32], v[9:10], v[11:12]
	v_fma_f64 v[11:12], v[11:12], v[11:12], 1.0
	v_cmp_gt_f64_e32 vcc_lo, 0x10000000, v[11:12]
	v_cndmask_b32_e64 v21, 0, 0x100, vcc_lo
	v_ldexp_f64 v[11:12], v[11:12], v21
	v_cndmask_b32_e64 v21, 0, 0xffffff80, vcc_lo
	v_rsq_f64_e32 v[31:32], v[11:12]
	v_cmp_class_f64_e64 vcc_lo, v[11:12], 0x260
	v_mul_f64 v[33:34], v[11:12], v[31:32]
	v_mul_f64 v[31:32], v[31:32], 0.5
	v_fma_f64 v[35:36], -v[31:32], v[33:34], 0.5
	v_fma_f64 v[33:34], v[33:34], v[35:36], v[33:34]
	v_fma_f64 v[31:32], v[31:32], v[35:36], v[31:32]
	v_fma_f64 v[35:36], -v[33:34], v[33:34], v[11:12]
	v_fma_f64 v[33:34], v[35:36], v[31:32], v[33:34]
	v_fma_f64 v[35:36], -v[33:34], v[33:34], v[11:12]
	v_fma_f64 v[31:32], v[35:36], v[31:32], v[33:34]
	v_ldexp_f64 v[31:32], v[31:32], v21
	v_cndmask_b32_e32 v12, v32, v12, vcc_lo
	v_cndmask_b32_e32 v11, v31, v11, vcc_lo
	v_mul_f64 v[31:32], v[9:10], v[11:12]
	s_or_b32 exec_lo, exec_lo, s74
	v_cmp_class_f64_e64 s74, v[31:32], 0x1f8
	s_and_saveexec_b32 s75, s74
	s_cbranch_execz .LBB51_35
.LBB51_40:                              ;   in Loop: Header=BB51_14 Depth=3
	s_and_saveexec_b32 s76, s12
	s_xor_b32 s12, exec_lo, s76
	s_cbranch_execz .LBB51_65
; %bb.41:                               ;   in Loop: Header=BB51_14 Depth=3
	s_mov_b32 s76, exec_lo
	v_cmpx_ge_i32_e64 v19, v23
	s_xor_b32 s76, exec_lo, s76
	s_cbranch_execz .LBB51_49
; %bb.42:                               ;   in Loop: Header=BB51_14 Depth=3
	v_lshlrev_b64 v[9:10], 4, v[23:24]
	v_add_co_u32 v11, vcc_lo, s54, v9
	v_add_co_ci_u32_e64 v12, null, s55, v10, vcc_lo
	s_andn2_b32 vcc_lo, exec_lo, s58
	global_store_dwordx4 v[11:12], v[5:8], off
	s_cbranch_vccnz .LBB51_48
; %bb.43:                               ;   in Loop: Header=BB51_14 Depth=3
	v_add_co_u32 v9, vcc_lo, s52, v9
	v_add_co_ci_u32_e64 v10, null, s53, v10, vcc_lo
	s_mov_b32 s77, exec_lo
	global_load_dwordx4 v[9:12], v[9:10], off
	s_waitcnt vmcnt(0)
	v_add_f64 v[5:6], v[9:10], -v[5:6]
	v_add_f64 v[11:12], v[11:12], -v[7:8]
                                        ; implicit-def: $vgpr9_vgpr10
	v_cmp_gt_f64_e32 vcc_lo, 0, v[5:6]
	v_xor_b32_e32 v7, 0x80000000, v6
	v_xor_b32_e32 v8, 0x80000000, v12
	v_cndmask_b32_e32 v6, v6, v7, vcc_lo
	v_cmp_gt_f64_e32 vcc_lo, 0, v[11:12]
	v_mov_b32_e32 v7, v11
	v_cndmask_b32_e32 v8, v12, v8, vcc_lo
	v_cmpx_ngt_f64_e32 v[5:6], v[7:8]
	s_xor_b32 s77, exec_lo, s77
	s_cbranch_execnz .LBB51_109
; %bb.44:                               ;   in Loop: Header=BB51_14 Depth=3
	s_andn2_saveexec_b32 s77, s77
	s_cbranch_execnz .LBB51_112
.LBB51_45:                              ;   in Loop: Header=BB51_14 Depth=3
	s_or_b32 exec_lo, exec_lo, s77
	v_cmp_class_f64_e64 s78, v[9:10], 0x1f8
	s_and_saveexec_b32 s77, s78
.LBB51_46:                              ;   in Loop: Header=BB51_14 Depth=3
	v_cmp_lt_f64_e32 vcc_lo, v[15:16], v[9:10]
	v_cndmask_b32_e32 v16, v16, v10, vcc_lo
	v_cndmask_b32_e32 v15, v15, v9, vcc_lo
.LBB51_47:                              ;   in Loop: Header=BB51_14 Depth=3
	s_or_b32 exec_lo, exec_lo, s77
.LBB51_48:                              ;   in Loop: Header=BB51_14 Depth=3
                                        ; implicit-def: $vgpr5_vgpr6
.LBB51_49:                              ;   in Loop: Header=BB51_14 Depth=3
	s_andn2_saveexec_b32 s76, s76
	s_cbranch_execz .LBB51_64
; %bb.50:                               ;   in Loop: Header=BB51_14 Depth=3
	s_mov_b32 s77, exec_lo
	v_cmpx_lt_i32_e64 v30, v52
	s_cbranch_execz .LBB51_63
; %bb.51:                               ;   in Loop: Header=BB51_14 Depth=3
	v_mov_b32_e32 v11, v30
	s_mov_b32 s78, 0
                                        ; implicit-def: $sgpr79
                                        ; implicit-def: $sgpr81
                                        ; implicit-def: $sgpr80
	s_inst_prefetch 0x1
	s_branch .LBB51_53
	.p2align	6
.LBB51_52:                              ;   in Loop: Header=BB51_53 Depth=4
	s_or_b32 exec_lo, exec_lo, s82
	s_and_b32 s82, exec_lo, s81
	s_or_b32 s78, s82, s78
	s_andn2_b32 s79, s79, exec_lo
	s_and_b32 s82, s80, exec_lo
	s_or_b32 s79, s79, s82
	s_andn2_b32 exec_lo, exec_lo, s78
	s_cbranch_execz .LBB51_55
.LBB51_53:                              ;   Parent Loop BB51_5 Depth=1
                                        ;     Parent Loop BB51_9 Depth=2
                                        ;       Parent Loop BB51_14 Depth=3
                                        ; =>      This Inner Loop Header: Depth=4
	v_add_nc_u32_e32 v9, v29, v11
	s_or_b32 s80, s80, exec_lo
	s_or_b32 s81, s81, exec_lo
	s_mov_b32 s82, exec_lo
	v_ashrrev_i32_e32 v10, 31, v9
	v_lshlrev_b64 v[31:32], 2, v[9:10]
	v_add_co_u32 v31, vcc_lo, s20, v31
	v_add_co_ci_u32_e64 v32, null, s21, v32, vcc_lo
	global_load_dword v12, v[31:32], off
	s_waitcnt vmcnt(0)
	v_subrev_nc_u32_e32 v12, s65, v12
	v_cmpx_ne_u32_e64 v12, v19
	s_cbranch_execz .LBB51_52
; %bb.54:                               ;   in Loop: Header=BB51_53 Depth=4
	v_add_nc_u32_e32 v11, 1, v11
	s_andn2_b32 s81, s81, exec_lo
	s_andn2_b32 s80, s80, exec_lo
	v_cmp_ge_i32_e32 vcc_lo, v11, v52
	s_and_b32 s83, vcc_lo, exec_lo
	s_or_b32 s81, s81, s83
	s_branch .LBB51_52
.LBB51_55:                              ;   in Loop: Header=BB51_14 Depth=3
	s_inst_prefetch 0x2
	s_or_b32 exec_lo, exec_lo, s78
	s_and_saveexec_b32 s78, s79
	s_xor_b32 s78, exec_lo, s78
	s_cbranch_execz .LBB51_62
; %bb.56:                               ;   in Loop: Header=BB51_14 Depth=3
	v_lshlrev_b64 v[9:10], 4, v[9:10]
	v_add_co_u32 v11, vcc_lo, s34, v9
	v_add_co_ci_u32_e64 v12, null, s35, v10, vcc_lo
	s_andn2_b32 vcc_lo, exec_lo, s58
	global_store_dwordx4 v[11:12], v[5:8], off
	s_cbranch_vccnz .LBB51_62
; %bb.57:                               ;   in Loop: Header=BB51_14 Depth=3
	v_add_co_u32 v9, vcc_lo, s22, v9
	v_add_co_ci_u32_e64 v10, null, s23, v10, vcc_lo
	s_mov_b32 s79, exec_lo
	global_load_dwordx4 v[9:12], v[9:10], off
	s_waitcnt vmcnt(0)
	v_add_f64 v[5:6], v[9:10], -v[5:6]
	v_add_f64 v[11:12], v[11:12], -v[7:8]
                                        ; implicit-def: $vgpr9_vgpr10
	v_cmp_gt_f64_e32 vcc_lo, 0, v[5:6]
	v_xor_b32_e32 v7, 0x80000000, v6
	v_xor_b32_e32 v8, 0x80000000, v12
	v_cndmask_b32_e32 v6, v6, v7, vcc_lo
	v_cmp_gt_f64_e32 vcc_lo, 0, v[11:12]
	v_mov_b32_e32 v7, v11
	v_cndmask_b32_e32 v8, v12, v8, vcc_lo
	v_cmpx_ngt_f64_e32 v[5:6], v[7:8]
	s_xor_b32 s79, exec_lo, s79
	s_cbranch_execnz .LBB51_117
; %bb.58:                               ;   in Loop: Header=BB51_14 Depth=3
	s_andn2_saveexec_b32 s79, s79
	s_cbranch_execnz .LBB51_120
.LBB51_59:                              ;   in Loop: Header=BB51_14 Depth=3
	s_or_b32 exec_lo, exec_lo, s79
	v_cmp_class_f64_e64 s80, v[9:10], 0x1f8
	s_and_saveexec_b32 s79, s80
.LBB51_60:                              ;   in Loop: Header=BB51_14 Depth=3
	v_cmp_lt_f64_e32 vcc_lo, v[15:16], v[9:10]
	v_cndmask_b32_e32 v16, v16, v10, vcc_lo
	v_cndmask_b32_e32 v15, v15, v9, vcc_lo
.LBB51_61:                              ;   in Loop: Header=BB51_14 Depth=3
	s_or_b32 exec_lo, exec_lo, s79
.LBB51_62:                              ;   in Loop: Header=BB51_14 Depth=3
	s_or_b32 exec_lo, exec_lo, s78
.LBB51_63:                              ;   in Loop: Header=BB51_14 Depth=3
	s_or_b32 exec_lo, exec_lo, s77
.LBB51_64:                              ;   in Loop: Header=BB51_14 Depth=3
	s_or_b32 exec_lo, exec_lo, s76
                                        ; implicit-def: $vgpr5_vgpr6
.LBB51_65:                              ;   in Loop: Header=BB51_14 Depth=3
	s_andn2_saveexec_b32 s12, s12
	s_cbranch_execz .LBB51_80
; %bb.66:                               ;   in Loop: Header=BB51_14 Depth=3
	s_mov_b32 s76, exec_lo
	v_cmpx_lt_i32_e64 v17, v47
	s_cbranch_execz .LBB51_79
; %bb.67:                               ;   in Loop: Header=BB51_14 Depth=3
	v_mov_b32_e32 v11, v17
	s_mov_b32 s77, 0
                                        ; implicit-def: $sgpr78
                                        ; implicit-def: $sgpr80
                                        ; implicit-def: $sgpr79
	s_inst_prefetch 0x1
	s_branch .LBB51_69
	.p2align	6
.LBB51_68:                              ;   in Loop: Header=BB51_69 Depth=4
	s_or_b32 exec_lo, exec_lo, s81
	s_and_b32 s81, exec_lo, s80
	s_or_b32 s77, s81, s77
	s_andn2_b32 s78, s78, exec_lo
	s_and_b32 s81, s79, exec_lo
	s_or_b32 s78, s78, s81
	s_andn2_b32 exec_lo, exec_lo, s77
	s_cbranch_execz .LBB51_71
.LBB51_69:                              ;   Parent Loop BB51_5 Depth=1
                                        ;     Parent Loop BB51_9 Depth=2
                                        ;       Parent Loop BB51_14 Depth=3
                                        ; =>      This Inner Loop Header: Depth=4
	v_add_nc_u32_e32 v9, v22, v11
	s_or_b32 s79, s79, exec_lo
	s_or_b32 s80, s80, exec_lo
	s_mov_b32 s81, exec_lo
	v_ashrrev_i32_e32 v10, 31, v9
	v_lshlrev_b64 v[31:32], 2, v[9:10]
	v_add_co_u32 v31, vcc_lo, s28, v31
	v_add_co_ci_u32_e64 v32, null, s29, v32, vcc_lo
	global_load_dword v12, v[31:32], off
	s_waitcnt vmcnt(0)
	v_subrev_nc_u32_e32 v12, s64, v12
	v_cmpx_ne_u32_e64 v12, v23
	s_cbranch_execz .LBB51_68
; %bb.70:                               ;   in Loop: Header=BB51_69 Depth=4
	v_add_nc_u32_e32 v11, 1, v11
	s_andn2_b32 s80, s80, exec_lo
	s_andn2_b32 s79, s79, exec_lo
	v_cmp_ge_i32_e32 vcc_lo, v11, v47
	s_and_b32 s82, vcc_lo, exec_lo
	s_or_b32 s80, s80, s82
	s_branch .LBB51_68
.LBB51_71:                              ;   in Loop: Header=BB51_14 Depth=3
	s_inst_prefetch 0x2
	s_or_b32 exec_lo, exec_lo, s77
	s_and_saveexec_b32 s77, s78
	s_xor_b32 s77, exec_lo, s77
	s_cbranch_execz .LBB51_78
; %bb.72:                               ;   in Loop: Header=BB51_14 Depth=3
	v_lshlrev_b64 v[9:10], 4, v[9:10]
	v_add_co_u32 v11, vcc_lo, s14, v9
	v_add_co_ci_u32_e64 v12, null, s15, v10, vcc_lo
	s_andn2_b32 vcc_lo, exec_lo, s58
	global_store_dwordx4 v[11:12], v[5:8], off
	s_cbranch_vccnz .LBB51_78
; %bb.73:                               ;   in Loop: Header=BB51_14 Depth=3
	v_add_co_u32 v9, vcc_lo, s30, v9
	v_add_co_ci_u32_e64 v10, null, s31, v10, vcc_lo
	s_mov_b32 s78, exec_lo
	global_load_dwordx4 v[9:12], v[9:10], off
	s_waitcnt vmcnt(0)
	v_add_f64 v[5:6], v[9:10], -v[5:6]
	v_add_f64 v[11:12], v[11:12], -v[7:8]
                                        ; implicit-def: $vgpr9_vgpr10
	v_cmp_gt_f64_e32 vcc_lo, 0, v[5:6]
	v_xor_b32_e32 v7, 0x80000000, v6
	v_xor_b32_e32 v8, 0x80000000, v12
	v_cndmask_b32_e32 v6, v6, v7, vcc_lo
	v_cmp_gt_f64_e32 vcc_lo, 0, v[11:12]
	v_mov_b32_e32 v7, v11
	v_cndmask_b32_e32 v8, v12, v8, vcc_lo
	v_cmpx_ngt_f64_e32 v[5:6], v[7:8]
	s_xor_b32 s78, exec_lo, s78
	s_cbranch_execnz .LBB51_113
; %bb.74:                               ;   in Loop: Header=BB51_14 Depth=3
	s_andn2_saveexec_b32 s78, s78
	s_cbranch_execnz .LBB51_116
.LBB51_75:                              ;   in Loop: Header=BB51_14 Depth=3
	s_or_b32 exec_lo, exec_lo, s78
	v_cmp_class_f64_e64 s79, v[9:10], 0x1f8
	s_and_saveexec_b32 s78, s79
.LBB51_76:                              ;   in Loop: Header=BB51_14 Depth=3
	v_cmp_lt_f64_e32 vcc_lo, v[15:16], v[9:10]
	v_cndmask_b32_e32 v16, v16, v10, vcc_lo
	v_cndmask_b32_e32 v15, v15, v9, vcc_lo
.LBB51_77:                              ;   in Loop: Header=BB51_14 Depth=3
	s_or_b32 exec_lo, exec_lo, s78
.LBB51_78:                              ;   in Loop: Header=BB51_14 Depth=3
	s_or_b32 exec_lo, exec_lo, s77
.LBB51_79:                              ;   in Loop: Header=BB51_14 Depth=3
	s_or_b32 exec_lo, exec_lo, s76
.LBB51_80:                              ;   in Loop: Header=BB51_14 Depth=3
	s_or_b32 exec_lo, exec_lo, s12
	s_or_b32 exec_lo, exec_lo, s75
	s_and_b32 s74, s33, s74
	s_and_saveexec_b32 s12, s74
	s_cbranch_execz .LBB51_13
.LBB51_81:                              ;   in Loop: Header=BB51_14 Depth=3
	s_mov_b32 s74, exec_lo
	v_cmpx_ge_i32_e64 v30, v52
	s_xor_b32 s74, exec_lo, s74
	s_cbranch_execnz .LBB51_88
; %bb.82:                               ;   in Loop: Header=BB51_14 Depth=3
	s_andn2_saveexec_b32 s74, s74
	s_cbranch_execnz .LBB51_102
.LBB51_83:                              ;   in Loop: Header=BB51_14 Depth=3
	s_or_b32 exec_lo, exec_lo, s74
	s_mov_b32 s74, exec_lo
	v_cmpx_eq_u32_e64 v19, v23
	s_cbranch_execz .LBB51_85
.LBB51_84:                              ;   in Loop: Header=BB51_14 Depth=3
	v_lshlrev_b64 v[5:6], 4, v[23:24]
	v_add_co_u32 v5, vcc_lo, s52, v5
	v_add_co_ci_u32_e64 v6, null, s53, v6, vcc_lo
	global_load_dwordx4 v[5:8], v[5:6], off
	s_waitcnt vmcnt(0)
	v_add_f64 v[25:26], v[25:26], v[5:6]
	v_add_f64 v[27:28], v[27:28], v[7:8]
.LBB51_85:                              ;   in Loop: Header=BB51_14 Depth=3
	s_or_b32 exec_lo, exec_lo, s74
	v_add_f64 v[1:2], v[1:2], -v[25:26]
	v_add_f64 v[7:8], v[3:4], -v[27:28]
	s_mov_b32 s74, exec_lo
                                        ; implicit-def: $vgpr5_vgpr6
	v_cmp_gt_f64_e32 vcc_lo, 0, v[1:2]
	v_xor_b32_e32 v3, 0x80000000, v2
	v_xor_b32_e32 v4, 0x80000000, v8
	v_cndmask_b32_e32 v2, v2, v3, vcc_lo
	v_cmp_gt_f64_e32 vcc_lo, 0, v[7:8]
	v_mov_b32_e32 v3, v7
	v_cndmask_b32_e32 v4, v8, v4, vcc_lo
	v_cmpx_ngt_f64_e32 v[1:2], v[3:4]
	s_xor_b32 s74, exec_lo, s74
	s_cbranch_execnz .LBB51_93
; %bb.86:                               ;   in Loop: Header=BB51_14 Depth=3
	s_andn2_saveexec_b32 s74, s74
	s_cbranch_execnz .LBB51_96
.LBB51_87:                              ;   in Loop: Header=BB51_14 Depth=3
	s_or_b32 exec_lo, exec_lo, s74
	v_cmp_class_f64_e64 s75, v[5:6], 0x1f8
	s_and_saveexec_b32 s74, s75
	s_cbranch_execz .LBB51_12
	s_branch .LBB51_97
.LBB51_88:                              ;   in Loop: Header=BB51_14 Depth=3
	s_mov_b32 s75, exec_lo
	v_cmpx_lt_i32_e64 v17, v47
	s_cbranch_execz .LBB51_101
; %bb.89:                               ;   in Loop: Header=BB51_14 Depth=3
	s_mov_b32 s77, 0
                                        ; implicit-def: $sgpr76
                                        ; implicit-def: $sgpr79
                                        ; implicit-def: $sgpr78
	s_inst_prefetch 0x1
	s_branch .LBB51_91
	.p2align	6
.LBB51_90:                              ;   in Loop: Header=BB51_91 Depth=4
	s_or_b32 exec_lo, exec_lo, s80
	s_and_b32 s80, exec_lo, s79
	s_or_b32 s77, s80, s77
	s_andn2_b32 s76, s76, exec_lo
	s_and_b32 s80, s78, exec_lo
	s_or_b32 s76, s76, s80
	s_andn2_b32 exec_lo, exec_lo, s77
	s_cbranch_execz .LBB51_98
.LBB51_91:                              ;   Parent Loop BB51_5 Depth=1
                                        ;     Parent Loop BB51_9 Depth=2
                                        ;       Parent Loop BB51_14 Depth=3
                                        ; =>      This Inner Loop Header: Depth=4
	v_add_nc_u32_e32 v5, v22, v17
	s_or_b32 s78, s78, exec_lo
	s_or_b32 s79, s79, exec_lo
	s_mov_b32 s80, exec_lo
	v_ashrrev_i32_e32 v6, 31, v5
	v_lshlrev_b64 v[7:8], 2, v[5:6]
	v_add_co_u32 v7, vcc_lo, s28, v7
	v_add_co_ci_u32_e64 v8, null, s29, v8, vcc_lo
	global_load_dword v7, v[7:8], off
	s_waitcnt vmcnt(0)
	v_subrev_nc_u32_e32 v7, s64, v7
	v_cmpx_ne_u32_e64 v7, v23
	s_cbranch_execz .LBB51_90
; %bb.92:                               ;   in Loop: Header=BB51_91 Depth=4
	v_add_nc_u32_e32 v17, 1, v17
	s_andn2_b32 s79, s79, exec_lo
	s_andn2_b32 s78, s78, exec_lo
	v_cmp_ge_i32_e32 vcc_lo, v17, v47
	s_and_b32 s81, vcc_lo, exec_lo
	s_or_b32 s79, s79, s81
	s_branch .LBB51_90
.LBB51_93:                              ;   in Loop: Header=BB51_14 Depth=3
	v_mov_b32_e32 v5, 0
	v_mov_b32_e32 v6, 0
	s_mov_b32 s75, exec_lo
	v_cmpx_neq_f64_e32 0, v[7:8]
	s_cbranch_execz .LBB51_95
; %bb.94:                               ;   in Loop: Header=BB51_14 Depth=3
	v_div_scale_f64 v[5:6], null, v[3:4], v[3:4], v[1:2]
	v_div_scale_f64 v[11:12], vcc_lo, v[1:2], v[3:4], v[1:2]
	v_rcp_f64_e32 v[7:8], v[5:6]
	v_fma_f64 v[9:10], -v[5:6], v[7:8], 1.0
	v_fma_f64 v[7:8], v[7:8], v[9:10], v[7:8]
	v_fma_f64 v[9:10], -v[5:6], v[7:8], 1.0
	v_fma_f64 v[7:8], v[7:8], v[9:10], v[7:8]
	v_mul_f64 v[9:10], v[11:12], v[7:8]
	v_fma_f64 v[5:6], -v[5:6], v[9:10], v[11:12]
	v_div_fmas_f64 v[5:6], v[5:6], v[7:8], v[9:10]
	v_div_fixup_f64 v[1:2], v[5:6], v[3:4], v[1:2]
	v_fma_f64 v[1:2], v[1:2], v[1:2], 1.0
	v_cmp_gt_f64_e32 vcc_lo, 0x10000000, v[1:2]
	v_cndmask_b32_e64 v5, 0, 0x100, vcc_lo
	v_ldexp_f64 v[1:2], v[1:2], v5
	v_rsq_f64_e32 v[5:6], v[1:2]
	v_mul_f64 v[7:8], v[1:2], v[5:6]
	v_mul_f64 v[5:6], v[5:6], 0.5
	v_fma_f64 v[9:10], -v[5:6], v[7:8], 0.5
	v_fma_f64 v[7:8], v[7:8], v[9:10], v[7:8]
	v_fma_f64 v[5:6], v[5:6], v[9:10], v[5:6]
	v_fma_f64 v[9:10], -v[7:8], v[7:8], v[1:2]
	v_fma_f64 v[7:8], v[9:10], v[5:6], v[7:8]
	v_fma_f64 v[9:10], -v[7:8], v[7:8], v[1:2]
	v_fma_f64 v[5:6], v[9:10], v[5:6], v[7:8]
	v_cndmask_b32_e64 v7, 0, 0xffffff80, vcc_lo
	v_cmp_class_f64_e64 vcc_lo, v[1:2], 0x260
	v_ldexp_f64 v[5:6], v[5:6], v7
	v_cndmask_b32_e32 v2, v6, v2, vcc_lo
	v_cndmask_b32_e32 v1, v5, v1, vcc_lo
	v_mul_f64 v[5:6], v[3:4], v[1:2]
.LBB51_95:                              ;   in Loop: Header=BB51_14 Depth=3
	s_or_b32 exec_lo, exec_lo, s75
                                        ; implicit-def: $vgpr1_vgpr2
                                        ; implicit-def: $vgpr3_vgpr4
	s_andn2_saveexec_b32 s74, s74
	s_cbranch_execz .LBB51_87
.LBB51_96:                              ;   in Loop: Header=BB51_14 Depth=3
	v_div_scale_f64 v[5:6], null, v[1:2], v[1:2], v[3:4]
	v_div_scale_f64 v[11:12], vcc_lo, v[3:4], v[1:2], v[3:4]
	v_rcp_f64_e32 v[7:8], v[5:6]
	v_fma_f64 v[9:10], -v[5:6], v[7:8], 1.0
	v_fma_f64 v[7:8], v[7:8], v[9:10], v[7:8]
	v_fma_f64 v[9:10], -v[5:6], v[7:8], 1.0
	v_fma_f64 v[7:8], v[7:8], v[9:10], v[7:8]
	v_mul_f64 v[9:10], v[11:12], v[7:8]
	v_fma_f64 v[5:6], -v[5:6], v[9:10], v[11:12]
	v_div_fmas_f64 v[5:6], v[5:6], v[7:8], v[9:10]
	v_div_fixup_f64 v[3:4], v[5:6], v[1:2], v[3:4]
	v_fma_f64 v[3:4], v[3:4], v[3:4], 1.0
	v_cmp_gt_f64_e32 vcc_lo, 0x10000000, v[3:4]
	v_cndmask_b32_e64 v5, 0, 0x100, vcc_lo
	v_ldexp_f64 v[3:4], v[3:4], v5
	v_rsq_f64_e32 v[5:6], v[3:4]
	v_mul_f64 v[7:8], v[3:4], v[5:6]
	v_mul_f64 v[5:6], v[5:6], 0.5
	v_fma_f64 v[9:10], -v[5:6], v[7:8], 0.5
	v_fma_f64 v[7:8], v[7:8], v[9:10], v[7:8]
	v_fma_f64 v[5:6], v[5:6], v[9:10], v[5:6]
	v_fma_f64 v[9:10], -v[7:8], v[7:8], v[3:4]
	v_fma_f64 v[7:8], v[9:10], v[5:6], v[7:8]
	v_fma_f64 v[9:10], -v[7:8], v[7:8], v[3:4]
	v_fma_f64 v[5:6], v[9:10], v[5:6], v[7:8]
	v_cndmask_b32_e64 v7, 0, 0xffffff80, vcc_lo
	v_cmp_class_f64_e64 vcc_lo, v[3:4], 0x260
	v_ldexp_f64 v[5:6], v[5:6], v7
	v_cndmask_b32_e32 v4, v6, v4, vcc_lo
	v_cndmask_b32_e32 v3, v5, v3, vcc_lo
	v_mul_f64 v[5:6], v[1:2], v[3:4]
	s_or_b32 exec_lo, exec_lo, s74
	v_cmp_class_f64_e64 s75, v[5:6], 0x1f8
	s_and_saveexec_b32 s74, s75
	s_cbranch_execz .LBB51_12
.LBB51_97:                              ;   in Loop: Header=BB51_14 Depth=3
	v_cmp_lt_f64_e32 vcc_lo, v[13:14], v[5:6]
	v_cndmask_b32_e32 v14, v14, v6, vcc_lo
	v_cndmask_b32_e32 v13, v13, v5, vcc_lo
	s_branch .LBB51_12
.LBB51_98:                              ;   in Loop: Header=BB51_14 Depth=3
	s_inst_prefetch 0x2
	s_or_b32 exec_lo, exec_lo, s77
	s_and_saveexec_b32 s77, s76
	s_xor_b32 s76, exec_lo, s77
	s_cbranch_execz .LBB51_100
; %bb.99:                               ;   in Loop: Header=BB51_14 Depth=3
	v_lshlrev_b64 v[7:8], 4, v[23:24]
	v_lshlrev_b64 v[5:6], 4, v[5:6]
	v_add_co_u32 v7, vcc_lo, s52, v7
	v_add_co_ci_u32_e64 v8, null, s53, v8, vcc_lo
	v_add_co_u32 v9, vcc_lo, s30, v5
	v_add_co_ci_u32_e64 v10, null, s31, v6, vcc_lo
	global_load_dwordx4 v[5:8], v[7:8], off
	global_load_dwordx4 v[9:12], v[9:10], off
	s_waitcnt vmcnt(0)
	v_mul_f64 v[29:30], v[7:8], -v[11:12]
	v_mul_f64 v[7:8], v[7:8], v[9:10]
	v_fma_f64 v[9:10], v[9:10], v[5:6], v[29:30]
	v_fma_f64 v[5:6], v[11:12], v[5:6], v[7:8]
	v_add_f64 v[25:26], v[25:26], v[9:10]
	v_add_f64 v[27:28], v[27:28], v[5:6]
.LBB51_100:                             ;   in Loop: Header=BB51_14 Depth=3
	s_or_b32 exec_lo, exec_lo, s76
.LBB51_101:                             ;   in Loop: Header=BB51_14 Depth=3
	s_or_b32 exec_lo, exec_lo, s75
                                        ; implicit-def: $vgpr30
                                        ; implicit-def: $vgpr29
                                        ; implicit-def: $vgpr52
	s_andn2_saveexec_b32 s74, s74
	s_cbranch_execz .LBB51_83
.LBB51_102:                             ;   in Loop: Header=BB51_14 Depth=3
	s_mov_b32 s76, 0
                                        ; implicit-def: $sgpr75
                                        ; implicit-def: $sgpr78
                                        ; implicit-def: $sgpr77
	s_inst_prefetch 0x1
	s_branch .LBB51_104
	.p2align	6
.LBB51_103:                             ;   in Loop: Header=BB51_104 Depth=4
	s_or_b32 exec_lo, exec_lo, s79
	s_and_b32 s79, exec_lo, s78
	s_or_b32 s76, s79, s76
	s_andn2_b32 s75, s75, exec_lo
	s_and_b32 s79, s77, exec_lo
	s_or_b32 s75, s75, s79
	s_andn2_b32 exec_lo, exec_lo, s76
	s_cbranch_execz .LBB51_106
.LBB51_104:                             ;   Parent Loop BB51_5 Depth=1
                                        ;     Parent Loop BB51_9 Depth=2
                                        ;       Parent Loop BB51_14 Depth=3
                                        ; =>      This Inner Loop Header: Depth=4
	v_add_nc_u32_e32 v5, v29, v30
	s_or_b32 s77, s77, exec_lo
	s_or_b32 s78, s78, exec_lo
	s_mov_b32 s79, exec_lo
	v_ashrrev_i32_e32 v6, 31, v5
	v_lshlrev_b64 v[7:8], 2, v[5:6]
	v_add_co_u32 v7, vcc_lo, s20, v7
	v_add_co_ci_u32_e64 v8, null, s21, v8, vcc_lo
	global_load_dword v7, v[7:8], off
	s_waitcnt vmcnt(0)
	v_subrev_nc_u32_e32 v7, s65, v7
	v_cmpx_ne_u32_e64 v7, v19
	s_cbranch_execz .LBB51_103
; %bb.105:                              ;   in Loop: Header=BB51_104 Depth=4
	v_add_nc_u32_e32 v30, 1, v30
	s_andn2_b32 s78, s78, exec_lo
	s_andn2_b32 s77, s77, exec_lo
	v_cmp_ge_i32_e32 vcc_lo, v30, v52
	s_and_b32 s80, vcc_lo, exec_lo
	s_or_b32 s78, s78, s80
	s_branch .LBB51_103
.LBB51_106:                             ;   in Loop: Header=BB51_14 Depth=3
	s_inst_prefetch 0x2
	s_or_b32 exec_lo, exec_lo, s76
	s_and_saveexec_b32 s76, s75
	s_xor_b32 s75, exec_lo, s76
	s_cbranch_execz .LBB51_108
; %bb.107:                              ;   in Loop: Header=BB51_14 Depth=3
	v_lshlrev_b64 v[5:6], 4, v[5:6]
	v_add_co_u32 v5, vcc_lo, s22, v5
	v_add_co_ci_u32_e64 v6, null, s23, v6, vcc_lo
	global_load_dwordx4 v[5:8], v[5:6], off
	s_waitcnt vmcnt(0)
	v_add_f64 v[25:26], v[25:26], v[5:6]
	v_add_f64 v[27:28], v[27:28], v[7:8]
.LBB51_108:                             ;   in Loop: Header=BB51_14 Depth=3
	s_or_b32 exec_lo, exec_lo, s75
	s_or_b32 exec_lo, exec_lo, s74
	s_mov_b32 s74, exec_lo
	v_cmpx_eq_u32_e64 v19, v23
	s_cbranch_execnz .LBB51_84
	s_branch .LBB51_85
.LBB51_109:                             ;   in Loop: Header=BB51_14 Depth=3
	v_mov_b32_e32 v9, 0
	v_mov_b32_e32 v10, 0
	s_mov_b32 s78, exec_lo
	v_cmpx_neq_f64_e32 0, v[11:12]
	s_cbranch_execz .LBB51_111
; %bb.110:                              ;   in Loop: Header=BB51_14 Depth=3
	v_div_scale_f64 v[9:10], null, v[7:8], v[7:8], v[5:6]
	v_div_scale_f64 v[33:34], vcc_lo, v[5:6], v[7:8], v[5:6]
	v_rcp_f64_e32 v[11:12], v[9:10]
	v_fma_f64 v[31:32], -v[9:10], v[11:12], 1.0
	v_fma_f64 v[11:12], v[11:12], v[31:32], v[11:12]
	v_fma_f64 v[31:32], -v[9:10], v[11:12], 1.0
	v_fma_f64 v[11:12], v[11:12], v[31:32], v[11:12]
	v_mul_f64 v[31:32], v[33:34], v[11:12]
	v_fma_f64 v[9:10], -v[9:10], v[31:32], v[33:34]
	v_div_fmas_f64 v[9:10], v[9:10], v[11:12], v[31:32]
	v_div_fixup_f64 v[5:6], v[9:10], v[7:8], v[5:6]
	v_fma_f64 v[5:6], v[5:6], v[5:6], 1.0
	v_cmp_gt_f64_e32 vcc_lo, 0x10000000, v[5:6]
	v_cndmask_b32_e64 v9, 0, 0x100, vcc_lo
	v_ldexp_f64 v[5:6], v[5:6], v9
	v_rsq_f64_e32 v[9:10], v[5:6]
	v_mul_f64 v[11:12], v[5:6], v[9:10]
	v_mul_f64 v[9:10], v[9:10], 0.5
	v_fma_f64 v[31:32], -v[9:10], v[11:12], 0.5
	v_fma_f64 v[11:12], v[11:12], v[31:32], v[11:12]
	v_fma_f64 v[9:10], v[9:10], v[31:32], v[9:10]
	v_fma_f64 v[31:32], -v[11:12], v[11:12], v[5:6]
	v_fma_f64 v[11:12], v[31:32], v[9:10], v[11:12]
	v_fma_f64 v[31:32], -v[11:12], v[11:12], v[5:6]
	v_fma_f64 v[9:10], v[31:32], v[9:10], v[11:12]
	v_cndmask_b32_e64 v11, 0, 0xffffff80, vcc_lo
	v_cmp_class_f64_e64 vcc_lo, v[5:6], 0x260
	v_ldexp_f64 v[9:10], v[9:10], v11
	v_cndmask_b32_e32 v6, v10, v6, vcc_lo
	v_cndmask_b32_e32 v5, v9, v5, vcc_lo
	v_mul_f64 v[9:10], v[7:8], v[5:6]
.LBB51_111:                             ;   in Loop: Header=BB51_14 Depth=3
	s_or_b32 exec_lo, exec_lo, s78
                                        ; implicit-def: $vgpr5_vgpr6
                                        ; implicit-def: $vgpr7_vgpr8
	s_andn2_saveexec_b32 s77, s77
	s_cbranch_execz .LBB51_45
.LBB51_112:                             ;   in Loop: Header=BB51_14 Depth=3
	v_div_scale_f64 v[9:10], null, v[5:6], v[5:6], v[7:8]
	v_div_scale_f64 v[33:34], vcc_lo, v[7:8], v[5:6], v[7:8]
	v_rcp_f64_e32 v[11:12], v[9:10]
	v_fma_f64 v[31:32], -v[9:10], v[11:12], 1.0
	v_fma_f64 v[11:12], v[11:12], v[31:32], v[11:12]
	v_fma_f64 v[31:32], -v[9:10], v[11:12], 1.0
	v_fma_f64 v[11:12], v[11:12], v[31:32], v[11:12]
	v_mul_f64 v[31:32], v[33:34], v[11:12]
	v_fma_f64 v[9:10], -v[9:10], v[31:32], v[33:34]
	v_div_fmas_f64 v[9:10], v[9:10], v[11:12], v[31:32]
	v_div_fixup_f64 v[7:8], v[9:10], v[5:6], v[7:8]
	v_fma_f64 v[7:8], v[7:8], v[7:8], 1.0
	v_cmp_gt_f64_e32 vcc_lo, 0x10000000, v[7:8]
	v_cndmask_b32_e64 v9, 0, 0x100, vcc_lo
	v_ldexp_f64 v[7:8], v[7:8], v9
	v_rsq_f64_e32 v[9:10], v[7:8]
	v_mul_f64 v[11:12], v[7:8], v[9:10]
	v_mul_f64 v[9:10], v[9:10], 0.5
	v_fma_f64 v[31:32], -v[9:10], v[11:12], 0.5
	v_fma_f64 v[11:12], v[11:12], v[31:32], v[11:12]
	v_fma_f64 v[9:10], v[9:10], v[31:32], v[9:10]
	v_fma_f64 v[31:32], -v[11:12], v[11:12], v[7:8]
	v_fma_f64 v[11:12], v[31:32], v[9:10], v[11:12]
	v_fma_f64 v[31:32], -v[11:12], v[11:12], v[7:8]
	v_fma_f64 v[9:10], v[31:32], v[9:10], v[11:12]
	v_cndmask_b32_e64 v11, 0, 0xffffff80, vcc_lo
	v_cmp_class_f64_e64 vcc_lo, v[7:8], 0x260
	v_ldexp_f64 v[9:10], v[9:10], v11
	v_cndmask_b32_e32 v8, v10, v8, vcc_lo
	v_cndmask_b32_e32 v7, v9, v7, vcc_lo
	v_mul_f64 v[9:10], v[5:6], v[7:8]
	s_or_b32 exec_lo, exec_lo, s77
	v_cmp_class_f64_e64 s78, v[9:10], 0x1f8
	s_and_saveexec_b32 s77, s78
	s_cbranch_execnz .LBB51_46
	s_branch .LBB51_47
.LBB51_113:                             ;   in Loop: Header=BB51_14 Depth=3
	v_mov_b32_e32 v9, 0
	v_mov_b32_e32 v10, 0
	s_mov_b32 s79, exec_lo
	v_cmpx_neq_f64_e32 0, v[11:12]
	s_cbranch_execz .LBB51_115
; %bb.114:                              ;   in Loop: Header=BB51_14 Depth=3
	v_div_scale_f64 v[9:10], null, v[7:8], v[7:8], v[5:6]
	v_div_scale_f64 v[33:34], vcc_lo, v[5:6], v[7:8], v[5:6]
	v_rcp_f64_e32 v[11:12], v[9:10]
	v_fma_f64 v[31:32], -v[9:10], v[11:12], 1.0
	v_fma_f64 v[11:12], v[11:12], v[31:32], v[11:12]
	v_fma_f64 v[31:32], -v[9:10], v[11:12], 1.0
	v_fma_f64 v[11:12], v[11:12], v[31:32], v[11:12]
	v_mul_f64 v[31:32], v[33:34], v[11:12]
	v_fma_f64 v[9:10], -v[9:10], v[31:32], v[33:34]
	v_div_fmas_f64 v[9:10], v[9:10], v[11:12], v[31:32]
	v_div_fixup_f64 v[5:6], v[9:10], v[7:8], v[5:6]
	v_fma_f64 v[5:6], v[5:6], v[5:6], 1.0
	v_cmp_gt_f64_e32 vcc_lo, 0x10000000, v[5:6]
	v_cndmask_b32_e64 v9, 0, 0x100, vcc_lo
	v_ldexp_f64 v[5:6], v[5:6], v9
	v_rsq_f64_e32 v[9:10], v[5:6]
	v_mul_f64 v[11:12], v[5:6], v[9:10]
	v_mul_f64 v[9:10], v[9:10], 0.5
	v_fma_f64 v[31:32], -v[9:10], v[11:12], 0.5
	v_fma_f64 v[11:12], v[11:12], v[31:32], v[11:12]
	v_fma_f64 v[9:10], v[9:10], v[31:32], v[9:10]
	v_fma_f64 v[31:32], -v[11:12], v[11:12], v[5:6]
	v_fma_f64 v[11:12], v[31:32], v[9:10], v[11:12]
	v_fma_f64 v[31:32], -v[11:12], v[11:12], v[5:6]
	v_fma_f64 v[9:10], v[31:32], v[9:10], v[11:12]
	v_cndmask_b32_e64 v11, 0, 0xffffff80, vcc_lo
	v_cmp_class_f64_e64 vcc_lo, v[5:6], 0x260
	v_ldexp_f64 v[9:10], v[9:10], v11
	v_cndmask_b32_e32 v6, v10, v6, vcc_lo
	v_cndmask_b32_e32 v5, v9, v5, vcc_lo
	v_mul_f64 v[9:10], v[7:8], v[5:6]
.LBB51_115:                             ;   in Loop: Header=BB51_14 Depth=3
	s_or_b32 exec_lo, exec_lo, s79
                                        ; implicit-def: $vgpr5_vgpr6
                                        ; implicit-def: $vgpr7_vgpr8
	s_andn2_saveexec_b32 s78, s78
	s_cbranch_execz .LBB51_75
.LBB51_116:                             ;   in Loop: Header=BB51_14 Depth=3
	v_div_scale_f64 v[9:10], null, v[5:6], v[5:6], v[7:8]
	v_div_scale_f64 v[33:34], vcc_lo, v[7:8], v[5:6], v[7:8]
	v_rcp_f64_e32 v[11:12], v[9:10]
	v_fma_f64 v[31:32], -v[9:10], v[11:12], 1.0
	v_fma_f64 v[11:12], v[11:12], v[31:32], v[11:12]
	v_fma_f64 v[31:32], -v[9:10], v[11:12], 1.0
	v_fma_f64 v[11:12], v[11:12], v[31:32], v[11:12]
	v_mul_f64 v[31:32], v[33:34], v[11:12]
	v_fma_f64 v[9:10], -v[9:10], v[31:32], v[33:34]
	v_div_fmas_f64 v[9:10], v[9:10], v[11:12], v[31:32]
	v_div_fixup_f64 v[7:8], v[9:10], v[5:6], v[7:8]
	v_fma_f64 v[7:8], v[7:8], v[7:8], 1.0
	v_cmp_gt_f64_e32 vcc_lo, 0x10000000, v[7:8]
	v_cndmask_b32_e64 v9, 0, 0x100, vcc_lo
	v_ldexp_f64 v[7:8], v[7:8], v9
	v_rsq_f64_e32 v[9:10], v[7:8]
	v_mul_f64 v[11:12], v[7:8], v[9:10]
	v_mul_f64 v[9:10], v[9:10], 0.5
	v_fma_f64 v[31:32], -v[9:10], v[11:12], 0.5
	v_fma_f64 v[11:12], v[11:12], v[31:32], v[11:12]
	v_fma_f64 v[9:10], v[9:10], v[31:32], v[9:10]
	v_fma_f64 v[31:32], -v[11:12], v[11:12], v[7:8]
	v_fma_f64 v[11:12], v[31:32], v[9:10], v[11:12]
	v_fma_f64 v[31:32], -v[11:12], v[11:12], v[7:8]
	v_fma_f64 v[9:10], v[31:32], v[9:10], v[11:12]
	v_cndmask_b32_e64 v11, 0, 0xffffff80, vcc_lo
	v_cmp_class_f64_e64 vcc_lo, v[7:8], 0x260
	v_ldexp_f64 v[9:10], v[9:10], v11
	v_cndmask_b32_e32 v8, v10, v8, vcc_lo
	v_cndmask_b32_e32 v7, v9, v7, vcc_lo
	v_mul_f64 v[9:10], v[5:6], v[7:8]
	s_or_b32 exec_lo, exec_lo, s78
	v_cmp_class_f64_e64 s79, v[9:10], 0x1f8
	s_and_saveexec_b32 s78, s79
	s_cbranch_execnz .LBB51_76
	s_branch .LBB51_77
.LBB51_117:                             ;   in Loop: Header=BB51_14 Depth=3
	v_mov_b32_e32 v9, 0
	v_mov_b32_e32 v10, 0
	s_mov_b32 s80, exec_lo
	v_cmpx_neq_f64_e32 0, v[11:12]
	s_cbranch_execz .LBB51_119
; %bb.118:                              ;   in Loop: Header=BB51_14 Depth=3
	v_div_scale_f64 v[9:10], null, v[7:8], v[7:8], v[5:6]
	v_div_scale_f64 v[33:34], vcc_lo, v[5:6], v[7:8], v[5:6]
	v_rcp_f64_e32 v[11:12], v[9:10]
	v_fma_f64 v[31:32], -v[9:10], v[11:12], 1.0
	v_fma_f64 v[11:12], v[11:12], v[31:32], v[11:12]
	v_fma_f64 v[31:32], -v[9:10], v[11:12], 1.0
	v_fma_f64 v[11:12], v[11:12], v[31:32], v[11:12]
	v_mul_f64 v[31:32], v[33:34], v[11:12]
	v_fma_f64 v[9:10], -v[9:10], v[31:32], v[33:34]
	v_div_fmas_f64 v[9:10], v[9:10], v[11:12], v[31:32]
	v_div_fixup_f64 v[5:6], v[9:10], v[7:8], v[5:6]
	v_fma_f64 v[5:6], v[5:6], v[5:6], 1.0
	v_cmp_gt_f64_e32 vcc_lo, 0x10000000, v[5:6]
	v_cndmask_b32_e64 v9, 0, 0x100, vcc_lo
	v_ldexp_f64 v[5:6], v[5:6], v9
	v_rsq_f64_e32 v[9:10], v[5:6]
	v_mul_f64 v[11:12], v[5:6], v[9:10]
	v_mul_f64 v[9:10], v[9:10], 0.5
	v_fma_f64 v[31:32], -v[9:10], v[11:12], 0.5
	v_fma_f64 v[11:12], v[11:12], v[31:32], v[11:12]
	v_fma_f64 v[9:10], v[9:10], v[31:32], v[9:10]
	v_fma_f64 v[31:32], -v[11:12], v[11:12], v[5:6]
	v_fma_f64 v[11:12], v[31:32], v[9:10], v[11:12]
	v_fma_f64 v[31:32], -v[11:12], v[11:12], v[5:6]
	v_fma_f64 v[9:10], v[31:32], v[9:10], v[11:12]
	v_cndmask_b32_e64 v11, 0, 0xffffff80, vcc_lo
	v_cmp_class_f64_e64 vcc_lo, v[5:6], 0x260
	v_ldexp_f64 v[9:10], v[9:10], v11
	v_cndmask_b32_e32 v6, v10, v6, vcc_lo
	v_cndmask_b32_e32 v5, v9, v5, vcc_lo
	v_mul_f64 v[9:10], v[7:8], v[5:6]
.LBB51_119:                             ;   in Loop: Header=BB51_14 Depth=3
	s_or_b32 exec_lo, exec_lo, s80
                                        ; implicit-def: $vgpr5_vgpr6
                                        ; implicit-def: $vgpr7_vgpr8
	s_andn2_saveexec_b32 s79, s79
	s_cbranch_execz .LBB51_59
.LBB51_120:                             ;   in Loop: Header=BB51_14 Depth=3
	v_div_scale_f64 v[9:10], null, v[5:6], v[5:6], v[7:8]
	v_div_scale_f64 v[33:34], vcc_lo, v[7:8], v[5:6], v[7:8]
	v_rcp_f64_e32 v[11:12], v[9:10]
	v_fma_f64 v[31:32], -v[9:10], v[11:12], 1.0
	v_fma_f64 v[11:12], v[11:12], v[31:32], v[11:12]
	v_fma_f64 v[31:32], -v[9:10], v[11:12], 1.0
	v_fma_f64 v[11:12], v[11:12], v[31:32], v[11:12]
	v_mul_f64 v[31:32], v[33:34], v[11:12]
	v_fma_f64 v[9:10], -v[9:10], v[31:32], v[33:34]
	v_div_fmas_f64 v[9:10], v[9:10], v[11:12], v[31:32]
	v_div_fixup_f64 v[7:8], v[9:10], v[5:6], v[7:8]
	v_fma_f64 v[7:8], v[7:8], v[7:8], 1.0
	v_cmp_gt_f64_e32 vcc_lo, 0x10000000, v[7:8]
	v_cndmask_b32_e64 v9, 0, 0x100, vcc_lo
	v_ldexp_f64 v[7:8], v[7:8], v9
	v_rsq_f64_e32 v[9:10], v[7:8]
	v_mul_f64 v[11:12], v[7:8], v[9:10]
	v_mul_f64 v[9:10], v[9:10], 0.5
	v_fma_f64 v[31:32], -v[9:10], v[11:12], 0.5
	v_fma_f64 v[11:12], v[11:12], v[31:32], v[11:12]
	v_fma_f64 v[9:10], v[9:10], v[31:32], v[9:10]
	v_fma_f64 v[31:32], -v[11:12], v[11:12], v[7:8]
	v_fma_f64 v[11:12], v[31:32], v[9:10], v[11:12]
	v_fma_f64 v[31:32], -v[11:12], v[11:12], v[7:8]
	v_fma_f64 v[9:10], v[31:32], v[9:10], v[11:12]
	v_cndmask_b32_e64 v11, 0, 0xffffff80, vcc_lo
	v_cmp_class_f64_e64 vcc_lo, v[7:8], 0x260
	v_ldexp_f64 v[9:10], v[9:10], v11
	v_cndmask_b32_e32 v8, v10, v8, vcc_lo
	v_cndmask_b32_e32 v7, v9, v7, vcc_lo
	v_mul_f64 v[9:10], v[5:6], v[7:8]
	s_or_b32 exec_lo, exec_lo, s79
	v_cmp_class_f64_e64 s80, v[9:10], 0x1f8
	s_and_saveexec_b32 s79, s80
	s_cbranch_execnz .LBB51_60
	s_branch .LBB51_61
.LBB51_121:                             ;   in Loop: Header=BB51_5 Depth=1
	v_xor_b32_e32 v6, 2, v39
	v_xor_b32_e32 v5, 1, v39
	s_and_b32 vcc_lo, exec_lo, s58
	s_cbranch_vccnz .LBB51_124
; %bb.122:                              ;   in Loop: Header=BB51_5 Depth=1
	s_andn2_b32 vcc_lo, exec_lo, s33
	s_cbranch_vccz .LBB51_143
.LBB51_123:                             ;   in Loop: Header=BB51_5 Depth=1
	s_and_saveexec_b32 s12, s7
	s_cbranch_execnz .LBB51_162
	s_branch .LBB51_173
.LBB51_124:                             ;   in Loop: Header=BB51_5 Depth=1
	v_cmp_gt_i32_e32 vcc_lo, 32, v6
	v_cmp_gt_i32_e64 s11, 32, v5
	v_cndmask_b32_e32 v1, v39, v6, vcc_lo
	v_cndmask_b32_e64 v3, v39, v5, s11
	v_lshlrev_b32_e32 v2, 2, v1
	v_lshlrev_b32_e32 v4, 2, v3
	ds_bpermute_b32 v1, v2, v15
	ds_bpermute_b32 v2, v2, v16
	s_waitcnt lgkmcnt(0)
	v_cmp_lt_f64_e32 vcc_lo, v[15:16], v[1:2]
	v_cndmask_b32_e32 v2, v16, v2, vcc_lo
	v_cndmask_b32_e32 v1, v15, v1, vcc_lo
	ds_bpermute_b32 v7, v4, v2
	ds_bpermute_b32 v3, v4, v1
	s_and_saveexec_b32 s11, s0
	s_cbranch_execz .LBB51_126
; %bb.125:                              ;   in Loop: Header=BB51_5 Depth=1
	s_waitcnt lgkmcnt(1)
	v_mov_b32_e32 v4, v7
	s_waitcnt lgkmcnt(0)
	v_cmp_lt_f64_e32 vcc_lo, v[1:2], v[3:4]
	v_cndmask_b32_e32 v2, v2, v7, vcc_lo
	v_cndmask_b32_e32 v1, v1, v3, vcc_lo
	ds_write_b64 v42, v[1:2]
.LBB51_126:                             ;   in Loop: Header=BB51_5 Depth=1
	s_or_b32 exec_lo, exec_lo, s11
	s_waitcnt lgkmcnt(0)
	s_waitcnt_vscnt null, 0x0
	s_barrier
	buffer_gl0_inv
	s_and_saveexec_b32 s11, s1
	s_cbranch_execz .LBB51_128
; %bb.127:                              ;   in Loop: Header=BB51_5 Depth=1
	ds_read2st64_b64 v[1:4], v40 offset1:2
	s_waitcnt lgkmcnt(0)
	v_cmp_lt_f64_e32 vcc_lo, v[1:2], v[3:4]
	v_cndmask_b32_e32 v2, v2, v4, vcc_lo
	v_cndmask_b32_e32 v1, v1, v3, vcc_lo
	ds_write_b64 v40, v[1:2]
.LBB51_128:                             ;   in Loop: Header=BB51_5 Depth=1
	s_or_b32 exec_lo, exec_lo, s11
	s_waitcnt lgkmcnt(0)
	s_barrier
	buffer_gl0_inv
	s_and_saveexec_b32 s11, s2
	s_cbranch_execz .LBB51_130
; %bb.129:                              ;   in Loop: Header=BB51_5 Depth=1
	ds_read2st64_b64 v[1:4], v40 offset1:1
	s_waitcnt lgkmcnt(0)
	v_cmp_lt_f64_e32 vcc_lo, v[1:2], v[3:4]
	v_cndmask_b32_e32 v2, v2, v4, vcc_lo
	v_cndmask_b32_e32 v1, v1, v3, vcc_lo
	ds_write_b64 v40, v[1:2]
.LBB51_130:                             ;   in Loop: Header=BB51_5 Depth=1
	s_or_b32 exec_lo, exec_lo, s11
	s_waitcnt lgkmcnt(0)
	s_barrier
	buffer_gl0_inv
	s_and_saveexec_b32 s11, s3
	s_cbranch_execz .LBB51_132
; %bb.131:                              ;   in Loop: Header=BB51_5 Depth=1
	ds_read2_b64 v[1:4], v40 offset1:32
	s_waitcnt lgkmcnt(0)
	v_cmp_lt_f64_e32 vcc_lo, v[1:2], v[3:4]
	v_cndmask_b32_e32 v2, v2, v4, vcc_lo
	v_cndmask_b32_e32 v1, v1, v3, vcc_lo
	ds_write_b64 v40, v[1:2]
.LBB51_132:                             ;   in Loop: Header=BB51_5 Depth=1
	s_or_b32 exec_lo, exec_lo, s11
	s_waitcnt lgkmcnt(0)
	s_barrier
	buffer_gl0_inv
	s_and_saveexec_b32 s11, s4
	s_cbranch_execz .LBB51_134
; %bb.133:                              ;   in Loop: Header=BB51_5 Depth=1
	ds_read2_b64 v[1:4], v40 offset1:16
	s_waitcnt lgkmcnt(0)
	v_cmp_lt_f64_e32 vcc_lo, v[1:2], v[3:4]
	v_cndmask_b32_e32 v2, v2, v4, vcc_lo
	v_cndmask_b32_e32 v1, v1, v3, vcc_lo
	ds_write_b64 v40, v[1:2]
.LBB51_134:                             ;   in Loop: Header=BB51_5 Depth=1
	;; [unrolled: 14-line block ×5, first 2 shown]
	s_or_b32 exec_lo, exec_lo, s11
	s_waitcnt lgkmcnt(0)
	s_barrier
	buffer_gl0_inv
	s_and_saveexec_b32 s11, s9
	s_cbranch_execz .LBB51_142
; %bb.141:                              ;   in Loop: Header=BB51_5 Depth=1
	ds_read_b128 v[1:4], v18
	s_waitcnt lgkmcnt(0)
	v_cmp_lt_f64_e32 vcc_lo, v[1:2], v[3:4]
	v_cndmask_b32_e32 v2, v2, v4, vcc_lo
	v_cndmask_b32_e32 v1, v1, v3, vcc_lo
	ds_write_b64 v18, v[1:2]
.LBB51_142:                             ;   in Loop: Header=BB51_5 Depth=1
	s_or_b32 exec_lo, exec_lo, s11
	s_waitcnt lgkmcnt(0)
	s_barrier
	buffer_gl0_inv
	ds_read_b64 v[1:2], v18
	s_load_dwordx2 s[70:71], s[56:57], 0x0
	s_waitcnt lgkmcnt(0)
	v_div_scale_f64 v[3:4], null, s[70:71], s[70:71], v[1:2]
	v_rcp_f64_e32 v[7:8], v[3:4]
	v_fma_f64 v[9:10], -v[3:4], v[7:8], 1.0
	v_fma_f64 v[7:8], v[7:8], v[9:10], v[7:8]
	v_fma_f64 v[9:10], -v[3:4], v[7:8], 1.0
	v_fma_f64 v[7:8], v[7:8], v[9:10], v[7:8]
	v_div_scale_f64 v[9:10], vcc_lo, v[1:2], s[70:71], v[1:2]
	v_mul_f64 v[11:12], v[9:10], v[7:8]
	v_fma_f64 v[3:4], -v[3:4], v[11:12], v[9:10]
	v_div_fmas_f64 v[3:4], v[3:4], v[7:8], v[11:12]
	v_div_fixup_f64 v[15:16], v[3:4], s[70:71], v[1:2]
	s_andn2_b32 vcc_lo, exec_lo, s33
	s_cbranch_vccnz .LBB51_123
.LBB51_143:                             ;   in Loop: Header=BB51_5 Depth=1
	v_cmp_gt_i32_e32 vcc_lo, 32, v6
	v_cmp_gt_i32_e64 s11, 32, v5
	v_cndmask_b32_e32 v1, v39, v6, vcc_lo
	v_cndmask_b32_e64 v3, v39, v5, s11
	v_lshlrev_b32_e32 v2, 2, v1
	v_lshlrev_b32_e32 v4, 2, v3
	ds_bpermute_b32 v1, v2, v13
	ds_bpermute_b32 v2, v2, v14
	s_waitcnt lgkmcnt(0)
	v_cmp_lt_f64_e32 vcc_lo, v[13:14], v[1:2]
	v_cndmask_b32_e32 v2, v14, v2, vcc_lo
	v_cndmask_b32_e32 v1, v13, v1, vcc_lo
	ds_bpermute_b32 v5, v4, v2
	ds_bpermute_b32 v3, v4, v1
	s_and_saveexec_b32 s11, s0
	s_cbranch_execz .LBB51_145
; %bb.144:                              ;   in Loop: Header=BB51_5 Depth=1
	s_waitcnt lgkmcnt(1)
	v_mov_b32_e32 v4, v5
	s_waitcnt lgkmcnt(0)
	v_cmp_lt_f64_e32 vcc_lo, v[1:2], v[3:4]
	v_cndmask_b32_e32 v2, v2, v5, vcc_lo
	v_cndmask_b32_e32 v1, v1, v3, vcc_lo
	ds_write_b64 v42, v[1:2]
.LBB51_145:                             ;   in Loop: Header=BB51_5 Depth=1
	s_or_b32 exec_lo, exec_lo, s11
	s_waitcnt lgkmcnt(0)
	s_waitcnt_vscnt null, 0x0
	s_barrier
	buffer_gl0_inv
	s_and_saveexec_b32 s11, s1
	s_cbranch_execz .LBB51_147
; %bb.146:                              ;   in Loop: Header=BB51_5 Depth=1
	ds_read2st64_b64 v[1:4], v40 offset1:2
	s_waitcnt lgkmcnt(0)
	v_cmp_lt_f64_e32 vcc_lo, v[1:2], v[3:4]
	v_cndmask_b32_e32 v2, v2, v4, vcc_lo
	v_cndmask_b32_e32 v1, v1, v3, vcc_lo
	ds_write_b64 v40, v[1:2]
.LBB51_147:                             ;   in Loop: Header=BB51_5 Depth=1
	s_or_b32 exec_lo, exec_lo, s11
	s_waitcnt lgkmcnt(0)
	s_barrier
	buffer_gl0_inv
	s_and_saveexec_b32 s11, s2
	s_cbranch_execz .LBB51_149
; %bb.148:                              ;   in Loop: Header=BB51_5 Depth=1
	ds_read2st64_b64 v[1:4], v40 offset1:1
	s_waitcnt lgkmcnt(0)
	v_cmp_lt_f64_e32 vcc_lo, v[1:2], v[3:4]
	v_cndmask_b32_e32 v2, v2, v4, vcc_lo
	v_cndmask_b32_e32 v1, v1, v3, vcc_lo
	ds_write_b64 v40, v[1:2]
.LBB51_149:                             ;   in Loop: Header=BB51_5 Depth=1
	s_or_b32 exec_lo, exec_lo, s11
	s_waitcnt lgkmcnt(0)
	s_barrier
	buffer_gl0_inv
	s_and_saveexec_b32 s11, s3
	s_cbranch_execz .LBB51_151
; %bb.150:                              ;   in Loop: Header=BB51_5 Depth=1
	ds_read2_b64 v[1:4], v40 offset1:32
	s_waitcnt lgkmcnt(0)
	v_cmp_lt_f64_e32 vcc_lo, v[1:2], v[3:4]
	v_cndmask_b32_e32 v2, v2, v4, vcc_lo
	v_cndmask_b32_e32 v1, v1, v3, vcc_lo
	ds_write_b64 v40, v[1:2]
.LBB51_151:                             ;   in Loop: Header=BB51_5 Depth=1
	s_or_b32 exec_lo, exec_lo, s11
	s_waitcnt lgkmcnt(0)
	s_barrier
	buffer_gl0_inv
	s_and_saveexec_b32 s11, s4
	s_cbranch_execz .LBB51_153
; %bb.152:                              ;   in Loop: Header=BB51_5 Depth=1
	ds_read2_b64 v[1:4], v40 offset1:16
	s_waitcnt lgkmcnt(0)
	v_cmp_lt_f64_e32 vcc_lo, v[1:2], v[3:4]
	v_cndmask_b32_e32 v2, v2, v4, vcc_lo
	v_cndmask_b32_e32 v1, v1, v3, vcc_lo
	ds_write_b64 v40, v[1:2]
.LBB51_153:                             ;   in Loop: Header=BB51_5 Depth=1
	;; [unrolled: 14-line block ×5, first 2 shown]
	s_or_b32 exec_lo, exec_lo, s11
	s_waitcnt lgkmcnt(0)
	s_barrier
	buffer_gl0_inv
	s_and_saveexec_b32 s11, s9
	s_cbranch_execz .LBB51_161
; %bb.160:                              ;   in Loop: Header=BB51_5 Depth=1
	ds_read_b128 v[1:4], v18
	s_waitcnt lgkmcnt(0)
	v_cmp_lt_f64_e32 vcc_lo, v[1:2], v[3:4]
	v_cndmask_b32_e32 v2, v2, v4, vcc_lo
	v_cndmask_b32_e32 v1, v1, v3, vcc_lo
	ds_write_b64 v18, v[1:2]
.LBB51_161:                             ;   in Loop: Header=BB51_5 Depth=1
	s_or_b32 exec_lo, exec_lo, s11
	s_waitcnt lgkmcnt(0)
	s_barrier
	buffer_gl0_inv
	ds_read_b64 v[1:2], v18
	s_load_dwordx2 s[70:71], s[56:57], 0x0
	s_waitcnt lgkmcnt(0)
	v_div_scale_f64 v[3:4], null, s[70:71], s[70:71], v[1:2]
	v_rcp_f64_e32 v[5:6], v[3:4]
	v_fma_f64 v[7:8], -v[3:4], v[5:6], 1.0
	v_fma_f64 v[5:6], v[5:6], v[7:8], v[5:6]
	v_fma_f64 v[7:8], -v[3:4], v[5:6], 1.0
	v_fma_f64 v[5:6], v[5:6], v[7:8], v[5:6]
	v_div_scale_f64 v[7:8], vcc_lo, v[1:2], s[70:71], v[1:2]
	v_mul_f64 v[9:10], v[7:8], v[5:6]
	v_fma_f64 v[3:4], -v[3:4], v[9:10], v[7:8]
	v_div_fmas_f64 v[3:4], v[3:4], v[5:6], v[9:10]
	v_div_fixup_f64 v[13:14], v[3:4], s[70:71], v[1:2]
	s_and_saveexec_b32 s12, s7
	s_cbranch_execz .LBB51_173
.LBB51_162:                             ;   in Loop: Header=BB51_5 Depth=1
	v_mov_b32_e32 v1, v41
	s_mov_b32 s70, 0
	s_branch .LBB51_164
.LBB51_163:                             ;   in Loop: Header=BB51_164 Depth=2
	s_or_b32 exec_lo, exec_lo, s71
	v_add_nc_u32_e32 v1, 0x100, v1
	v_cmp_le_u32_e32 vcc_lo, s66, v1
	s_or_b32 s70, vcc_lo, s70
	s_andn2_b32 exec_lo, exec_lo, s70
	s_cbranch_execz .LBB51_173
.LBB51_164:                             ;   Parent Loop BB51_5 Depth=1
                                        ; =>  This Loop Header: Depth=2
                                        ;       Child Loop BB51_167 Depth 3
                                        ;       Child Loop BB51_170 Depth 3
	s_mov_b32 s71, exec_lo
	v_cmpx_gt_i32_e64 s59, v1
	s_cbranch_execz .LBB51_163
; %bb.165:                              ;   in Loop: Header=BB51_164 Depth=2
	v_ashrrev_i32_e32 v2, 31, v1
	s_mov_b32 s72, exec_lo
	v_lshlrev_b64 v[3:4], 2, v[1:2]
	v_add_co_u32 v5, vcc_lo, s24, v3
	v_add_co_ci_u32_e64 v6, null, s25, v4, vcc_lo
	v_add_co_u32 v7, vcc_lo, s26, v3
	v_add_co_ci_u32_e64 v8, null, s27, v4, vcc_lo
	global_load_dword v5, v[5:6], off
	global_load_dword v6, v[7:8], off
	s_waitcnt vmcnt(1)
	v_add_nc_u32_e32 v5, v44, v5
	s_waitcnt vmcnt(0)
	v_subrev_nc_u32_e32 v10, s64, v6
	v_cmpx_lt_i32_e64 v5, v10
	s_cbranch_execz .LBB51_168
; %bb.166:                              ;   in Loop: Header=BB51_164 Depth=2
	v_ashrrev_i32_e32 v6, 31, v5
	s_mov_b32 s73, 0
	v_lshlrev_b64 v[8:9], 4, v[5:6]
	v_add_co_u32 v6, vcc_lo, s30, v8
	v_add_co_ci_u32_e64 v7, null, s31, v9, vcc_lo
	v_add_co_u32 v8, vcc_lo, s14, v8
	v_add_co_ci_u32_e64 v9, null, s15, v9, vcc_lo
	.p2align	6
.LBB51_167:                             ;   Parent Loop BB51_5 Depth=1
                                        ;     Parent Loop BB51_164 Depth=2
                                        ; =>    This Inner Loop Header: Depth=3
	global_load_dwordx4 v[19:22], v[8:9], off
	v_add_nc_u32_e32 v5, 4, v5
	v_add_co_u32 v8, vcc_lo, v8, 64
	v_add_co_ci_u32_e64 v9, null, 0, v9, vcc_lo
	v_cmp_ge_i32_e32 vcc_lo, v5, v10
	s_or_b32 s73, vcc_lo, s73
	s_waitcnt vmcnt(0)
	global_store_dwordx4 v[6:7], v[19:22], off
	v_add_co_u32 v6, s11, v6, 64
	v_add_co_ci_u32_e64 v7, null, 0, v7, s11
	s_andn2_b32 exec_lo, exec_lo, s73
	s_cbranch_execnz .LBB51_167
.LBB51_168:                             ;   in Loop: Header=BB51_164 Depth=2
	s_or_b32 exec_lo, exec_lo, s72
	v_add_co_u32 v5, vcc_lo, s16, v3
	v_add_co_ci_u32_e64 v6, null, s17, v4, vcc_lo
	v_add_co_u32 v3, vcc_lo, s18, v3
	v_add_co_ci_u32_e64 v4, null, s19, v4, vcc_lo
	global_load_dword v5, v[5:6], off
	global_load_dword v4, v[3:4], off
	s_mov_b32 s72, exec_lo
	s_waitcnt vmcnt(1)
	v_add_nc_u32_e32 v3, v45, v5
	s_waitcnt vmcnt(0)
	v_subrev_nc_u32_e32 v8, s65, v4
	v_cmpx_lt_i32_e64 v3, v8
	s_cbranch_execz .LBB51_171
; %bb.169:                              ;   in Loop: Header=BB51_164 Depth=2
	v_ashrrev_i32_e32 v4, 31, v3
	s_mov_b32 s73, 0
	v_lshlrev_b64 v[6:7], 4, v[3:4]
	v_add_co_u32 v4, vcc_lo, s22, v6
	v_add_co_ci_u32_e64 v5, null, s23, v7, vcc_lo
	v_add_co_u32 v6, vcc_lo, s34, v6
	v_add_co_ci_u32_e64 v7, null, s35, v7, vcc_lo
	.p2align	6
.LBB51_170:                             ;   Parent Loop BB51_5 Depth=1
                                        ;     Parent Loop BB51_164 Depth=2
                                        ; =>    This Inner Loop Header: Depth=3
	global_load_dwordx4 v[9:12], v[6:7], off
	v_add_nc_u32_e32 v3, 4, v3
	v_add_co_u32 v6, vcc_lo, v6, 64
	v_add_co_ci_u32_e64 v7, null, 0, v7, vcc_lo
	v_cmp_ge_i32_e32 vcc_lo, v3, v8
	s_or_b32 s73, vcc_lo, s73
	s_waitcnt vmcnt(0)
	global_store_dwordx4 v[4:5], v[9:12], off
	v_add_co_u32 v4, s11, v4, 64
	v_add_co_ci_u32_e64 v5, null, 0, v5, s11
	s_andn2_b32 exec_lo, exec_lo, s73
	s_cbranch_execnz .LBB51_170
.LBB51_171:                             ;   in Loop: Header=BB51_164 Depth=2
	s_or_b32 exec_lo, exec_lo, s72
	s_and_b32 exec_lo, exec_lo, s10
	s_cbranch_execz .LBB51_163
; %bb.172:                              ;   in Loop: Header=BB51_164 Depth=2
	v_lshlrev_b64 v[6:7], 4, v[1:2]
	v_add_co_u32 v2, vcc_lo, s54, v6
	v_add_co_ci_u32_e64 v3, null, s55, v7, vcc_lo
	v_add_co_u32 v6, vcc_lo, s52, v6
	v_add_co_ci_u32_e64 v7, null, s53, v7, vcc_lo
	global_load_dwordx4 v[2:5], v[2:3], off
	s_waitcnt vmcnt(0)
	global_store_dwordx4 v[6:7], v[2:5], off
	s_branch .LBB51_163
.LBB51_173:                             ;   in Loop: Header=BB51_5 Depth=1
	s_or_b32 exec_lo, exec_lo, s12
	s_mov_b32 s12, -1
	s_and_b32 vcc_lo, exec_lo, s60
	s_mov_b32 s70, -1
	s_cbranch_vccz .LBB51_183
; %bb.174:                              ;   in Loop: Header=BB51_5 Depth=1
	s_and_b32 vcc_lo, exec_lo, s68
	s_mov_b32 s11, -1
                                        ; implicit-def: $sgpr70
	s_cbranch_vccz .LBB51_180
; %bb.175:                              ;   in Loop: Header=BB51_5 Depth=1
	s_and_b32 vcc_lo, exec_lo, s67
                                        ; implicit-def: $sgpr70
	s_cbranch_vccz .LBB51_177
; %bb.176:                              ;   in Loop: Header=BB51_5 Depth=1
	v_cmp_ge_f64_e64 s70, s[50:51], v[13:14]
	s_mov_b32 s11, 0
.LBB51_177:                             ;   in Loop: Header=BB51_5 Depth=1
	s_andn2_b32 vcc_lo, exec_lo, s11
	s_cbranch_vccnz .LBB51_179
; %bb.178:                              ;   in Loop: Header=BB51_5 Depth=1
	v_cmp_ge_f64_e32 vcc_lo, s[50:51], v[15:16]
	s_andn2_b32 s11, s70, exec_lo
	s_and_b32 s70, vcc_lo, exec_lo
	s_or_b32 s70, s11, s70
.LBB51_179:                             ;   in Loop: Header=BB51_5 Depth=1
	s_mov_b32 s11, 0
.LBB51_180:                             ;   in Loop: Header=BB51_5 Depth=1
	s_andn2_b32 vcc_lo, exec_lo, s11
	s_cbranch_vccnz .LBB51_182
; %bb.181:                              ;   in Loop: Header=BB51_5 Depth=1
	v_cmp_ge_f64_e32 vcc_lo, s[50:51], v[15:16]
	v_cmp_ge_f64_e64 s11, s[50:51], v[13:14]
	s_andn2_b32 s70, s70, exec_lo
	s_and_b32 s11, vcc_lo, s11
	s_and_b32 s11, s11, exec_lo
	s_or_b32 s70, s70, s11
.LBB51_182:                             ;   in Loop: Header=BB51_5 Depth=1
	s_xor_b32 s70, s70, -1
.LBB51_183:                             ;   in Loop: Header=BB51_5 Depth=1
	v_mov_b32_e32 v1, s69
	s_and_saveexec_b32 s11, s70
	s_cbranch_execz .LBB51_4
; %bb.184:                              ;   in Loop: Header=BB51_5 Depth=1
	s_add_i32 s69, s69, 1
	v_mov_b32_e32 v1, s13
	s_cmp_eq_u32 s69, s13
	s_cselect_b32 s12, -1, 0
	s_orn2_b32 s12, s12, exec_lo
	s_branch .LBB51_4
.LBB51_185:
	s_or_b32 exec_lo, exec_lo, s61
	s_or_b32 exec_lo, exec_lo, s62
	s_andn2_b32 vcc_lo, exec_lo, s60
	s_cbranch_vccnz .LBB51_2
.LBB51_186:
	v_xor_b32_e32 v2, 2, v39
	v_xor_b32_e32 v3, 1, v39
	s_mov_b32 s0, exec_lo
	v_cmp_gt_i32_e32 vcc_lo, 32, v2
	v_cndmask_b32_e32 v2, v39, v2, vcc_lo
	v_cmp_gt_i32_e32 vcc_lo, 32, v3
	v_lshlrev_b32_e32 v2, 2, v2
	v_cndmask_b32_e32 v3, v39, v3, vcc_lo
	ds_bpermute_b32 v2, v2, v1
	s_waitcnt lgkmcnt(0)
	v_max_i32_e32 v1, v1, v2
	v_lshlrev_b32_e32 v2, 2, v3
	ds_bpermute_b32 v2, v2, v1
	v_cmpx_eq_u32_e32 3, v38
	s_cbranch_execz .LBB51_188
; %bb.187:
	v_lshlrev_b32_e32 v3, 2, v37
	s_waitcnt lgkmcnt(0)
	v_max_i32_e32 v1, v1, v2
	ds_write_b32 v3, v1 offset:2048
.LBB51_188:
	s_or_b32 exec_lo, exec_lo, s0
	v_lshlrev_b32_e32 v1, 2, v0
	s_mov_b32 s0, exec_lo
	s_waitcnt lgkmcnt(0)
	s_waitcnt_vscnt null, 0x0
	s_barrier
	buffer_gl0_inv
	v_cmpx_gt_u32_e32 0x80, v0
	s_cbranch_execz .LBB51_190
; %bb.189:
	ds_read2st64_b32 v[2:3], v1 offset0:8 offset1:10
	s_waitcnt lgkmcnt(0)
	v_max_i32_e32 v2, v2, v3
	ds_write_b32 v1, v2 offset:2048
.LBB51_190:
	s_or_b32 exec_lo, exec_lo, s0
	s_mov_b32 s0, exec_lo
	s_waitcnt lgkmcnt(0)
	s_barrier
	buffer_gl0_inv
	v_cmpx_gt_u32_e32 64, v0
	s_cbranch_execz .LBB51_192
; %bb.191:
	ds_read2st64_b32 v[2:3], v1 offset0:8 offset1:9
	s_waitcnt lgkmcnt(0)
	v_max_i32_e32 v2, v2, v3
	ds_write_b32 v1, v2 offset:2048
.LBB51_192:
	s_or_b32 exec_lo, exec_lo, s0
	s_mov_b32 s0, exec_lo
	s_waitcnt lgkmcnt(0)
	s_barrier
	buffer_gl0_inv
	v_cmpx_gt_u32_e32 32, v0
	s_cbranch_execz .LBB51_194
; %bb.193:
	v_add_nc_u32_e32 v2, 0x800, v1
	ds_read2_b32 v[2:3], v2 offset1:32
	s_waitcnt lgkmcnt(0)
	v_max_i32_e32 v2, v2, v3
	ds_write_b32 v1, v2 offset:2048
.LBB51_194:
	s_or_b32 exec_lo, exec_lo, s0
	s_mov_b32 s0, exec_lo
	s_waitcnt lgkmcnt(0)
	s_barrier
	buffer_gl0_inv
	v_cmpx_gt_u32_e32 16, v0
	s_cbranch_execz .LBB51_196
; %bb.195:
	v_add_nc_u32_e32 v2, 0x800, v1
	ds_read2_b32 v[2:3], v2 offset1:16
	s_waitcnt lgkmcnt(0)
	v_max_i32_e32 v2, v2, v3
	ds_write_b32 v1, v2 offset:2048
.LBB51_196:
	;; [unrolled: 14-line block ×5, first 2 shown]
	s_or_b32 exec_lo, exec_lo, s0
	v_cmp_eq_u32_e32 vcc_lo, 0, v0
	s_waitcnt lgkmcnt(0)
	s_barrier
	buffer_gl0_inv
	s_and_saveexec_b32 s0, vcc_lo
	s_cbranch_execz .LBB51_204
; %bb.203:
	v_mov_b32_e32 v3, 0
	ds_read_b64 v[1:2], v3 offset:2048
	s_waitcnt lgkmcnt(0)
	v_max_i32_e32 v1, v1, v2
	ds_write_b32 v3, v1 offset:2048
.LBB51_204:
	s_or_b32 exec_lo, exec_lo, s0
	s_waitcnt lgkmcnt(0)
	s_barrier
	buffer_gl0_inv
	s_and_saveexec_b32 s0, vcc_lo
	s_cbranch_execz .LBB51_207
; %bb.205:
	v_mbcnt_lo_u32_b32 v1, exec_lo, 0
	v_cmp_eq_u32_e32 vcc_lo, 0, v1
	s_and_b32 exec_lo, exec_lo, vcc_lo
	s_cbranch_execz .LBB51_207
; %bb.206:
	v_mov_b32_e32 v1, 0
	ds_read_b32 v2, v1 offset:2048
	s_waitcnt lgkmcnt(0)
	v_add_nc_u32_e32 v2, 1, v2
	global_atomic_smax v1, v2, s[48:49]
.LBB51_207:
	s_or_b32 exec_lo, exec_lo, s0
	v_cmp_eq_u32_e32 vcc_lo, 0, v0
	s_and_b32 s0, vcc_lo, s58
	s_and_saveexec_b32 s1, s0
	s_cbranch_execz .LBB51_214
.LBB51_208:
	v_mov_b32_e32 v0, 0
	v_mov_b32_e32 v1, 0x7ff80000
	s_mov_b32 s0, exec_lo
.LBB51_209:                             ; =>This Inner Loop Header: Depth=1
	s_ff1_i32_b32 s4, s0
	v_max_f64 v[0:1], v[0:1], v[0:1]
	v_readlane_b32 s3, v16, s4
	v_readlane_b32 s2, v15, s4
	v_max_f64 v[2:3], s[2:3], s[2:3]
	s_lshl_b32 s2, 1, s4
	s_andn2_b32 s0, s0, s2
	s_cmp_lg_u32 s0, 0
	v_max_f64 v[0:1], v[0:1], v[2:3]
	s_cbranch_scc1 .LBB51_209
; %bb.210:
	v_mbcnt_lo_u32_b32 v2, exec_lo, 0
	s_mov_b32 s2, 0
	s_mov_b32 s3, exec_lo
	v_cmpx_eq_u32_e32 0, v2
	s_xor_b32 s3, exec_lo, s3
	s_cbranch_execz .LBB51_214
; %bb.211:
	v_mov_b32_e32 v6, 0
	v_max_f64 v[4:5], v[0:1], v[0:1]
	global_load_dwordx2 v[2:3], v6, s[44:45]
.LBB51_212:                             ; =>This Inner Loop Header: Depth=1
	s_waitcnt vmcnt(0)
	v_max_f64 v[0:1], v[2:3], v[2:3]
	v_max_f64 v[0:1], v[0:1], v[4:5]
	global_atomic_cmpswap_x2 v[0:1], v6, v[0:3], s[44:45] glc
	s_waitcnt vmcnt(0)
	v_cmp_eq_u64_e64 s0, v[0:1], v[2:3]
	v_mov_b32_e32 v3, v1
	v_mov_b32_e32 v2, v0
	s_or_b32 s2, s0, s2
	s_andn2_b32 exec_lo, exec_lo, s2
	s_cbranch_execnz .LBB51_212
; %bb.213:
	s_or_b32 exec_lo, exec_lo, s2
.LBB51_214:
	s_or_b32 exec_lo, exec_lo, s1
	s_and_b32 s0, vcc_lo, s33
	s_and_saveexec_b32 s1, s0
	s_cbranch_execz .LBB51_220
; %bb.215:
	v_mov_b32_e32 v0, 0
	v_mov_b32_e32 v1, 0x7ff80000
	s_mov_b32 s0, exec_lo
.LBB51_216:                             ; =>This Inner Loop Header: Depth=1
	s_ff1_i32_b32 s1, s0
	v_max_f64 v[0:1], v[0:1], v[0:1]
	v_readlane_b32 s3, v14, s1
	v_readlane_b32 s2, v13, s1
	s_lshl_b32 s1, 1, s1
	s_andn2_b32 s0, s0, s1
	v_max_f64 v[2:3], s[2:3], s[2:3]
	s_cmp_lg_u32 s0, 0
	v_max_f64 v[0:1], v[0:1], v[2:3]
	s_cbranch_scc1 .LBB51_216
; %bb.217:
	v_mbcnt_lo_u32_b32 v2, exec_lo, 0
	s_mov_b32 s0, 0
	s_mov_b32 s1, exec_lo
	v_cmpx_eq_u32_e32 0, v2
	s_xor_b32 s1, exec_lo, s1
	s_cbranch_execz .LBB51_220
; %bb.218:
	v_mov_b32_e32 v6, 0
	v_max_f64 v[4:5], v[0:1], v[0:1]
	global_load_dwordx2 v[2:3], v6, s[46:47]
.LBB51_219:                             ; =>This Inner Loop Header: Depth=1
	s_waitcnt vmcnt(0)
	v_max_f64 v[0:1], v[2:3], v[2:3]
	v_max_f64 v[0:1], v[0:1], v[4:5]
	global_atomic_cmpswap_x2 v[0:1], v6, v[0:3], s[46:47] glc
	s_waitcnt vmcnt(0)
	v_cmp_eq_u64_e32 vcc_lo, v[0:1], v[2:3]
	v_mov_b32_e32 v3, v1
	v_mov_b32_e32 v2, v0
	s_or_b32 s0, vcc_lo, s0
	s_andn2_b32 exec_lo, exec_lo, s0
	s_cbranch_execnz .LBB51_219
.LBB51_220:
	s_endpgm
	.section	.rodata,"a",@progbits
	.p2align	6, 0x0
	.amdhsa_kernel _ZN9rocsparseL6kernelILi1024ELi4E21rocsparse_complex_numIdEiiEEvbbbT3_PS3_NS_15floating_traitsIT1_E6data_tES3_T2_PKS9_SB_PKS3_PKS6_21rocsparse_index_base_SB_SB_SD_PS6_SH_SG_SB_SB_SD_SH_SH_SG_SH_SH_PS8_SI_PKS8_
		.amdhsa_group_segment_fixed_size 3072
		.amdhsa_private_segment_fixed_size 0
		.amdhsa_kernarg_size 208
		.amdhsa_user_sgpr_count 6
		.amdhsa_user_sgpr_private_segment_buffer 1
		.amdhsa_user_sgpr_dispatch_ptr 0
		.amdhsa_user_sgpr_queue_ptr 0
		.amdhsa_user_sgpr_kernarg_segment_ptr 1
		.amdhsa_user_sgpr_dispatch_id 0
		.amdhsa_user_sgpr_flat_scratch_init 0
		.amdhsa_user_sgpr_private_segment_size 0
		.amdhsa_wavefront_size32 1
		.amdhsa_uses_dynamic_stack 0
		.amdhsa_system_sgpr_private_segment_wavefront_offset 0
		.amdhsa_system_sgpr_workgroup_id_x 1
		.amdhsa_system_sgpr_workgroup_id_y 0
		.amdhsa_system_sgpr_workgroup_id_z 0
		.amdhsa_system_sgpr_workgroup_info 0
		.amdhsa_system_vgpr_workitem_id 0
		.amdhsa_next_free_vgpr 59
		.amdhsa_next_free_sgpr 84
		.amdhsa_reserve_vcc 1
		.amdhsa_reserve_flat_scratch 0
		.amdhsa_float_round_mode_32 0
		.amdhsa_float_round_mode_16_64 0
		.amdhsa_float_denorm_mode_32 3
		.amdhsa_float_denorm_mode_16_64 3
		.amdhsa_dx10_clamp 1
		.amdhsa_ieee_mode 1
		.amdhsa_fp16_overflow 0
		.amdhsa_workgroup_processor_mode 1
		.amdhsa_memory_ordered 1
		.amdhsa_forward_progress 1
		.amdhsa_shared_vgpr_count 0
		.amdhsa_exception_fp_ieee_invalid_op 0
		.amdhsa_exception_fp_denorm_src 0
		.amdhsa_exception_fp_ieee_div_zero 0
		.amdhsa_exception_fp_ieee_overflow 0
		.amdhsa_exception_fp_ieee_underflow 0
		.amdhsa_exception_fp_ieee_inexact 0
		.amdhsa_exception_int_div_zero 0
	.end_amdhsa_kernel
	.section	.text._ZN9rocsparseL6kernelILi1024ELi4E21rocsparse_complex_numIdEiiEEvbbbT3_PS3_NS_15floating_traitsIT1_E6data_tES3_T2_PKS9_SB_PKS3_PKS6_21rocsparse_index_base_SB_SB_SD_PS6_SH_SG_SB_SB_SD_SH_SH_SG_SH_SH_PS8_SI_PKS8_,"axG",@progbits,_ZN9rocsparseL6kernelILi1024ELi4E21rocsparse_complex_numIdEiiEEvbbbT3_PS3_NS_15floating_traitsIT1_E6data_tES3_T2_PKS9_SB_PKS3_PKS6_21rocsparse_index_base_SB_SB_SD_PS6_SH_SG_SB_SB_SD_SH_SH_SG_SH_SH_PS8_SI_PKS8_,comdat
.Lfunc_end51:
	.size	_ZN9rocsparseL6kernelILi1024ELi4E21rocsparse_complex_numIdEiiEEvbbbT3_PS3_NS_15floating_traitsIT1_E6data_tES3_T2_PKS9_SB_PKS3_PKS6_21rocsparse_index_base_SB_SB_SD_PS6_SH_SG_SB_SB_SD_SH_SH_SG_SH_SH_PS8_SI_PKS8_, .Lfunc_end51-_ZN9rocsparseL6kernelILi1024ELi4E21rocsparse_complex_numIdEiiEEvbbbT3_PS3_NS_15floating_traitsIT1_E6data_tES3_T2_PKS9_SB_PKS3_PKS6_21rocsparse_index_base_SB_SB_SD_PS6_SH_SG_SB_SB_SD_SH_SH_SG_SH_SH_PS8_SI_PKS8_
                                        ; -- End function
	.set _ZN9rocsparseL6kernelILi1024ELi4E21rocsparse_complex_numIdEiiEEvbbbT3_PS3_NS_15floating_traitsIT1_E6data_tES3_T2_PKS9_SB_PKS3_PKS6_21rocsparse_index_base_SB_SB_SD_PS6_SH_SG_SB_SB_SD_SH_SH_SG_SH_SH_PS8_SI_PKS8_.num_vgpr, 59
	.set _ZN9rocsparseL6kernelILi1024ELi4E21rocsparse_complex_numIdEiiEEvbbbT3_PS3_NS_15floating_traitsIT1_E6data_tES3_T2_PKS9_SB_PKS3_PKS6_21rocsparse_index_base_SB_SB_SD_PS6_SH_SG_SB_SB_SD_SH_SH_SG_SH_SH_PS8_SI_PKS8_.num_agpr, 0
	.set _ZN9rocsparseL6kernelILi1024ELi4E21rocsparse_complex_numIdEiiEEvbbbT3_PS3_NS_15floating_traitsIT1_E6data_tES3_T2_PKS9_SB_PKS3_PKS6_21rocsparse_index_base_SB_SB_SD_PS6_SH_SG_SB_SB_SD_SH_SH_SG_SH_SH_PS8_SI_PKS8_.numbered_sgpr, 84
	.set _ZN9rocsparseL6kernelILi1024ELi4E21rocsparse_complex_numIdEiiEEvbbbT3_PS3_NS_15floating_traitsIT1_E6data_tES3_T2_PKS9_SB_PKS3_PKS6_21rocsparse_index_base_SB_SB_SD_PS6_SH_SG_SB_SB_SD_SH_SH_SG_SH_SH_PS8_SI_PKS8_.num_named_barrier, 0
	.set _ZN9rocsparseL6kernelILi1024ELi4E21rocsparse_complex_numIdEiiEEvbbbT3_PS3_NS_15floating_traitsIT1_E6data_tES3_T2_PKS9_SB_PKS3_PKS6_21rocsparse_index_base_SB_SB_SD_PS6_SH_SG_SB_SB_SD_SH_SH_SG_SH_SH_PS8_SI_PKS8_.private_seg_size, 0
	.set _ZN9rocsparseL6kernelILi1024ELi4E21rocsparse_complex_numIdEiiEEvbbbT3_PS3_NS_15floating_traitsIT1_E6data_tES3_T2_PKS9_SB_PKS3_PKS6_21rocsparse_index_base_SB_SB_SD_PS6_SH_SG_SB_SB_SD_SH_SH_SG_SH_SH_PS8_SI_PKS8_.uses_vcc, 1
	.set _ZN9rocsparseL6kernelILi1024ELi4E21rocsparse_complex_numIdEiiEEvbbbT3_PS3_NS_15floating_traitsIT1_E6data_tES3_T2_PKS9_SB_PKS3_PKS6_21rocsparse_index_base_SB_SB_SD_PS6_SH_SG_SB_SB_SD_SH_SH_SG_SH_SH_PS8_SI_PKS8_.uses_flat_scratch, 0
	.set _ZN9rocsparseL6kernelILi1024ELi4E21rocsparse_complex_numIdEiiEEvbbbT3_PS3_NS_15floating_traitsIT1_E6data_tES3_T2_PKS9_SB_PKS3_PKS6_21rocsparse_index_base_SB_SB_SD_PS6_SH_SG_SB_SB_SD_SH_SH_SG_SH_SH_PS8_SI_PKS8_.has_dyn_sized_stack, 0
	.set _ZN9rocsparseL6kernelILi1024ELi4E21rocsparse_complex_numIdEiiEEvbbbT3_PS3_NS_15floating_traitsIT1_E6data_tES3_T2_PKS9_SB_PKS3_PKS6_21rocsparse_index_base_SB_SB_SD_PS6_SH_SG_SB_SB_SD_SH_SH_SG_SH_SH_PS8_SI_PKS8_.has_recursion, 0
	.set _ZN9rocsparseL6kernelILi1024ELi4E21rocsparse_complex_numIdEiiEEvbbbT3_PS3_NS_15floating_traitsIT1_E6data_tES3_T2_PKS9_SB_PKS3_PKS6_21rocsparse_index_base_SB_SB_SD_PS6_SH_SG_SB_SB_SD_SH_SH_SG_SH_SH_PS8_SI_PKS8_.has_indirect_call, 0
	.section	.AMDGPU.csdata,"",@progbits
; Kernel info:
; codeLenInByte = 10292
; TotalNumSgprs: 86
; NumVgprs: 59
; ScratchSize: 0
; MemoryBound: 1
; FloatMode: 240
; IeeeMode: 1
; LDSByteSize: 3072 bytes/workgroup (compile time only)
; SGPRBlocks: 0
; VGPRBlocks: 7
; NumSGPRsForWavesPerEU: 86
; NumVGPRsForWavesPerEU: 59
; Occupancy: 16
; WaveLimiterHint : 1
; COMPUTE_PGM_RSRC2:SCRATCH_EN: 0
; COMPUTE_PGM_RSRC2:USER_SGPR: 6
; COMPUTE_PGM_RSRC2:TRAP_HANDLER: 0
; COMPUTE_PGM_RSRC2:TGID_X_EN: 1
; COMPUTE_PGM_RSRC2:TGID_Y_EN: 0
; COMPUTE_PGM_RSRC2:TGID_Z_EN: 0
; COMPUTE_PGM_RSRC2:TIDIG_COMP_CNT: 0
	.section	.text._ZN9rocsparseL6kernelILi1024ELi8E21rocsparse_complex_numIdEiiEEvbbbT3_PS3_NS_15floating_traitsIT1_E6data_tES3_T2_PKS9_SB_PKS3_PKS6_21rocsparse_index_base_SB_SB_SD_PS6_SH_SG_SB_SB_SD_SH_SH_SG_SH_SH_PS8_SI_PKS8_,"axG",@progbits,_ZN9rocsparseL6kernelILi1024ELi8E21rocsparse_complex_numIdEiiEEvbbbT3_PS3_NS_15floating_traitsIT1_E6data_tES3_T2_PKS9_SB_PKS3_PKS6_21rocsparse_index_base_SB_SB_SD_PS6_SH_SG_SB_SB_SD_SH_SH_SG_SH_SH_PS8_SI_PKS8_,comdat
	.globl	_ZN9rocsparseL6kernelILi1024ELi8E21rocsparse_complex_numIdEiiEEvbbbT3_PS3_NS_15floating_traitsIT1_E6data_tES3_T2_PKS9_SB_PKS3_PKS6_21rocsparse_index_base_SB_SB_SD_PS6_SH_SG_SB_SB_SD_SH_SH_SG_SH_SH_PS8_SI_PKS8_ ; -- Begin function _ZN9rocsparseL6kernelILi1024ELi8E21rocsparse_complex_numIdEiiEEvbbbT3_PS3_NS_15floating_traitsIT1_E6data_tES3_T2_PKS9_SB_PKS3_PKS6_21rocsparse_index_base_SB_SB_SD_PS6_SH_SG_SB_SB_SD_SH_SH_SG_SH_SH_PS8_SI_PKS8_
	.p2align	8
	.type	_ZN9rocsparseL6kernelILi1024ELi8E21rocsparse_complex_numIdEiiEEvbbbT3_PS3_NS_15floating_traitsIT1_E6data_tES3_T2_PKS9_SB_PKS3_PKS6_21rocsparse_index_base_SB_SB_SD_PS6_SH_SG_SB_SB_SD_SH_SH_SG_SH_SH_PS8_SI_PKS8_,@function
_ZN9rocsparseL6kernelILi1024ELi8E21rocsparse_complex_numIdEiiEEvbbbT3_PS3_NS_15floating_traitsIT1_E6data_tES3_T2_PKS9_SB_PKS3_PKS6_21rocsparse_index_base_SB_SB_SD_PS6_SH_SG_SB_SB_SD_SH_SH_SG_SH_SH_PS8_SI_PKS8_: ; @_ZN9rocsparseL6kernelILi1024ELi8E21rocsparse_complex_numIdEiiEEvbbbT3_PS3_NS_15floating_traitsIT1_E6data_tES3_T2_PKS9_SB_PKS3_PKS6_21rocsparse_index_base_SB_SB_SD_PS6_SH_SG_SB_SB_SD_SH_SH_SG_SH_SH_PS8_SI_PKS8_
; %bb.0:
	s_clause 0x4
	s_load_dword s0, s[4:5], 0x0
	s_load_dwordx2 s[34:35], s[4:5], 0x0
	s_load_dword s59, s[4:5], 0x18
	s_load_dwordx4 s[44:47], s[4:5], 0x8
	s_load_dwordx4 s[28:31], s[4:5], 0xb8
	v_lshrrev_b32_e32 v37, 3, v0
	v_mov_b32_e32 v1, 0
	v_mov_b32_e32 v15, 0
	;; [unrolled: 1-line block ×3, first 2 shown]
	v_lshlrev_b32_e32 v40, 3, v0
	v_and_b32_e32 v38, 7, v0
	v_mov_b32_e32 v2, v1
	v_mov_b32_e32 v16, 0
	;; [unrolled: 1-line block ×3, first 2 shown]
	v_mbcnt_lo_u32_b32 v39, -1, 0
	ds_write_b64 v40, v[1:2]
	s_waitcnt lgkmcnt(0)
	s_barrier
	buffer_gl0_inv
	s_bitcmp1_b32 s0, 0
	s_cselect_b32 s60, -1, 0
	s_bitcmp1_b32 s0, 8
	s_cselect_b32 s58, -1, 0
	s_bitcmp1_b32 s34, 16
	s_mov_b32 s34, 0
	s_cselect_b32 s33, -1, 0
	s_lshl_b32 s65, s6, 10
	s_cmp_gt_i32 s35, 0
	v_or_b32_e32 v41, s65, v37
	s_cselect_b32 s0, -1, 0
	v_cmp_gt_i32_e32 vcc_lo, s59, v41
	s_and_b32 s0, s0, vcc_lo
	s_and_saveexec_b32 s61, s0
	s_cbranch_execnz .LBB52_3
; %bb.1:
	s_or_b32 exec_lo, exec_lo, s61
	s_andn2_b32 vcc_lo, exec_lo, s60
	s_cbranch_vccz .LBB52_182
.LBB52_2:
	v_cmp_eq_u32_e32 vcc_lo, 0, v0
	s_and_b32 s0, vcc_lo, s58
	s_and_saveexec_b32 s1, s0
	s_cbranch_execnz .LBB52_202
	s_branch .LBB52_208
.LBB52_3:
	s_clause 0x9
	s_load_dword s62, s[4:5], 0x40
	s_load_dword s63, s[4:5], 0x70
	s_load_dwordx2 s[52:53], s[4:5], 0x98
	s_load_dword s64, s[4:5], 0xa0
	s_load_dwordx2 s[54:55], s[4:5], 0x68
	s_load_dwordx2 s[56:57], s[4:5], 0xc8
	s_load_dwordx4 s[48:51], s[4:5], 0xa8
	s_load_dwordx8 s[12:19], s[4:5], 0x78
	s_load_dwordx8 s[20:27], s[4:5], 0x48
	;; [unrolled: 1-line block ×3, first 2 shown]
	s_addk_i32 s65, 0x400
	v_mov_b32_e32 v13, 0
	v_mov_b32_e32 v15, 0
	v_cmp_eq_u32_e64 s0, 7, v38
	v_lshlrev_b32_e32 v42, 3, v37
	v_cmp_gt_u32_e64 s1, 64, v0
	v_cmp_gt_u32_e64 s2, 32, v0
	v_cmp_gt_u32_e64 s3, 16, v0
	v_cmp_gt_u32_e64 s4, 8, v0
	v_cmp_gt_u32_e64 s5, 4, v0
	v_cmp_gt_u32_e64 s6, 2, v0
	v_cmp_gt_u32_e64 s7, s65, v41
	s_waitcnt lgkmcnt(0)
	v_subrev_nc_u32_e32 v43, s62, v38
	v_cmp_eq_u32_e64 s8, 0, v0
	v_subrev_nc_u32_e32 v44, s63, v38
	v_subrev_nc_u32_e32 v45, s64, v38
	v_cmp_eq_u32_e64 s9, 0, v38
	v_mov_b32_e32 v14, 0
	v_mov_b32_e32 v16, 0
	;; [unrolled: 1-line block ×3, first 2 shown]
	s_and_b32 s10, s58, s33
	s_xor_b32 s66, s58, -1
	s_xor_b32 s67, s10, -1
	s_mov_b32 s68, 0
	s_branch .LBB52_5
.LBB52_4:                               ;   in Loop: Header=BB52_5 Depth=1
	s_or_b32 exec_lo, exec_lo, s10
	s_and_b32 s10, exec_lo, s11
	s_or_b32 s34, s10, s34
	s_andn2_b32 exec_lo, exec_lo, s34
	s_cbranch_execz .LBB52_181
.LBB52_5:                               ; =>This Loop Header: Depth=1
                                        ;     Child Loop BB52_9 Depth 2
                                        ;       Child Loop BB52_14 Depth 3
                                        ;         Child Loop BB52_18 Depth 4
                                        ;         Child Loop BB52_53 Depth 4
	;; [unrolled: 1-line block ×5, first 2 shown]
                                        ;     Child Loop BB52_160 Depth 2
                                        ;       Child Loop BB52_163 Depth 3
                                        ;       Child Loop BB52_166 Depth 3
	v_cndmask_b32_e64 v16, v16, 0, s58
	v_cndmask_b32_e64 v15, v15, 0, s58
	v_cndmask_b32_e64 v14, v14, 0, s33
	v_cndmask_b32_e64 v13, v13, 0, s33
	s_mov_b32 s69, 0
	s_branch .LBB52_9
.LBB52_6:                               ;   in Loop: Header=BB52_9 Depth=2
	s_or_b32 exec_lo, exec_lo, s72
.LBB52_7:                               ;   in Loop: Header=BB52_9 Depth=2
	s_or_b32 exec_lo, exec_lo, s71
.LBB52_8:                               ;   in Loop: Header=BB52_9 Depth=2
	s_or_b32 exec_lo, exec_lo, s70
	s_add_i32 s69, s69, 1
	s_cmp_eq_u32 s69, 8
	s_cbranch_scc1 .LBB52_121
.LBB52_9:                               ;   Parent Loop BB52_5 Depth=1
                                        ; =>  This Loop Header: Depth=2
                                        ;       Child Loop BB52_14 Depth 3
                                        ;         Child Loop BB52_18 Depth 4
                                        ;         Child Loop BB52_53 Depth 4
	;; [unrolled: 1-line block ×5, first 2 shown]
	v_lshl_add_u32 v19, s69, 7, v41
	s_mov_b32 s70, exec_lo
	v_cmpx_gt_i32_e64 s59, v19
	s_cbranch_execz .LBB52_8
; %bb.10:                               ;   in Loop: Header=BB52_9 Depth=2
	v_ashrrev_i32_e32 v20, 31, v19
	s_mov_b32 s71, exec_lo
	v_lshlrev_b64 v[1:2], 2, v[19:20]
	v_add_co_u32 v3, vcc_lo, s36, v1
	v_add_co_ci_u32_e64 v4, null, s37, v2, vcc_lo
	v_add_co_u32 v5, vcc_lo, s38, v1
	v_add_co_ci_u32_e64 v6, null, s39, v2, vcc_lo
	global_load_dword v3, v[3:4], off
	global_load_dword v4, v[5:6], off
	s_waitcnt vmcnt(1)
	v_add_nc_u32_e32 v20, v43, v3
	s_waitcnt vmcnt(0)
	v_subrev_nc_u32_e32 v46, s62, v4
	v_cmpx_lt_i32_e64 v20, v46
	s_cbranch_execz .LBB52_7
; %bb.11:                               ;   in Loop: Header=BB52_9 Depth=2
	v_add_co_u32 v3, vcc_lo, s20, v1
	v_add_co_ci_u32_e64 v4, null, s21, v2, vcc_lo
	v_add_co_u32 v1, vcc_lo, s22, v1
	v_add_co_ci_u32_e64 v2, null, s23, v2, vcc_lo
	global_load_dword v3, v[3:4], off
	s_mov_b32 s72, 0
	global_load_dword v4, v[1:2], off
	s_waitcnt vmcnt(1)
	v_subrev_nc_u32_e32 v22, s63, v3
	s_waitcnt vmcnt(0)
	v_sub_nc_u32_e32 v47, v4, v3
	v_ashrrev_i32_e32 v23, 31, v22
	v_cmp_lt_i32_e64 s10, 0, v47
	v_lshlrev_b64 v[1:2], 2, v[22:23]
	v_lshlrev_b64 v[3:4], 4, v[22:23]
	v_add_co_u32 v48, vcc_lo, s24, v1
	v_add_co_ci_u32_e64 v49, null, s25, v2, vcc_lo
	v_add_co_u32 v50, vcc_lo, s26, v3
	v_add_co_ci_u32_e64 v51, null, s27, v4, vcc_lo
	s_branch .LBB52_14
.LBB52_12:                              ;   in Loop: Header=BB52_14 Depth=3
	s_or_b32 exec_lo, exec_lo, s73
.LBB52_13:                              ;   in Loop: Header=BB52_14 Depth=3
	s_or_b32 exec_lo, exec_lo, s11
	v_add_nc_u32_e32 v20, 8, v20
	v_cmp_ge_i32_e32 vcc_lo, v20, v46
	s_or_b32 s72, vcc_lo, s72
	s_andn2_b32 exec_lo, exec_lo, s72
	s_cbranch_execz .LBB52_6
.LBB52_14:                              ;   Parent Loop BB52_5 Depth=1
                                        ;     Parent Loop BB52_9 Depth=2
                                        ; =>    This Loop Header: Depth=3
                                        ;         Child Loop BB52_18 Depth 4
                                        ;         Child Loop BB52_53 Depth 4
	;; [unrolled: 1-line block ×5, first 2 shown]
	v_ashrrev_i32_e32 v21, 31, v20
	v_mov_b32_e32 v17, 0
	v_mov_b32_e32 v25, 0
	;; [unrolled: 1-line block ×4, first 2 shown]
	v_lshlrev_b64 v[1:2], 2, v[20:21]
	v_mov_b32_e32 v28, 0
	v_mov_b32_e32 v30, v17
	v_add_co_u32 v1, vcc_lo, s40, v1
	v_add_co_ci_u32_e64 v2, null, s41, v2, vcc_lo
	global_load_dword v1, v[1:2], off
	s_waitcnt vmcnt(0)
	v_subrev_nc_u32_e32 v23, s62, v1
	v_ashrrev_i32_e32 v24, 31, v23
	v_lshlrev_b64 v[1:2], 2, v[23:24]
	v_add_co_u32 v3, vcc_lo, s12, v1
	v_add_co_ci_u32_e64 v4, null, s13, v2, vcc_lo
	v_add_co_u32 v1, vcc_lo, s14, v1
	v_add_co_ci_u32_e64 v2, null, s15, v2, vcc_lo
	global_load_dword v3, v[3:4], off
	global_load_dword v1, v[1:2], off
	s_waitcnt vmcnt(1)
	v_subrev_nc_u32_e32 v29, s64, v3
	s_waitcnt vmcnt(0)
	v_sub_nc_u32_e32 v52, v1, v3
	s_and_saveexec_b32 s73, s10
	s_cbranch_execz .LBB52_22
; %bb.15:                               ;   in Loop: Header=BB52_14 Depth=3
	v_ashrrev_i32_e32 v30, 31, v29
	v_mov_b32_e32 v25, 0
	v_mov_b32_e32 v27, 0
	;; [unrolled: 1-line block ×4, first 2 shown]
	v_lshlrev_b64 v[1:2], 2, v[29:30]
	v_lshlrev_b64 v[3:4], 4, v[29:30]
	v_mov_b32_e32 v30, 0
	v_mov_b32_e32 v17, 0
	s_mov_b32 s74, 0
                                        ; implicit-def: $sgpr75
	v_add_co_u32 v1, vcc_lo, s16, v1
	v_add_co_ci_u32_e64 v2, null, s17, v2, vcc_lo
	v_add_co_u32 v3, vcc_lo, s18, v3
	v_add_co_ci_u32_e64 v4, null, s19, v4, vcc_lo
	s_branch .LBB52_18
.LBB52_16:                              ;   in Loop: Header=BB52_18 Depth=4
	s_or_b32 exec_lo, exec_lo, s11
	v_cmp_le_i32_e32 vcc_lo, v5, v6
	v_cmp_ge_i32_e64 s11, v5, v6
	v_add_co_ci_u32_e64 v17, null, 0, v17, vcc_lo
	v_add_co_ci_u32_e64 v30, null, 0, v30, s11
	s_andn2_b32 s11, s75, exec_lo
	v_cmp_ge_i32_e32 vcc_lo, v17, v47
	s_and_b32 s75, vcc_lo, exec_lo
	s_or_b32 s75, s11, s75
.LBB52_17:                              ;   in Loop: Header=BB52_18 Depth=4
	s_or_b32 exec_lo, exec_lo, s76
	s_and_b32 s11, exec_lo, s75
	s_or_b32 s74, s11, s74
	s_andn2_b32 exec_lo, exec_lo, s74
	s_cbranch_execz .LBB52_21
.LBB52_18:                              ;   Parent Loop BB52_5 Depth=1
                                        ;     Parent Loop BB52_9 Depth=2
                                        ;       Parent Loop BB52_14 Depth=3
                                        ; =>      This Inner Loop Header: Depth=4
	s_or_b32 s75, s75, exec_lo
	s_mov_b32 s76, exec_lo
	v_cmpx_lt_i32_e64 v30, v52
	s_cbranch_execz .LBB52_17
; %bb.19:                               ;   in Loop: Header=BB52_18 Depth=4
	v_mov_b32_e32 v31, v18
	v_lshlrev_b64 v[5:6], 2, v[17:18]
	s_mov_b32 s11, exec_lo
	v_lshlrev_b64 v[7:8], 2, v[30:31]
	v_add_co_u32 v5, vcc_lo, v48, v5
	v_add_co_ci_u32_e64 v6, null, v49, v6, vcc_lo
	v_add_co_u32 v7, vcc_lo, v1, v7
	v_add_co_ci_u32_e64 v8, null, v2, v8, vcc_lo
	global_load_dword v5, v[5:6], off
	global_load_dword v6, v[7:8], off
	s_waitcnt vmcnt(1)
	v_subrev_nc_u32_e32 v5, s63, v5
	s_waitcnt vmcnt(0)
	v_subrev_nc_u32_e32 v6, s64, v6
	v_cmpx_eq_u32_e64 v5, v6
	s_cbranch_execz .LBB52_16
; %bb.20:                               ;   in Loop: Header=BB52_18 Depth=4
	v_lshlrev_b64 v[7:8], 4, v[17:18]
	v_lshlrev_b64 v[9:10], 4, v[30:31]
	v_add_co_u32 v7, vcc_lo, v50, v7
	v_add_co_ci_u32_e64 v8, null, v51, v8, vcc_lo
	v_add_co_u32 v11, vcc_lo, v3, v9
	v_add_co_ci_u32_e64 v12, null, v4, v10, vcc_lo
	global_load_dwordx4 v[7:10], v[7:8], off
	global_load_dwordx4 v[31:34], v[11:12], off
	s_waitcnt vmcnt(0)
	v_fma_f64 v[11:12], v[7:8], v[31:32], v[25:26]
	v_fma_f64 v[27:28], v[9:10], v[31:32], v[27:28]
	v_fma_f64 v[25:26], -v[9:10], v[33:34], v[11:12]
	v_fma_f64 v[27:28], v[7:8], v[33:34], v[27:28]
	s_branch .LBB52_16
.LBB52_21:                              ;   in Loop: Header=BB52_14 Depth=3
	s_or_b32 exec_lo, exec_lo, s74
.LBB52_22:                              ;   in Loop: Header=BB52_14 Depth=3
	s_or_b32 exec_lo, exec_lo, s73
	v_lshlrev_b64 v[1:2], 4, v[20:21]
	v_cmp_le_i32_e64 s11, v19, v23
	s_mov_b32 s73, exec_lo
	v_add_co_u32 v1, vcc_lo, s42, v1
	v_add_co_ci_u32_e64 v2, null, s43, v2, vcc_lo
	global_load_dwordx4 v[1:4], v[1:2], off
	s_waitcnt vmcnt(0)
	v_add_f64 v[5:6], v[1:2], -v[25:26]
	v_add_f64 v[7:8], v[3:4], -v[27:28]
	v_cmpx_gt_i32_e64 v19, v23
	s_cbranch_execz .LBB52_32
; %bb.23:                               ;   in Loop: Header=BB52_14 Depth=3
	v_lshlrev_b64 v[9:10], 4, v[23:24]
	s_mov_b32 s74, exec_lo
                                        ; implicit-def: $vgpr35_vgpr36
	v_add_co_u32 v9, vcc_lo, s48, v9
	v_add_co_ci_u32_e64 v10, null, s49, v10, vcc_lo
	global_load_dwordx4 v[9:12], v[9:10], off
	s_waitcnt vmcnt(0)
	v_cmp_gt_f64_e32 vcc_lo, 0, v[9:10]
	v_xor_b32_e32 v21, 0x80000000, v10
	v_xor_b32_e32 v33, 0x80000000, v12
	v_mov_b32_e32 v31, v9
	v_cndmask_b32_e32 v32, v10, v21, vcc_lo
	v_cmp_gt_f64_e32 vcc_lo, 0, v[11:12]
	v_cndmask_b32_e32 v34, v12, v33, vcc_lo
	v_mov_b32_e32 v33, v11
	v_cmpx_ngt_f64_e32 v[31:32], v[33:34]
	s_xor_b32 s74, exec_lo, s74
	s_cbranch_execz .LBB52_27
; %bb.24:                               ;   in Loop: Header=BB52_14 Depth=3
	v_mov_b32_e32 v35, 0
	v_mov_b32_e32 v36, 0
	s_mov_b32 s75, exec_lo
	v_cmpx_neq_f64_e32 0, v[11:12]
	s_cbranch_execz .LBB52_26
; %bb.25:                               ;   in Loop: Header=BB52_14 Depth=3
	v_div_scale_f64 v[35:36], null, v[33:34], v[33:34], v[31:32]
	v_div_scale_f64 v[57:58], vcc_lo, v[31:32], v[33:34], v[31:32]
	v_rcp_f64_e32 v[53:54], v[35:36]
	v_fma_f64 v[55:56], -v[35:36], v[53:54], 1.0
	v_fma_f64 v[53:54], v[53:54], v[55:56], v[53:54]
	v_fma_f64 v[55:56], -v[35:36], v[53:54], 1.0
	v_fma_f64 v[53:54], v[53:54], v[55:56], v[53:54]
	v_mul_f64 v[55:56], v[57:58], v[53:54]
	v_fma_f64 v[35:36], -v[35:36], v[55:56], v[57:58]
	v_div_fmas_f64 v[35:36], v[35:36], v[53:54], v[55:56]
	v_div_fixup_f64 v[31:32], v[35:36], v[33:34], v[31:32]
	v_fma_f64 v[31:32], v[31:32], v[31:32], 1.0
	v_cmp_gt_f64_e32 vcc_lo, 0x10000000, v[31:32]
	v_cndmask_b32_e64 v21, 0, 0x100, vcc_lo
	v_ldexp_f64 v[31:32], v[31:32], v21
	v_cndmask_b32_e64 v21, 0, 0xffffff80, vcc_lo
	v_rsq_f64_e32 v[35:36], v[31:32]
	v_cmp_class_f64_e64 vcc_lo, v[31:32], 0x260
	v_mul_f64 v[53:54], v[31:32], v[35:36]
	v_mul_f64 v[35:36], v[35:36], 0.5
	v_fma_f64 v[55:56], -v[35:36], v[53:54], 0.5
	v_fma_f64 v[53:54], v[53:54], v[55:56], v[53:54]
	v_fma_f64 v[35:36], v[35:36], v[55:56], v[35:36]
	v_fma_f64 v[55:56], -v[53:54], v[53:54], v[31:32]
	v_fma_f64 v[53:54], v[55:56], v[35:36], v[53:54]
	v_fma_f64 v[55:56], -v[53:54], v[53:54], v[31:32]
	v_fma_f64 v[35:36], v[55:56], v[35:36], v[53:54]
	v_ldexp_f64 v[35:36], v[35:36], v21
	v_cndmask_b32_e32 v32, v36, v32, vcc_lo
	v_cndmask_b32_e32 v31, v35, v31, vcc_lo
	v_mul_f64 v[35:36], v[33:34], v[31:32]
.LBB52_26:                              ;   in Loop: Header=BB52_14 Depth=3
	s_or_b32 exec_lo, exec_lo, s75
                                        ; implicit-def: $vgpr31_vgpr32
                                        ; implicit-def: $vgpr33_vgpr34
.LBB52_27:                              ;   in Loop: Header=BB52_14 Depth=3
	s_andn2_saveexec_b32 s74, s74
	s_cbranch_execz .LBB52_29
; %bb.28:                               ;   in Loop: Header=BB52_14 Depth=3
	v_div_scale_f64 v[35:36], null, v[31:32], v[31:32], v[33:34]
	v_div_scale_f64 v[57:58], vcc_lo, v[33:34], v[31:32], v[33:34]
	v_rcp_f64_e32 v[53:54], v[35:36]
	v_fma_f64 v[55:56], -v[35:36], v[53:54], 1.0
	v_fma_f64 v[53:54], v[53:54], v[55:56], v[53:54]
	v_fma_f64 v[55:56], -v[35:36], v[53:54], 1.0
	v_fma_f64 v[53:54], v[53:54], v[55:56], v[53:54]
	v_mul_f64 v[55:56], v[57:58], v[53:54]
	v_fma_f64 v[35:36], -v[35:36], v[55:56], v[57:58]
	v_div_fmas_f64 v[35:36], v[35:36], v[53:54], v[55:56]
	v_div_fixup_f64 v[33:34], v[35:36], v[31:32], v[33:34]
	v_fma_f64 v[33:34], v[33:34], v[33:34], 1.0
	v_cmp_gt_f64_e32 vcc_lo, 0x10000000, v[33:34]
	v_cndmask_b32_e64 v21, 0, 0x100, vcc_lo
	v_ldexp_f64 v[33:34], v[33:34], v21
	v_cndmask_b32_e64 v21, 0, 0xffffff80, vcc_lo
	v_rsq_f64_e32 v[35:36], v[33:34]
	v_cmp_class_f64_e64 vcc_lo, v[33:34], 0x260
	v_mul_f64 v[53:54], v[33:34], v[35:36]
	v_mul_f64 v[35:36], v[35:36], 0.5
	v_fma_f64 v[55:56], -v[35:36], v[53:54], 0.5
	v_fma_f64 v[53:54], v[53:54], v[55:56], v[53:54]
	v_fma_f64 v[35:36], v[35:36], v[55:56], v[35:36]
	v_fma_f64 v[55:56], -v[53:54], v[53:54], v[33:34]
	v_fma_f64 v[53:54], v[55:56], v[35:36], v[53:54]
	v_fma_f64 v[55:56], -v[53:54], v[53:54], v[33:34]
	v_fma_f64 v[35:36], v[55:56], v[35:36], v[53:54]
	v_ldexp_f64 v[35:36], v[35:36], v21
	v_cndmask_b32_e32 v34, v36, v34, vcc_lo
	v_cndmask_b32_e32 v33, v35, v33, vcc_lo
	v_mul_f64 v[35:36], v[31:32], v[33:34]
.LBB52_29:                              ;   in Loop: Header=BB52_14 Depth=3
	s_or_b32 exec_lo, exec_lo, s74
	v_mov_b32_e32 v31, 0
	v_mov_b32_e32 v33, 0
	;; [unrolled: 1-line block ×4, first 2 shown]
	s_mov_b32 s74, exec_lo
	v_cmpx_lt_f64_e32 0, v[35:36]
	s_cbranch_execz .LBB52_31
; %bb.30:                               ;   in Loop: Header=BB52_14 Depth=3
	v_mul_f64 v[31:32], v[11:12], v[11:12]
	v_fma_f64 v[31:32], v[9:10], v[9:10], v[31:32]
	v_div_scale_f64 v[33:34], null, v[31:32], v[31:32], 1.0
	v_div_scale_f64 v[55:56], vcc_lo, 1.0, v[31:32], 1.0
	v_rcp_f64_e32 v[35:36], v[33:34]
	v_fma_f64 v[53:54], -v[33:34], v[35:36], 1.0
	v_fma_f64 v[35:36], v[35:36], v[53:54], v[35:36]
	v_fma_f64 v[53:54], -v[33:34], v[35:36], 1.0
	v_fma_f64 v[35:36], v[35:36], v[53:54], v[35:36]
	v_mul_f64 v[53:54], v[55:56], v[35:36]
	v_fma_f64 v[33:34], -v[33:34], v[53:54], v[55:56]
	v_mul_f64 v[55:56], v[7:8], v[11:12]
	v_mul_f64 v[11:12], v[11:12], -v[5:6]
	v_div_fmas_f64 v[33:34], v[33:34], v[35:36], v[53:54]
	v_fma_f64 v[5:6], v[5:6], v[9:10], v[55:56]
	v_fma_f64 v[7:8], v[7:8], v[9:10], v[11:12]
	v_div_fixup_f64 v[31:32], v[33:34], v[31:32], 1.0
	v_mul_f64 v[33:34], v[5:6], v[31:32]
	v_mul_f64 v[31:32], v[7:8], v[31:32]
.LBB52_31:                              ;   in Loop: Header=BB52_14 Depth=3
	s_or_b32 exec_lo, exec_lo, s74
	v_mov_b32_e32 v7, v31
	v_mov_b32_e32 v5, v33
	;; [unrolled: 1-line block ×4, first 2 shown]
.LBB52_32:                              ;   in Loop: Header=BB52_14 Depth=3
	s_or_b32 exec_lo, exec_lo, s73
	v_cmp_gt_f64_e32 vcc_lo, 0, v[5:6]
	v_xor_b32_e32 v10, 0x80000000, v6
	v_xor_b32_e32 v11, 0x80000000, v8
	v_mov_b32_e32 v9, v5
	s_mov_b32 s73, exec_lo
                                        ; implicit-def: $vgpr31_vgpr32
	v_cndmask_b32_e32 v10, v6, v10, vcc_lo
	v_cmp_gt_f64_e32 vcc_lo, 0, v[7:8]
	v_cndmask_b32_e32 v12, v8, v11, vcc_lo
	v_mov_b32_e32 v11, v7
	v_cmpx_ngt_f64_e32 v[9:10], v[11:12]
	s_xor_b32 s73, exec_lo, s73
	s_cbranch_execnz .LBB52_36
; %bb.33:                               ;   in Loop: Header=BB52_14 Depth=3
	s_andn2_saveexec_b32 s73, s73
	s_cbranch_execnz .LBB52_39
.LBB52_34:                              ;   in Loop: Header=BB52_14 Depth=3
	s_or_b32 exec_lo, exec_lo, s73
	v_cmp_class_f64_e64 s73, v[31:32], 0x1f8
	s_and_saveexec_b32 s74, s73
	s_cbranch_execnz .LBB52_40
.LBB52_35:                              ;   in Loop: Header=BB52_14 Depth=3
	s_or_b32 exec_lo, exec_lo, s74
	s_and_b32 s73, s33, s73
	s_and_saveexec_b32 s11, s73
	s_cbranch_execz .LBB52_13
	s_branch .LBB52_81
.LBB52_36:                              ;   in Loop: Header=BB52_14 Depth=3
	v_mov_b32_e32 v31, 0
	v_mov_b32_e32 v32, 0
	s_mov_b32 s74, exec_lo
	v_cmpx_neq_f64_e32 0, v[7:8]
	s_cbranch_execz .LBB52_38
; %bb.37:                               ;   in Loop: Header=BB52_14 Depth=3
	v_div_scale_f64 v[31:32], null, v[11:12], v[11:12], v[9:10]
	v_div_scale_f64 v[53:54], vcc_lo, v[9:10], v[11:12], v[9:10]
	v_rcp_f64_e32 v[33:34], v[31:32]
	v_fma_f64 v[35:36], -v[31:32], v[33:34], 1.0
	v_fma_f64 v[33:34], v[33:34], v[35:36], v[33:34]
	v_fma_f64 v[35:36], -v[31:32], v[33:34], 1.0
	v_fma_f64 v[33:34], v[33:34], v[35:36], v[33:34]
	v_mul_f64 v[35:36], v[53:54], v[33:34]
	v_fma_f64 v[31:32], -v[31:32], v[35:36], v[53:54]
	v_div_fmas_f64 v[31:32], v[31:32], v[33:34], v[35:36]
	v_div_fixup_f64 v[9:10], v[31:32], v[11:12], v[9:10]
	v_fma_f64 v[9:10], v[9:10], v[9:10], 1.0
	v_cmp_gt_f64_e32 vcc_lo, 0x10000000, v[9:10]
	v_cndmask_b32_e64 v21, 0, 0x100, vcc_lo
	v_ldexp_f64 v[9:10], v[9:10], v21
	v_cndmask_b32_e64 v21, 0, 0xffffff80, vcc_lo
	v_rsq_f64_e32 v[31:32], v[9:10]
	v_cmp_class_f64_e64 vcc_lo, v[9:10], 0x260
	v_mul_f64 v[33:34], v[9:10], v[31:32]
	v_mul_f64 v[31:32], v[31:32], 0.5
	v_fma_f64 v[35:36], -v[31:32], v[33:34], 0.5
	v_fma_f64 v[33:34], v[33:34], v[35:36], v[33:34]
	v_fma_f64 v[31:32], v[31:32], v[35:36], v[31:32]
	v_fma_f64 v[35:36], -v[33:34], v[33:34], v[9:10]
	v_fma_f64 v[33:34], v[35:36], v[31:32], v[33:34]
	v_fma_f64 v[35:36], -v[33:34], v[33:34], v[9:10]
	v_fma_f64 v[31:32], v[35:36], v[31:32], v[33:34]
	v_ldexp_f64 v[31:32], v[31:32], v21
	v_cndmask_b32_e32 v10, v32, v10, vcc_lo
	v_cndmask_b32_e32 v9, v31, v9, vcc_lo
	v_mul_f64 v[31:32], v[11:12], v[9:10]
.LBB52_38:                              ;   in Loop: Header=BB52_14 Depth=3
	s_or_b32 exec_lo, exec_lo, s74
                                        ; implicit-def: $vgpr9_vgpr10
                                        ; implicit-def: $vgpr11_vgpr12
	s_andn2_saveexec_b32 s73, s73
	s_cbranch_execz .LBB52_34
.LBB52_39:                              ;   in Loop: Header=BB52_14 Depth=3
	v_div_scale_f64 v[31:32], null, v[9:10], v[9:10], v[11:12]
	v_div_scale_f64 v[53:54], vcc_lo, v[11:12], v[9:10], v[11:12]
	v_rcp_f64_e32 v[33:34], v[31:32]
	v_fma_f64 v[35:36], -v[31:32], v[33:34], 1.0
	v_fma_f64 v[33:34], v[33:34], v[35:36], v[33:34]
	v_fma_f64 v[35:36], -v[31:32], v[33:34], 1.0
	v_fma_f64 v[33:34], v[33:34], v[35:36], v[33:34]
	v_mul_f64 v[35:36], v[53:54], v[33:34]
	v_fma_f64 v[31:32], -v[31:32], v[35:36], v[53:54]
	v_div_fmas_f64 v[31:32], v[31:32], v[33:34], v[35:36]
	v_div_fixup_f64 v[11:12], v[31:32], v[9:10], v[11:12]
	v_fma_f64 v[11:12], v[11:12], v[11:12], 1.0
	v_cmp_gt_f64_e32 vcc_lo, 0x10000000, v[11:12]
	v_cndmask_b32_e64 v21, 0, 0x100, vcc_lo
	v_ldexp_f64 v[11:12], v[11:12], v21
	v_cndmask_b32_e64 v21, 0, 0xffffff80, vcc_lo
	v_rsq_f64_e32 v[31:32], v[11:12]
	v_cmp_class_f64_e64 vcc_lo, v[11:12], 0x260
	v_mul_f64 v[33:34], v[11:12], v[31:32]
	v_mul_f64 v[31:32], v[31:32], 0.5
	v_fma_f64 v[35:36], -v[31:32], v[33:34], 0.5
	v_fma_f64 v[33:34], v[33:34], v[35:36], v[33:34]
	v_fma_f64 v[31:32], v[31:32], v[35:36], v[31:32]
	v_fma_f64 v[35:36], -v[33:34], v[33:34], v[11:12]
	v_fma_f64 v[33:34], v[35:36], v[31:32], v[33:34]
	v_fma_f64 v[35:36], -v[33:34], v[33:34], v[11:12]
	v_fma_f64 v[31:32], v[35:36], v[31:32], v[33:34]
	v_ldexp_f64 v[31:32], v[31:32], v21
	v_cndmask_b32_e32 v12, v32, v12, vcc_lo
	v_cndmask_b32_e32 v11, v31, v11, vcc_lo
	v_mul_f64 v[31:32], v[9:10], v[11:12]
	s_or_b32 exec_lo, exec_lo, s73
	v_cmp_class_f64_e64 s73, v[31:32], 0x1f8
	s_and_saveexec_b32 s74, s73
	s_cbranch_execz .LBB52_35
.LBB52_40:                              ;   in Loop: Header=BB52_14 Depth=3
	s_and_saveexec_b32 s75, s11
	s_xor_b32 s11, exec_lo, s75
	s_cbranch_execz .LBB52_65
; %bb.41:                               ;   in Loop: Header=BB52_14 Depth=3
	s_mov_b32 s75, exec_lo
	v_cmpx_ge_i32_e64 v19, v23
	s_xor_b32 s75, exec_lo, s75
	s_cbranch_execz .LBB52_49
; %bb.42:                               ;   in Loop: Header=BB52_14 Depth=3
	v_lshlrev_b64 v[9:10], 4, v[23:24]
	v_add_co_u32 v11, vcc_lo, s50, v9
	v_add_co_ci_u32_e64 v12, null, s51, v10, vcc_lo
	s_andn2_b32 vcc_lo, exec_lo, s58
	global_store_dwordx4 v[11:12], v[5:8], off
	s_cbranch_vccnz .LBB52_48
; %bb.43:                               ;   in Loop: Header=BB52_14 Depth=3
	v_add_co_u32 v9, vcc_lo, s48, v9
	v_add_co_ci_u32_e64 v10, null, s49, v10, vcc_lo
	s_mov_b32 s76, exec_lo
	global_load_dwordx4 v[9:12], v[9:10], off
	s_waitcnt vmcnt(0)
	v_add_f64 v[5:6], v[9:10], -v[5:6]
	v_add_f64 v[11:12], v[11:12], -v[7:8]
                                        ; implicit-def: $vgpr9_vgpr10
	v_cmp_gt_f64_e32 vcc_lo, 0, v[5:6]
	v_xor_b32_e32 v7, 0x80000000, v6
	v_xor_b32_e32 v8, 0x80000000, v12
	v_cndmask_b32_e32 v6, v6, v7, vcc_lo
	v_cmp_gt_f64_e32 vcc_lo, 0, v[11:12]
	v_mov_b32_e32 v7, v11
	v_cndmask_b32_e32 v8, v12, v8, vcc_lo
	v_cmpx_ngt_f64_e32 v[5:6], v[7:8]
	s_xor_b32 s76, exec_lo, s76
	s_cbranch_execnz .LBB52_109
; %bb.44:                               ;   in Loop: Header=BB52_14 Depth=3
	s_andn2_saveexec_b32 s76, s76
	s_cbranch_execnz .LBB52_112
.LBB52_45:                              ;   in Loop: Header=BB52_14 Depth=3
	s_or_b32 exec_lo, exec_lo, s76
	v_cmp_class_f64_e64 s77, v[9:10], 0x1f8
	s_and_saveexec_b32 s76, s77
.LBB52_46:                              ;   in Loop: Header=BB52_14 Depth=3
	v_cmp_lt_f64_e32 vcc_lo, v[15:16], v[9:10]
	v_cndmask_b32_e32 v16, v16, v10, vcc_lo
	v_cndmask_b32_e32 v15, v15, v9, vcc_lo
.LBB52_47:                              ;   in Loop: Header=BB52_14 Depth=3
	s_or_b32 exec_lo, exec_lo, s76
.LBB52_48:                              ;   in Loop: Header=BB52_14 Depth=3
                                        ; implicit-def: $vgpr5_vgpr6
.LBB52_49:                              ;   in Loop: Header=BB52_14 Depth=3
	s_andn2_saveexec_b32 s75, s75
	s_cbranch_execz .LBB52_64
; %bb.50:                               ;   in Loop: Header=BB52_14 Depth=3
	s_mov_b32 s76, exec_lo
	v_cmpx_lt_i32_e64 v30, v52
	s_cbranch_execz .LBB52_63
; %bb.51:                               ;   in Loop: Header=BB52_14 Depth=3
	v_mov_b32_e32 v11, v30
	s_mov_b32 s77, 0
                                        ; implicit-def: $sgpr78
                                        ; implicit-def: $sgpr80
                                        ; implicit-def: $sgpr79
	s_inst_prefetch 0x1
	s_branch .LBB52_53
	.p2align	6
.LBB52_52:                              ;   in Loop: Header=BB52_53 Depth=4
	s_or_b32 exec_lo, exec_lo, s81
	s_and_b32 s81, exec_lo, s80
	s_or_b32 s77, s81, s77
	s_andn2_b32 s78, s78, exec_lo
	s_and_b32 s81, s79, exec_lo
	s_or_b32 s78, s78, s81
	s_andn2_b32 exec_lo, exec_lo, s77
	s_cbranch_execz .LBB52_55
.LBB52_53:                              ;   Parent Loop BB52_5 Depth=1
                                        ;     Parent Loop BB52_9 Depth=2
                                        ;       Parent Loop BB52_14 Depth=3
                                        ; =>      This Inner Loop Header: Depth=4
	v_add_nc_u32_e32 v9, v29, v11
	s_or_b32 s79, s79, exec_lo
	s_or_b32 s80, s80, exec_lo
	s_mov_b32 s81, exec_lo
	v_ashrrev_i32_e32 v10, 31, v9
	v_lshlrev_b64 v[31:32], 2, v[9:10]
	v_add_co_u32 v31, vcc_lo, s16, v31
	v_add_co_ci_u32_e64 v32, null, s17, v32, vcc_lo
	global_load_dword v12, v[31:32], off
	s_waitcnt vmcnt(0)
	v_subrev_nc_u32_e32 v12, s64, v12
	v_cmpx_ne_u32_e64 v12, v19
	s_cbranch_execz .LBB52_52
; %bb.54:                               ;   in Loop: Header=BB52_53 Depth=4
	v_add_nc_u32_e32 v11, 1, v11
	s_andn2_b32 s80, s80, exec_lo
	s_andn2_b32 s79, s79, exec_lo
	v_cmp_ge_i32_e32 vcc_lo, v11, v52
	s_and_b32 s82, vcc_lo, exec_lo
	s_or_b32 s80, s80, s82
	s_branch .LBB52_52
.LBB52_55:                              ;   in Loop: Header=BB52_14 Depth=3
	s_inst_prefetch 0x2
	s_or_b32 exec_lo, exec_lo, s77
	s_and_saveexec_b32 s77, s78
	s_xor_b32 s77, exec_lo, s77
	s_cbranch_execz .LBB52_62
; %bb.56:                               ;   in Loop: Header=BB52_14 Depth=3
	v_lshlrev_b64 v[9:10], 4, v[9:10]
	v_add_co_u32 v11, vcc_lo, s52, v9
	v_add_co_ci_u32_e64 v12, null, s53, v10, vcc_lo
	s_andn2_b32 vcc_lo, exec_lo, s58
	global_store_dwordx4 v[11:12], v[5:8], off
	s_cbranch_vccnz .LBB52_62
; %bb.57:                               ;   in Loop: Header=BB52_14 Depth=3
	v_add_co_u32 v9, vcc_lo, s18, v9
	v_add_co_ci_u32_e64 v10, null, s19, v10, vcc_lo
	s_mov_b32 s78, exec_lo
	global_load_dwordx4 v[9:12], v[9:10], off
	s_waitcnt vmcnt(0)
	v_add_f64 v[5:6], v[9:10], -v[5:6]
	v_add_f64 v[11:12], v[11:12], -v[7:8]
                                        ; implicit-def: $vgpr9_vgpr10
	v_cmp_gt_f64_e32 vcc_lo, 0, v[5:6]
	v_xor_b32_e32 v7, 0x80000000, v6
	v_xor_b32_e32 v8, 0x80000000, v12
	v_cndmask_b32_e32 v6, v6, v7, vcc_lo
	v_cmp_gt_f64_e32 vcc_lo, 0, v[11:12]
	v_mov_b32_e32 v7, v11
	v_cndmask_b32_e32 v8, v12, v8, vcc_lo
	v_cmpx_ngt_f64_e32 v[5:6], v[7:8]
	s_xor_b32 s78, exec_lo, s78
	s_cbranch_execnz .LBB52_117
; %bb.58:                               ;   in Loop: Header=BB52_14 Depth=3
	s_andn2_saveexec_b32 s78, s78
	s_cbranch_execnz .LBB52_120
.LBB52_59:                              ;   in Loop: Header=BB52_14 Depth=3
	s_or_b32 exec_lo, exec_lo, s78
	v_cmp_class_f64_e64 s79, v[9:10], 0x1f8
	s_and_saveexec_b32 s78, s79
.LBB52_60:                              ;   in Loop: Header=BB52_14 Depth=3
	v_cmp_lt_f64_e32 vcc_lo, v[15:16], v[9:10]
	v_cndmask_b32_e32 v16, v16, v10, vcc_lo
	v_cndmask_b32_e32 v15, v15, v9, vcc_lo
.LBB52_61:                              ;   in Loop: Header=BB52_14 Depth=3
	s_or_b32 exec_lo, exec_lo, s78
.LBB52_62:                              ;   in Loop: Header=BB52_14 Depth=3
	s_or_b32 exec_lo, exec_lo, s77
.LBB52_63:                              ;   in Loop: Header=BB52_14 Depth=3
	s_or_b32 exec_lo, exec_lo, s76
.LBB52_64:                              ;   in Loop: Header=BB52_14 Depth=3
	s_or_b32 exec_lo, exec_lo, s75
                                        ; implicit-def: $vgpr5_vgpr6
.LBB52_65:                              ;   in Loop: Header=BB52_14 Depth=3
	s_andn2_saveexec_b32 s11, s11
	s_cbranch_execz .LBB52_80
; %bb.66:                               ;   in Loop: Header=BB52_14 Depth=3
	s_mov_b32 s75, exec_lo
	v_cmpx_lt_i32_e64 v17, v47
	s_cbranch_execz .LBB52_79
; %bb.67:                               ;   in Loop: Header=BB52_14 Depth=3
	v_mov_b32_e32 v11, v17
	s_mov_b32 s76, 0
                                        ; implicit-def: $sgpr77
                                        ; implicit-def: $sgpr79
                                        ; implicit-def: $sgpr78
	s_inst_prefetch 0x1
	s_branch .LBB52_69
	.p2align	6
.LBB52_68:                              ;   in Loop: Header=BB52_69 Depth=4
	s_or_b32 exec_lo, exec_lo, s80
	s_and_b32 s80, exec_lo, s79
	s_or_b32 s76, s80, s76
	s_andn2_b32 s77, s77, exec_lo
	s_and_b32 s80, s78, exec_lo
	s_or_b32 s77, s77, s80
	s_andn2_b32 exec_lo, exec_lo, s76
	s_cbranch_execz .LBB52_71
.LBB52_69:                              ;   Parent Loop BB52_5 Depth=1
                                        ;     Parent Loop BB52_9 Depth=2
                                        ;       Parent Loop BB52_14 Depth=3
                                        ; =>      This Inner Loop Header: Depth=4
	v_add_nc_u32_e32 v9, v22, v11
	s_or_b32 s78, s78, exec_lo
	s_or_b32 s79, s79, exec_lo
	s_mov_b32 s80, exec_lo
	v_ashrrev_i32_e32 v10, 31, v9
	v_lshlrev_b64 v[31:32], 2, v[9:10]
	v_add_co_u32 v31, vcc_lo, s24, v31
	v_add_co_ci_u32_e64 v32, null, s25, v32, vcc_lo
	global_load_dword v12, v[31:32], off
	s_waitcnt vmcnt(0)
	v_subrev_nc_u32_e32 v12, s63, v12
	v_cmpx_ne_u32_e64 v12, v23
	s_cbranch_execz .LBB52_68
; %bb.70:                               ;   in Loop: Header=BB52_69 Depth=4
	v_add_nc_u32_e32 v11, 1, v11
	s_andn2_b32 s79, s79, exec_lo
	s_andn2_b32 s78, s78, exec_lo
	v_cmp_ge_i32_e32 vcc_lo, v11, v47
	s_and_b32 s81, vcc_lo, exec_lo
	s_or_b32 s79, s79, s81
	s_branch .LBB52_68
.LBB52_71:                              ;   in Loop: Header=BB52_14 Depth=3
	s_inst_prefetch 0x2
	s_or_b32 exec_lo, exec_lo, s76
	s_and_saveexec_b32 s76, s77
	s_xor_b32 s76, exec_lo, s76
	s_cbranch_execz .LBB52_78
; %bb.72:                               ;   in Loop: Header=BB52_14 Depth=3
	v_lshlrev_b64 v[9:10], 4, v[9:10]
	v_add_co_u32 v11, vcc_lo, s54, v9
	v_add_co_ci_u32_e64 v12, null, s55, v10, vcc_lo
	s_andn2_b32 vcc_lo, exec_lo, s58
	global_store_dwordx4 v[11:12], v[5:8], off
	s_cbranch_vccnz .LBB52_78
; %bb.73:                               ;   in Loop: Header=BB52_14 Depth=3
	v_add_co_u32 v9, vcc_lo, s26, v9
	v_add_co_ci_u32_e64 v10, null, s27, v10, vcc_lo
	s_mov_b32 s77, exec_lo
	global_load_dwordx4 v[9:12], v[9:10], off
	s_waitcnt vmcnt(0)
	v_add_f64 v[5:6], v[9:10], -v[5:6]
	v_add_f64 v[11:12], v[11:12], -v[7:8]
                                        ; implicit-def: $vgpr9_vgpr10
	v_cmp_gt_f64_e32 vcc_lo, 0, v[5:6]
	v_xor_b32_e32 v7, 0x80000000, v6
	v_xor_b32_e32 v8, 0x80000000, v12
	v_cndmask_b32_e32 v6, v6, v7, vcc_lo
	v_cmp_gt_f64_e32 vcc_lo, 0, v[11:12]
	v_mov_b32_e32 v7, v11
	v_cndmask_b32_e32 v8, v12, v8, vcc_lo
	v_cmpx_ngt_f64_e32 v[5:6], v[7:8]
	s_xor_b32 s77, exec_lo, s77
	s_cbranch_execnz .LBB52_113
; %bb.74:                               ;   in Loop: Header=BB52_14 Depth=3
	s_andn2_saveexec_b32 s77, s77
	s_cbranch_execnz .LBB52_116
.LBB52_75:                              ;   in Loop: Header=BB52_14 Depth=3
	s_or_b32 exec_lo, exec_lo, s77
	v_cmp_class_f64_e64 s78, v[9:10], 0x1f8
	s_and_saveexec_b32 s77, s78
.LBB52_76:                              ;   in Loop: Header=BB52_14 Depth=3
	v_cmp_lt_f64_e32 vcc_lo, v[15:16], v[9:10]
	v_cndmask_b32_e32 v16, v16, v10, vcc_lo
	v_cndmask_b32_e32 v15, v15, v9, vcc_lo
.LBB52_77:                              ;   in Loop: Header=BB52_14 Depth=3
	s_or_b32 exec_lo, exec_lo, s77
.LBB52_78:                              ;   in Loop: Header=BB52_14 Depth=3
	s_or_b32 exec_lo, exec_lo, s76
.LBB52_79:                              ;   in Loop: Header=BB52_14 Depth=3
	s_or_b32 exec_lo, exec_lo, s75
.LBB52_80:                              ;   in Loop: Header=BB52_14 Depth=3
	s_or_b32 exec_lo, exec_lo, s11
	s_or_b32 exec_lo, exec_lo, s74
	s_and_b32 s73, s33, s73
	s_and_saveexec_b32 s11, s73
	s_cbranch_execz .LBB52_13
.LBB52_81:                              ;   in Loop: Header=BB52_14 Depth=3
	s_mov_b32 s73, exec_lo
	v_cmpx_ge_i32_e64 v30, v52
	s_xor_b32 s73, exec_lo, s73
	s_cbranch_execnz .LBB52_88
; %bb.82:                               ;   in Loop: Header=BB52_14 Depth=3
	s_andn2_saveexec_b32 s73, s73
	s_cbranch_execnz .LBB52_102
.LBB52_83:                              ;   in Loop: Header=BB52_14 Depth=3
	s_or_b32 exec_lo, exec_lo, s73
	s_mov_b32 s73, exec_lo
	v_cmpx_eq_u32_e64 v19, v23
	s_cbranch_execz .LBB52_85
.LBB52_84:                              ;   in Loop: Header=BB52_14 Depth=3
	v_lshlrev_b64 v[5:6], 4, v[23:24]
	v_add_co_u32 v5, vcc_lo, s48, v5
	v_add_co_ci_u32_e64 v6, null, s49, v6, vcc_lo
	global_load_dwordx4 v[5:8], v[5:6], off
	s_waitcnt vmcnt(0)
	v_add_f64 v[25:26], v[25:26], v[5:6]
	v_add_f64 v[27:28], v[27:28], v[7:8]
.LBB52_85:                              ;   in Loop: Header=BB52_14 Depth=3
	s_or_b32 exec_lo, exec_lo, s73
	v_add_f64 v[1:2], v[1:2], -v[25:26]
	v_add_f64 v[7:8], v[3:4], -v[27:28]
	s_mov_b32 s73, exec_lo
                                        ; implicit-def: $vgpr5_vgpr6
	v_cmp_gt_f64_e32 vcc_lo, 0, v[1:2]
	v_xor_b32_e32 v3, 0x80000000, v2
	v_xor_b32_e32 v4, 0x80000000, v8
	v_cndmask_b32_e32 v2, v2, v3, vcc_lo
	v_cmp_gt_f64_e32 vcc_lo, 0, v[7:8]
	v_mov_b32_e32 v3, v7
	v_cndmask_b32_e32 v4, v8, v4, vcc_lo
	v_cmpx_ngt_f64_e32 v[1:2], v[3:4]
	s_xor_b32 s73, exec_lo, s73
	s_cbranch_execnz .LBB52_93
; %bb.86:                               ;   in Loop: Header=BB52_14 Depth=3
	s_andn2_saveexec_b32 s73, s73
	s_cbranch_execnz .LBB52_96
.LBB52_87:                              ;   in Loop: Header=BB52_14 Depth=3
	s_or_b32 exec_lo, exec_lo, s73
	v_cmp_class_f64_e64 s74, v[5:6], 0x1f8
	s_and_saveexec_b32 s73, s74
	s_cbranch_execz .LBB52_12
	s_branch .LBB52_97
.LBB52_88:                              ;   in Loop: Header=BB52_14 Depth=3
	s_mov_b32 s74, exec_lo
	v_cmpx_lt_i32_e64 v17, v47
	s_cbranch_execz .LBB52_101
; %bb.89:                               ;   in Loop: Header=BB52_14 Depth=3
	s_mov_b32 s76, 0
                                        ; implicit-def: $sgpr75
                                        ; implicit-def: $sgpr78
                                        ; implicit-def: $sgpr77
	s_inst_prefetch 0x1
	s_branch .LBB52_91
	.p2align	6
.LBB52_90:                              ;   in Loop: Header=BB52_91 Depth=4
	s_or_b32 exec_lo, exec_lo, s79
	s_and_b32 s79, exec_lo, s78
	s_or_b32 s76, s79, s76
	s_andn2_b32 s75, s75, exec_lo
	s_and_b32 s79, s77, exec_lo
	s_or_b32 s75, s75, s79
	s_andn2_b32 exec_lo, exec_lo, s76
	s_cbranch_execz .LBB52_98
.LBB52_91:                              ;   Parent Loop BB52_5 Depth=1
                                        ;     Parent Loop BB52_9 Depth=2
                                        ;       Parent Loop BB52_14 Depth=3
                                        ; =>      This Inner Loop Header: Depth=4
	v_add_nc_u32_e32 v5, v22, v17
	s_or_b32 s77, s77, exec_lo
	s_or_b32 s78, s78, exec_lo
	s_mov_b32 s79, exec_lo
	v_ashrrev_i32_e32 v6, 31, v5
	v_lshlrev_b64 v[7:8], 2, v[5:6]
	v_add_co_u32 v7, vcc_lo, s24, v7
	v_add_co_ci_u32_e64 v8, null, s25, v8, vcc_lo
	global_load_dword v7, v[7:8], off
	s_waitcnt vmcnt(0)
	v_subrev_nc_u32_e32 v7, s63, v7
	v_cmpx_ne_u32_e64 v7, v23
	s_cbranch_execz .LBB52_90
; %bb.92:                               ;   in Loop: Header=BB52_91 Depth=4
	v_add_nc_u32_e32 v17, 1, v17
	s_andn2_b32 s78, s78, exec_lo
	s_andn2_b32 s77, s77, exec_lo
	v_cmp_ge_i32_e32 vcc_lo, v17, v47
	s_and_b32 s80, vcc_lo, exec_lo
	s_or_b32 s78, s78, s80
	s_branch .LBB52_90
.LBB52_93:                              ;   in Loop: Header=BB52_14 Depth=3
	v_mov_b32_e32 v5, 0
	v_mov_b32_e32 v6, 0
	s_mov_b32 s74, exec_lo
	v_cmpx_neq_f64_e32 0, v[7:8]
	s_cbranch_execz .LBB52_95
; %bb.94:                               ;   in Loop: Header=BB52_14 Depth=3
	v_div_scale_f64 v[5:6], null, v[3:4], v[3:4], v[1:2]
	v_div_scale_f64 v[11:12], vcc_lo, v[1:2], v[3:4], v[1:2]
	v_rcp_f64_e32 v[7:8], v[5:6]
	v_fma_f64 v[9:10], -v[5:6], v[7:8], 1.0
	v_fma_f64 v[7:8], v[7:8], v[9:10], v[7:8]
	v_fma_f64 v[9:10], -v[5:6], v[7:8], 1.0
	v_fma_f64 v[7:8], v[7:8], v[9:10], v[7:8]
	v_mul_f64 v[9:10], v[11:12], v[7:8]
	v_fma_f64 v[5:6], -v[5:6], v[9:10], v[11:12]
	v_div_fmas_f64 v[5:6], v[5:6], v[7:8], v[9:10]
	v_div_fixup_f64 v[1:2], v[5:6], v[3:4], v[1:2]
	v_fma_f64 v[1:2], v[1:2], v[1:2], 1.0
	v_cmp_gt_f64_e32 vcc_lo, 0x10000000, v[1:2]
	v_cndmask_b32_e64 v5, 0, 0x100, vcc_lo
	v_ldexp_f64 v[1:2], v[1:2], v5
	v_rsq_f64_e32 v[5:6], v[1:2]
	v_mul_f64 v[7:8], v[1:2], v[5:6]
	v_mul_f64 v[5:6], v[5:6], 0.5
	v_fma_f64 v[9:10], -v[5:6], v[7:8], 0.5
	v_fma_f64 v[7:8], v[7:8], v[9:10], v[7:8]
	v_fma_f64 v[5:6], v[5:6], v[9:10], v[5:6]
	v_fma_f64 v[9:10], -v[7:8], v[7:8], v[1:2]
	v_fma_f64 v[7:8], v[9:10], v[5:6], v[7:8]
	v_fma_f64 v[9:10], -v[7:8], v[7:8], v[1:2]
	v_fma_f64 v[5:6], v[9:10], v[5:6], v[7:8]
	v_cndmask_b32_e64 v7, 0, 0xffffff80, vcc_lo
	v_cmp_class_f64_e64 vcc_lo, v[1:2], 0x260
	v_ldexp_f64 v[5:6], v[5:6], v7
	v_cndmask_b32_e32 v2, v6, v2, vcc_lo
	v_cndmask_b32_e32 v1, v5, v1, vcc_lo
	v_mul_f64 v[5:6], v[3:4], v[1:2]
.LBB52_95:                              ;   in Loop: Header=BB52_14 Depth=3
	s_or_b32 exec_lo, exec_lo, s74
                                        ; implicit-def: $vgpr1_vgpr2
                                        ; implicit-def: $vgpr3_vgpr4
	s_andn2_saveexec_b32 s73, s73
	s_cbranch_execz .LBB52_87
.LBB52_96:                              ;   in Loop: Header=BB52_14 Depth=3
	v_div_scale_f64 v[5:6], null, v[1:2], v[1:2], v[3:4]
	v_div_scale_f64 v[11:12], vcc_lo, v[3:4], v[1:2], v[3:4]
	v_rcp_f64_e32 v[7:8], v[5:6]
	v_fma_f64 v[9:10], -v[5:6], v[7:8], 1.0
	v_fma_f64 v[7:8], v[7:8], v[9:10], v[7:8]
	v_fma_f64 v[9:10], -v[5:6], v[7:8], 1.0
	v_fma_f64 v[7:8], v[7:8], v[9:10], v[7:8]
	v_mul_f64 v[9:10], v[11:12], v[7:8]
	v_fma_f64 v[5:6], -v[5:6], v[9:10], v[11:12]
	v_div_fmas_f64 v[5:6], v[5:6], v[7:8], v[9:10]
	v_div_fixup_f64 v[3:4], v[5:6], v[1:2], v[3:4]
	v_fma_f64 v[3:4], v[3:4], v[3:4], 1.0
	v_cmp_gt_f64_e32 vcc_lo, 0x10000000, v[3:4]
	v_cndmask_b32_e64 v5, 0, 0x100, vcc_lo
	v_ldexp_f64 v[3:4], v[3:4], v5
	v_rsq_f64_e32 v[5:6], v[3:4]
	v_mul_f64 v[7:8], v[3:4], v[5:6]
	v_mul_f64 v[5:6], v[5:6], 0.5
	v_fma_f64 v[9:10], -v[5:6], v[7:8], 0.5
	v_fma_f64 v[7:8], v[7:8], v[9:10], v[7:8]
	v_fma_f64 v[5:6], v[5:6], v[9:10], v[5:6]
	v_fma_f64 v[9:10], -v[7:8], v[7:8], v[3:4]
	v_fma_f64 v[7:8], v[9:10], v[5:6], v[7:8]
	v_fma_f64 v[9:10], -v[7:8], v[7:8], v[3:4]
	v_fma_f64 v[5:6], v[9:10], v[5:6], v[7:8]
	v_cndmask_b32_e64 v7, 0, 0xffffff80, vcc_lo
	v_cmp_class_f64_e64 vcc_lo, v[3:4], 0x260
	v_ldexp_f64 v[5:6], v[5:6], v7
	v_cndmask_b32_e32 v4, v6, v4, vcc_lo
	v_cndmask_b32_e32 v3, v5, v3, vcc_lo
	v_mul_f64 v[5:6], v[1:2], v[3:4]
	s_or_b32 exec_lo, exec_lo, s73
	v_cmp_class_f64_e64 s74, v[5:6], 0x1f8
	s_and_saveexec_b32 s73, s74
	s_cbranch_execz .LBB52_12
.LBB52_97:                              ;   in Loop: Header=BB52_14 Depth=3
	v_cmp_lt_f64_e32 vcc_lo, v[13:14], v[5:6]
	v_cndmask_b32_e32 v14, v14, v6, vcc_lo
	v_cndmask_b32_e32 v13, v13, v5, vcc_lo
	s_branch .LBB52_12
.LBB52_98:                              ;   in Loop: Header=BB52_14 Depth=3
	s_inst_prefetch 0x2
	s_or_b32 exec_lo, exec_lo, s76
	s_and_saveexec_b32 s76, s75
	s_xor_b32 s75, exec_lo, s76
	s_cbranch_execz .LBB52_100
; %bb.99:                               ;   in Loop: Header=BB52_14 Depth=3
	v_lshlrev_b64 v[7:8], 4, v[23:24]
	v_lshlrev_b64 v[5:6], 4, v[5:6]
	v_add_co_u32 v7, vcc_lo, s48, v7
	v_add_co_ci_u32_e64 v8, null, s49, v8, vcc_lo
	v_add_co_u32 v9, vcc_lo, s26, v5
	v_add_co_ci_u32_e64 v10, null, s27, v6, vcc_lo
	global_load_dwordx4 v[5:8], v[7:8], off
	global_load_dwordx4 v[9:12], v[9:10], off
	s_waitcnt vmcnt(0)
	v_mul_f64 v[29:30], v[7:8], -v[11:12]
	v_mul_f64 v[7:8], v[7:8], v[9:10]
	v_fma_f64 v[9:10], v[9:10], v[5:6], v[29:30]
	v_fma_f64 v[5:6], v[11:12], v[5:6], v[7:8]
	v_add_f64 v[25:26], v[25:26], v[9:10]
	v_add_f64 v[27:28], v[27:28], v[5:6]
.LBB52_100:                             ;   in Loop: Header=BB52_14 Depth=3
	s_or_b32 exec_lo, exec_lo, s75
.LBB52_101:                             ;   in Loop: Header=BB52_14 Depth=3
	s_or_b32 exec_lo, exec_lo, s74
                                        ; implicit-def: $vgpr30
                                        ; implicit-def: $vgpr29
                                        ; implicit-def: $vgpr52
	s_andn2_saveexec_b32 s73, s73
	s_cbranch_execz .LBB52_83
.LBB52_102:                             ;   in Loop: Header=BB52_14 Depth=3
	s_mov_b32 s75, 0
                                        ; implicit-def: $sgpr74
                                        ; implicit-def: $sgpr77
                                        ; implicit-def: $sgpr76
	s_inst_prefetch 0x1
	s_branch .LBB52_104
	.p2align	6
.LBB52_103:                             ;   in Loop: Header=BB52_104 Depth=4
	s_or_b32 exec_lo, exec_lo, s78
	s_and_b32 s78, exec_lo, s77
	s_or_b32 s75, s78, s75
	s_andn2_b32 s74, s74, exec_lo
	s_and_b32 s78, s76, exec_lo
	s_or_b32 s74, s74, s78
	s_andn2_b32 exec_lo, exec_lo, s75
	s_cbranch_execz .LBB52_106
.LBB52_104:                             ;   Parent Loop BB52_5 Depth=1
                                        ;     Parent Loop BB52_9 Depth=2
                                        ;       Parent Loop BB52_14 Depth=3
                                        ; =>      This Inner Loop Header: Depth=4
	v_add_nc_u32_e32 v5, v29, v30
	s_or_b32 s76, s76, exec_lo
	s_or_b32 s77, s77, exec_lo
	s_mov_b32 s78, exec_lo
	v_ashrrev_i32_e32 v6, 31, v5
	v_lshlrev_b64 v[7:8], 2, v[5:6]
	v_add_co_u32 v7, vcc_lo, s16, v7
	v_add_co_ci_u32_e64 v8, null, s17, v8, vcc_lo
	global_load_dword v7, v[7:8], off
	s_waitcnt vmcnt(0)
	v_subrev_nc_u32_e32 v7, s64, v7
	v_cmpx_ne_u32_e64 v7, v19
	s_cbranch_execz .LBB52_103
; %bb.105:                              ;   in Loop: Header=BB52_104 Depth=4
	v_add_nc_u32_e32 v30, 1, v30
	s_andn2_b32 s77, s77, exec_lo
	s_andn2_b32 s76, s76, exec_lo
	v_cmp_ge_i32_e32 vcc_lo, v30, v52
	s_and_b32 s79, vcc_lo, exec_lo
	s_or_b32 s77, s77, s79
	s_branch .LBB52_103
.LBB52_106:                             ;   in Loop: Header=BB52_14 Depth=3
	s_inst_prefetch 0x2
	s_or_b32 exec_lo, exec_lo, s75
	s_and_saveexec_b32 s75, s74
	s_xor_b32 s74, exec_lo, s75
	s_cbranch_execz .LBB52_108
; %bb.107:                              ;   in Loop: Header=BB52_14 Depth=3
	v_lshlrev_b64 v[5:6], 4, v[5:6]
	v_add_co_u32 v5, vcc_lo, s18, v5
	v_add_co_ci_u32_e64 v6, null, s19, v6, vcc_lo
	global_load_dwordx4 v[5:8], v[5:6], off
	s_waitcnt vmcnt(0)
	v_add_f64 v[25:26], v[25:26], v[5:6]
	v_add_f64 v[27:28], v[27:28], v[7:8]
.LBB52_108:                             ;   in Loop: Header=BB52_14 Depth=3
	s_or_b32 exec_lo, exec_lo, s74
	s_or_b32 exec_lo, exec_lo, s73
	s_mov_b32 s73, exec_lo
	v_cmpx_eq_u32_e64 v19, v23
	s_cbranch_execnz .LBB52_84
	s_branch .LBB52_85
.LBB52_109:                             ;   in Loop: Header=BB52_14 Depth=3
	v_mov_b32_e32 v9, 0
	v_mov_b32_e32 v10, 0
	s_mov_b32 s77, exec_lo
	v_cmpx_neq_f64_e32 0, v[11:12]
	s_cbranch_execz .LBB52_111
; %bb.110:                              ;   in Loop: Header=BB52_14 Depth=3
	v_div_scale_f64 v[9:10], null, v[7:8], v[7:8], v[5:6]
	v_div_scale_f64 v[33:34], vcc_lo, v[5:6], v[7:8], v[5:6]
	v_rcp_f64_e32 v[11:12], v[9:10]
	v_fma_f64 v[31:32], -v[9:10], v[11:12], 1.0
	v_fma_f64 v[11:12], v[11:12], v[31:32], v[11:12]
	v_fma_f64 v[31:32], -v[9:10], v[11:12], 1.0
	v_fma_f64 v[11:12], v[11:12], v[31:32], v[11:12]
	v_mul_f64 v[31:32], v[33:34], v[11:12]
	v_fma_f64 v[9:10], -v[9:10], v[31:32], v[33:34]
	v_div_fmas_f64 v[9:10], v[9:10], v[11:12], v[31:32]
	v_div_fixup_f64 v[5:6], v[9:10], v[7:8], v[5:6]
	v_fma_f64 v[5:6], v[5:6], v[5:6], 1.0
	v_cmp_gt_f64_e32 vcc_lo, 0x10000000, v[5:6]
	v_cndmask_b32_e64 v9, 0, 0x100, vcc_lo
	v_ldexp_f64 v[5:6], v[5:6], v9
	v_rsq_f64_e32 v[9:10], v[5:6]
	v_mul_f64 v[11:12], v[5:6], v[9:10]
	v_mul_f64 v[9:10], v[9:10], 0.5
	v_fma_f64 v[31:32], -v[9:10], v[11:12], 0.5
	v_fma_f64 v[11:12], v[11:12], v[31:32], v[11:12]
	v_fma_f64 v[9:10], v[9:10], v[31:32], v[9:10]
	v_fma_f64 v[31:32], -v[11:12], v[11:12], v[5:6]
	v_fma_f64 v[11:12], v[31:32], v[9:10], v[11:12]
	v_fma_f64 v[31:32], -v[11:12], v[11:12], v[5:6]
	v_fma_f64 v[9:10], v[31:32], v[9:10], v[11:12]
	v_cndmask_b32_e64 v11, 0, 0xffffff80, vcc_lo
	v_cmp_class_f64_e64 vcc_lo, v[5:6], 0x260
	v_ldexp_f64 v[9:10], v[9:10], v11
	v_cndmask_b32_e32 v6, v10, v6, vcc_lo
	v_cndmask_b32_e32 v5, v9, v5, vcc_lo
	v_mul_f64 v[9:10], v[7:8], v[5:6]
.LBB52_111:                             ;   in Loop: Header=BB52_14 Depth=3
	s_or_b32 exec_lo, exec_lo, s77
                                        ; implicit-def: $vgpr5_vgpr6
                                        ; implicit-def: $vgpr7_vgpr8
	s_andn2_saveexec_b32 s76, s76
	s_cbranch_execz .LBB52_45
.LBB52_112:                             ;   in Loop: Header=BB52_14 Depth=3
	v_div_scale_f64 v[9:10], null, v[5:6], v[5:6], v[7:8]
	v_div_scale_f64 v[33:34], vcc_lo, v[7:8], v[5:6], v[7:8]
	v_rcp_f64_e32 v[11:12], v[9:10]
	v_fma_f64 v[31:32], -v[9:10], v[11:12], 1.0
	v_fma_f64 v[11:12], v[11:12], v[31:32], v[11:12]
	v_fma_f64 v[31:32], -v[9:10], v[11:12], 1.0
	v_fma_f64 v[11:12], v[11:12], v[31:32], v[11:12]
	v_mul_f64 v[31:32], v[33:34], v[11:12]
	v_fma_f64 v[9:10], -v[9:10], v[31:32], v[33:34]
	v_div_fmas_f64 v[9:10], v[9:10], v[11:12], v[31:32]
	v_div_fixup_f64 v[7:8], v[9:10], v[5:6], v[7:8]
	v_fma_f64 v[7:8], v[7:8], v[7:8], 1.0
	v_cmp_gt_f64_e32 vcc_lo, 0x10000000, v[7:8]
	v_cndmask_b32_e64 v9, 0, 0x100, vcc_lo
	v_ldexp_f64 v[7:8], v[7:8], v9
	v_rsq_f64_e32 v[9:10], v[7:8]
	v_mul_f64 v[11:12], v[7:8], v[9:10]
	v_mul_f64 v[9:10], v[9:10], 0.5
	v_fma_f64 v[31:32], -v[9:10], v[11:12], 0.5
	v_fma_f64 v[11:12], v[11:12], v[31:32], v[11:12]
	v_fma_f64 v[9:10], v[9:10], v[31:32], v[9:10]
	v_fma_f64 v[31:32], -v[11:12], v[11:12], v[7:8]
	v_fma_f64 v[11:12], v[31:32], v[9:10], v[11:12]
	v_fma_f64 v[31:32], -v[11:12], v[11:12], v[7:8]
	v_fma_f64 v[9:10], v[31:32], v[9:10], v[11:12]
	v_cndmask_b32_e64 v11, 0, 0xffffff80, vcc_lo
	v_cmp_class_f64_e64 vcc_lo, v[7:8], 0x260
	v_ldexp_f64 v[9:10], v[9:10], v11
	v_cndmask_b32_e32 v8, v10, v8, vcc_lo
	v_cndmask_b32_e32 v7, v9, v7, vcc_lo
	v_mul_f64 v[9:10], v[5:6], v[7:8]
	s_or_b32 exec_lo, exec_lo, s76
	v_cmp_class_f64_e64 s77, v[9:10], 0x1f8
	s_and_saveexec_b32 s76, s77
	s_cbranch_execnz .LBB52_46
	s_branch .LBB52_47
.LBB52_113:                             ;   in Loop: Header=BB52_14 Depth=3
	v_mov_b32_e32 v9, 0
	v_mov_b32_e32 v10, 0
	s_mov_b32 s78, exec_lo
	v_cmpx_neq_f64_e32 0, v[11:12]
	s_cbranch_execz .LBB52_115
; %bb.114:                              ;   in Loop: Header=BB52_14 Depth=3
	v_div_scale_f64 v[9:10], null, v[7:8], v[7:8], v[5:6]
	v_div_scale_f64 v[33:34], vcc_lo, v[5:6], v[7:8], v[5:6]
	v_rcp_f64_e32 v[11:12], v[9:10]
	v_fma_f64 v[31:32], -v[9:10], v[11:12], 1.0
	v_fma_f64 v[11:12], v[11:12], v[31:32], v[11:12]
	v_fma_f64 v[31:32], -v[9:10], v[11:12], 1.0
	v_fma_f64 v[11:12], v[11:12], v[31:32], v[11:12]
	v_mul_f64 v[31:32], v[33:34], v[11:12]
	v_fma_f64 v[9:10], -v[9:10], v[31:32], v[33:34]
	v_div_fmas_f64 v[9:10], v[9:10], v[11:12], v[31:32]
	v_div_fixup_f64 v[5:6], v[9:10], v[7:8], v[5:6]
	v_fma_f64 v[5:6], v[5:6], v[5:6], 1.0
	v_cmp_gt_f64_e32 vcc_lo, 0x10000000, v[5:6]
	v_cndmask_b32_e64 v9, 0, 0x100, vcc_lo
	v_ldexp_f64 v[5:6], v[5:6], v9
	v_rsq_f64_e32 v[9:10], v[5:6]
	v_mul_f64 v[11:12], v[5:6], v[9:10]
	v_mul_f64 v[9:10], v[9:10], 0.5
	v_fma_f64 v[31:32], -v[9:10], v[11:12], 0.5
	v_fma_f64 v[11:12], v[11:12], v[31:32], v[11:12]
	v_fma_f64 v[9:10], v[9:10], v[31:32], v[9:10]
	v_fma_f64 v[31:32], -v[11:12], v[11:12], v[5:6]
	v_fma_f64 v[11:12], v[31:32], v[9:10], v[11:12]
	v_fma_f64 v[31:32], -v[11:12], v[11:12], v[5:6]
	v_fma_f64 v[9:10], v[31:32], v[9:10], v[11:12]
	v_cndmask_b32_e64 v11, 0, 0xffffff80, vcc_lo
	v_cmp_class_f64_e64 vcc_lo, v[5:6], 0x260
	v_ldexp_f64 v[9:10], v[9:10], v11
	v_cndmask_b32_e32 v6, v10, v6, vcc_lo
	v_cndmask_b32_e32 v5, v9, v5, vcc_lo
	v_mul_f64 v[9:10], v[7:8], v[5:6]
.LBB52_115:                             ;   in Loop: Header=BB52_14 Depth=3
	s_or_b32 exec_lo, exec_lo, s78
                                        ; implicit-def: $vgpr5_vgpr6
                                        ; implicit-def: $vgpr7_vgpr8
	s_andn2_saveexec_b32 s77, s77
	s_cbranch_execz .LBB52_75
.LBB52_116:                             ;   in Loop: Header=BB52_14 Depth=3
	v_div_scale_f64 v[9:10], null, v[5:6], v[5:6], v[7:8]
	v_div_scale_f64 v[33:34], vcc_lo, v[7:8], v[5:6], v[7:8]
	v_rcp_f64_e32 v[11:12], v[9:10]
	v_fma_f64 v[31:32], -v[9:10], v[11:12], 1.0
	v_fma_f64 v[11:12], v[11:12], v[31:32], v[11:12]
	v_fma_f64 v[31:32], -v[9:10], v[11:12], 1.0
	v_fma_f64 v[11:12], v[11:12], v[31:32], v[11:12]
	v_mul_f64 v[31:32], v[33:34], v[11:12]
	v_fma_f64 v[9:10], -v[9:10], v[31:32], v[33:34]
	v_div_fmas_f64 v[9:10], v[9:10], v[11:12], v[31:32]
	v_div_fixup_f64 v[7:8], v[9:10], v[5:6], v[7:8]
	v_fma_f64 v[7:8], v[7:8], v[7:8], 1.0
	v_cmp_gt_f64_e32 vcc_lo, 0x10000000, v[7:8]
	v_cndmask_b32_e64 v9, 0, 0x100, vcc_lo
	v_ldexp_f64 v[7:8], v[7:8], v9
	v_rsq_f64_e32 v[9:10], v[7:8]
	v_mul_f64 v[11:12], v[7:8], v[9:10]
	v_mul_f64 v[9:10], v[9:10], 0.5
	v_fma_f64 v[31:32], -v[9:10], v[11:12], 0.5
	v_fma_f64 v[11:12], v[11:12], v[31:32], v[11:12]
	v_fma_f64 v[9:10], v[9:10], v[31:32], v[9:10]
	v_fma_f64 v[31:32], -v[11:12], v[11:12], v[7:8]
	v_fma_f64 v[11:12], v[31:32], v[9:10], v[11:12]
	v_fma_f64 v[31:32], -v[11:12], v[11:12], v[7:8]
	v_fma_f64 v[9:10], v[31:32], v[9:10], v[11:12]
	v_cndmask_b32_e64 v11, 0, 0xffffff80, vcc_lo
	v_cmp_class_f64_e64 vcc_lo, v[7:8], 0x260
	v_ldexp_f64 v[9:10], v[9:10], v11
	v_cndmask_b32_e32 v8, v10, v8, vcc_lo
	v_cndmask_b32_e32 v7, v9, v7, vcc_lo
	v_mul_f64 v[9:10], v[5:6], v[7:8]
	s_or_b32 exec_lo, exec_lo, s77
	v_cmp_class_f64_e64 s78, v[9:10], 0x1f8
	s_and_saveexec_b32 s77, s78
	s_cbranch_execnz .LBB52_76
	s_branch .LBB52_77
.LBB52_117:                             ;   in Loop: Header=BB52_14 Depth=3
	v_mov_b32_e32 v9, 0
	v_mov_b32_e32 v10, 0
	s_mov_b32 s79, exec_lo
	v_cmpx_neq_f64_e32 0, v[11:12]
	s_cbranch_execz .LBB52_119
; %bb.118:                              ;   in Loop: Header=BB52_14 Depth=3
	v_div_scale_f64 v[9:10], null, v[7:8], v[7:8], v[5:6]
	v_div_scale_f64 v[33:34], vcc_lo, v[5:6], v[7:8], v[5:6]
	v_rcp_f64_e32 v[11:12], v[9:10]
	v_fma_f64 v[31:32], -v[9:10], v[11:12], 1.0
	v_fma_f64 v[11:12], v[11:12], v[31:32], v[11:12]
	v_fma_f64 v[31:32], -v[9:10], v[11:12], 1.0
	v_fma_f64 v[11:12], v[11:12], v[31:32], v[11:12]
	v_mul_f64 v[31:32], v[33:34], v[11:12]
	v_fma_f64 v[9:10], -v[9:10], v[31:32], v[33:34]
	v_div_fmas_f64 v[9:10], v[9:10], v[11:12], v[31:32]
	v_div_fixup_f64 v[5:6], v[9:10], v[7:8], v[5:6]
	v_fma_f64 v[5:6], v[5:6], v[5:6], 1.0
	v_cmp_gt_f64_e32 vcc_lo, 0x10000000, v[5:6]
	v_cndmask_b32_e64 v9, 0, 0x100, vcc_lo
	v_ldexp_f64 v[5:6], v[5:6], v9
	v_rsq_f64_e32 v[9:10], v[5:6]
	v_mul_f64 v[11:12], v[5:6], v[9:10]
	v_mul_f64 v[9:10], v[9:10], 0.5
	v_fma_f64 v[31:32], -v[9:10], v[11:12], 0.5
	v_fma_f64 v[11:12], v[11:12], v[31:32], v[11:12]
	v_fma_f64 v[9:10], v[9:10], v[31:32], v[9:10]
	v_fma_f64 v[31:32], -v[11:12], v[11:12], v[5:6]
	v_fma_f64 v[11:12], v[31:32], v[9:10], v[11:12]
	v_fma_f64 v[31:32], -v[11:12], v[11:12], v[5:6]
	v_fma_f64 v[9:10], v[31:32], v[9:10], v[11:12]
	v_cndmask_b32_e64 v11, 0, 0xffffff80, vcc_lo
	v_cmp_class_f64_e64 vcc_lo, v[5:6], 0x260
	v_ldexp_f64 v[9:10], v[9:10], v11
	v_cndmask_b32_e32 v6, v10, v6, vcc_lo
	v_cndmask_b32_e32 v5, v9, v5, vcc_lo
	v_mul_f64 v[9:10], v[7:8], v[5:6]
.LBB52_119:                             ;   in Loop: Header=BB52_14 Depth=3
	s_or_b32 exec_lo, exec_lo, s79
                                        ; implicit-def: $vgpr5_vgpr6
                                        ; implicit-def: $vgpr7_vgpr8
	s_andn2_saveexec_b32 s78, s78
	s_cbranch_execz .LBB52_59
.LBB52_120:                             ;   in Loop: Header=BB52_14 Depth=3
	v_div_scale_f64 v[9:10], null, v[5:6], v[5:6], v[7:8]
	v_div_scale_f64 v[33:34], vcc_lo, v[7:8], v[5:6], v[7:8]
	v_rcp_f64_e32 v[11:12], v[9:10]
	v_fma_f64 v[31:32], -v[9:10], v[11:12], 1.0
	v_fma_f64 v[11:12], v[11:12], v[31:32], v[11:12]
	v_fma_f64 v[31:32], -v[9:10], v[11:12], 1.0
	v_fma_f64 v[11:12], v[11:12], v[31:32], v[11:12]
	v_mul_f64 v[31:32], v[33:34], v[11:12]
	v_fma_f64 v[9:10], -v[9:10], v[31:32], v[33:34]
	v_div_fmas_f64 v[9:10], v[9:10], v[11:12], v[31:32]
	v_div_fixup_f64 v[7:8], v[9:10], v[5:6], v[7:8]
	v_fma_f64 v[7:8], v[7:8], v[7:8], 1.0
	v_cmp_gt_f64_e32 vcc_lo, 0x10000000, v[7:8]
	v_cndmask_b32_e64 v9, 0, 0x100, vcc_lo
	v_ldexp_f64 v[7:8], v[7:8], v9
	v_rsq_f64_e32 v[9:10], v[7:8]
	v_mul_f64 v[11:12], v[7:8], v[9:10]
	v_mul_f64 v[9:10], v[9:10], 0.5
	v_fma_f64 v[31:32], -v[9:10], v[11:12], 0.5
	v_fma_f64 v[11:12], v[11:12], v[31:32], v[11:12]
	v_fma_f64 v[9:10], v[9:10], v[31:32], v[9:10]
	v_fma_f64 v[31:32], -v[11:12], v[11:12], v[7:8]
	v_fma_f64 v[11:12], v[31:32], v[9:10], v[11:12]
	v_fma_f64 v[31:32], -v[11:12], v[11:12], v[7:8]
	v_fma_f64 v[9:10], v[31:32], v[9:10], v[11:12]
	v_cndmask_b32_e64 v11, 0, 0xffffff80, vcc_lo
	v_cmp_class_f64_e64 vcc_lo, v[7:8], 0x260
	v_ldexp_f64 v[9:10], v[9:10], v11
	v_cndmask_b32_e32 v8, v10, v8, vcc_lo
	v_cndmask_b32_e32 v7, v9, v7, vcc_lo
	v_mul_f64 v[9:10], v[5:6], v[7:8]
	s_or_b32 exec_lo, exec_lo, s78
	v_cmp_class_f64_e64 s79, v[9:10], 0x1f8
	s_and_saveexec_b32 s78, s79
	s_cbranch_execnz .LBB52_60
	s_branch .LBB52_61
.LBB52_121:                             ;   in Loop: Header=BB52_5 Depth=1
	v_xor_b32_e32 v7, 4, v39
	v_xor_b32_e32 v6, 2, v39
	;; [unrolled: 1-line block ×3, first 2 shown]
	s_and_b32 vcc_lo, exec_lo, s58
	s_cbranch_vccnz .LBB52_124
; %bb.122:                              ;   in Loop: Header=BB52_5 Depth=1
	s_andn2_b32 vcc_lo, exec_lo, s33
	s_cbranch_vccz .LBB52_141
.LBB52_123:                             ;   in Loop: Header=BB52_5 Depth=1
	s_and_saveexec_b32 s11, s7
	s_cbranch_execnz .LBB52_158
	s_branch .LBB52_169
.LBB52_124:                             ;   in Loop: Header=BB52_5 Depth=1
	v_cmp_gt_i32_e32 vcc_lo, 32, v7
	v_cmp_gt_i32_e64 s10, 32, v6
	v_cndmask_b32_e32 v1, v39, v7, vcc_lo
	v_cndmask_b32_e64 v3, v39, v6, s10
	v_cmp_gt_i32_e64 s10, 32, v5
	v_lshlrev_b32_e32 v2, 2, v1
	v_lshlrev_b32_e32 v3, 2, v3
	v_cndmask_b32_e64 v8, v39, v5, s10
	ds_bpermute_b32 v1, v2, v15
	ds_bpermute_b32 v2, v2, v16
	v_lshlrev_b32_e32 v8, 2, v8
	s_waitcnt lgkmcnt(0)
	v_cmp_lt_f64_e32 vcc_lo, v[15:16], v[1:2]
	v_cndmask_b32_e32 v2, v16, v2, vcc_lo
	v_cndmask_b32_e32 v1, v15, v1, vcc_lo
	ds_bpermute_b32 v4, v3, v2
	ds_bpermute_b32 v3, v3, v1
	s_waitcnt lgkmcnt(0)
	v_cmp_lt_f64_e32 vcc_lo, v[1:2], v[3:4]
	v_cndmask_b32_e32 v2, v2, v4, vcc_lo
	v_cndmask_b32_e32 v1, v1, v3, vcc_lo
	ds_bpermute_b32 v3, v8, v1
	ds_bpermute_b32 v8, v8, v2
	s_and_saveexec_b32 s10, s0
	s_cbranch_execz .LBB52_126
; %bb.125:                              ;   in Loop: Header=BB52_5 Depth=1
	s_waitcnt lgkmcnt(0)
	v_mov_b32_e32 v4, v8
	v_cmp_lt_f64_e32 vcc_lo, v[1:2], v[3:4]
	v_cndmask_b32_e32 v2, v2, v8, vcc_lo
	v_cndmask_b32_e32 v1, v1, v3, vcc_lo
	ds_write_b64 v42, v[1:2]
.LBB52_126:                             ;   in Loop: Header=BB52_5 Depth=1
	s_or_b32 exec_lo, exec_lo, s10
	s_waitcnt lgkmcnt(0)
	s_waitcnt_vscnt null, 0x0
	s_barrier
	buffer_gl0_inv
	s_and_saveexec_b32 s10, s1
	s_cbranch_execz .LBB52_128
; %bb.127:                              ;   in Loop: Header=BB52_5 Depth=1
	ds_read2st64_b64 v[1:4], v40 offset1:1
	s_waitcnt lgkmcnt(0)
	v_cmp_lt_f64_e32 vcc_lo, v[1:2], v[3:4]
	v_cndmask_b32_e32 v2, v2, v4, vcc_lo
	v_cndmask_b32_e32 v1, v1, v3, vcc_lo
	ds_write_b64 v40, v[1:2]
.LBB52_128:                             ;   in Loop: Header=BB52_5 Depth=1
	s_or_b32 exec_lo, exec_lo, s10
	s_waitcnt lgkmcnt(0)
	s_barrier
	buffer_gl0_inv
	s_and_saveexec_b32 s10, s2
	s_cbranch_execz .LBB52_130
; %bb.129:                              ;   in Loop: Header=BB52_5 Depth=1
	ds_read2_b64 v[1:4], v40 offset1:32
	s_waitcnt lgkmcnt(0)
	v_cmp_lt_f64_e32 vcc_lo, v[1:2], v[3:4]
	v_cndmask_b32_e32 v2, v2, v4, vcc_lo
	v_cndmask_b32_e32 v1, v1, v3, vcc_lo
	ds_write_b64 v40, v[1:2]
.LBB52_130:                             ;   in Loop: Header=BB52_5 Depth=1
	s_or_b32 exec_lo, exec_lo, s10
	s_waitcnt lgkmcnt(0)
	s_barrier
	buffer_gl0_inv
	s_and_saveexec_b32 s10, s3
	s_cbranch_execz .LBB52_132
; %bb.131:                              ;   in Loop: Header=BB52_5 Depth=1
	ds_read2_b64 v[1:4], v40 offset1:16
	s_waitcnt lgkmcnt(0)
	v_cmp_lt_f64_e32 vcc_lo, v[1:2], v[3:4]
	v_cndmask_b32_e32 v2, v2, v4, vcc_lo
	v_cndmask_b32_e32 v1, v1, v3, vcc_lo
	ds_write_b64 v40, v[1:2]
.LBB52_132:                             ;   in Loop: Header=BB52_5 Depth=1
	;; [unrolled: 14-line block ×5, first 2 shown]
	s_or_b32 exec_lo, exec_lo, s10
	s_waitcnt lgkmcnt(0)
	s_barrier
	buffer_gl0_inv
	s_and_saveexec_b32 s10, s8
	s_cbranch_execz .LBB52_140
; %bb.139:                              ;   in Loop: Header=BB52_5 Depth=1
	ds_read_b128 v[1:4], v18
	s_waitcnt lgkmcnt(0)
	v_cmp_lt_f64_e32 vcc_lo, v[1:2], v[3:4]
	v_cndmask_b32_e32 v2, v2, v4, vcc_lo
	v_cndmask_b32_e32 v1, v1, v3, vcc_lo
	ds_write_b64 v18, v[1:2]
.LBB52_140:                             ;   in Loop: Header=BB52_5 Depth=1
	s_or_b32 exec_lo, exec_lo, s10
	s_waitcnt lgkmcnt(0)
	s_barrier
	buffer_gl0_inv
	ds_read_b64 v[1:2], v18
	s_load_dwordx2 s[10:11], s[56:57], 0x0
	s_waitcnt lgkmcnt(0)
	v_div_scale_f64 v[3:4], null, s[10:11], s[10:11], v[1:2]
	v_rcp_f64_e32 v[8:9], v[3:4]
	v_fma_f64 v[10:11], -v[3:4], v[8:9], 1.0
	v_fma_f64 v[8:9], v[8:9], v[10:11], v[8:9]
	v_fma_f64 v[10:11], -v[3:4], v[8:9], 1.0
	v_fma_f64 v[8:9], v[8:9], v[10:11], v[8:9]
	v_div_scale_f64 v[10:11], vcc_lo, v[1:2], s[10:11], v[1:2]
	v_mul_f64 v[15:16], v[10:11], v[8:9]
	v_fma_f64 v[3:4], -v[3:4], v[15:16], v[10:11]
	v_div_fmas_f64 v[3:4], v[3:4], v[8:9], v[15:16]
	v_div_fixup_f64 v[15:16], v[3:4], s[10:11], v[1:2]
	s_andn2_b32 vcc_lo, exec_lo, s33
	s_cbranch_vccnz .LBB52_123
.LBB52_141:                             ;   in Loop: Header=BB52_5 Depth=1
	v_cmp_gt_i32_e32 vcc_lo, 32, v7
	v_cmp_gt_i32_e64 s10, 32, v6
	v_cndmask_b32_e32 v1, v39, v7, vcc_lo
	v_cndmask_b32_e64 v3, v39, v6, s10
	v_cmp_gt_i32_e64 s10, 32, v5
	v_lshlrev_b32_e32 v2, 2, v1
	v_lshlrev_b32_e32 v3, 2, v3
	v_cndmask_b32_e64 v5, v39, v5, s10
	ds_bpermute_b32 v1, v2, v13
	ds_bpermute_b32 v2, v2, v14
	v_lshlrev_b32_e32 v5, 2, v5
	s_waitcnt lgkmcnt(0)
	v_cmp_lt_f64_e32 vcc_lo, v[13:14], v[1:2]
	v_cndmask_b32_e32 v2, v14, v2, vcc_lo
	v_cndmask_b32_e32 v1, v13, v1, vcc_lo
	ds_bpermute_b32 v4, v3, v2
	ds_bpermute_b32 v3, v3, v1
	s_waitcnt lgkmcnt(0)
	v_cmp_lt_f64_e32 vcc_lo, v[1:2], v[3:4]
	v_cndmask_b32_e32 v2, v2, v4, vcc_lo
	v_cndmask_b32_e32 v1, v1, v3, vcc_lo
	ds_bpermute_b32 v3, v5, v1
	ds_bpermute_b32 v5, v5, v2
	s_and_saveexec_b32 s10, s0
	s_cbranch_execz .LBB52_143
; %bb.142:                              ;   in Loop: Header=BB52_5 Depth=1
	s_waitcnt lgkmcnt(0)
	v_mov_b32_e32 v4, v5
	v_cmp_lt_f64_e32 vcc_lo, v[1:2], v[3:4]
	v_cndmask_b32_e32 v2, v2, v5, vcc_lo
	v_cndmask_b32_e32 v1, v1, v3, vcc_lo
	ds_write_b64 v42, v[1:2]
.LBB52_143:                             ;   in Loop: Header=BB52_5 Depth=1
	s_or_b32 exec_lo, exec_lo, s10
	s_waitcnt lgkmcnt(0)
	s_waitcnt_vscnt null, 0x0
	s_barrier
	buffer_gl0_inv
	s_and_saveexec_b32 s10, s1
	s_cbranch_execz .LBB52_145
; %bb.144:                              ;   in Loop: Header=BB52_5 Depth=1
	ds_read2st64_b64 v[1:4], v40 offset1:1
	s_waitcnt lgkmcnt(0)
	v_cmp_lt_f64_e32 vcc_lo, v[1:2], v[3:4]
	v_cndmask_b32_e32 v2, v2, v4, vcc_lo
	v_cndmask_b32_e32 v1, v1, v3, vcc_lo
	ds_write_b64 v40, v[1:2]
.LBB52_145:                             ;   in Loop: Header=BB52_5 Depth=1
	s_or_b32 exec_lo, exec_lo, s10
	s_waitcnt lgkmcnt(0)
	s_barrier
	buffer_gl0_inv
	s_and_saveexec_b32 s10, s2
	s_cbranch_execz .LBB52_147
; %bb.146:                              ;   in Loop: Header=BB52_5 Depth=1
	ds_read2_b64 v[1:4], v40 offset1:32
	s_waitcnt lgkmcnt(0)
	v_cmp_lt_f64_e32 vcc_lo, v[1:2], v[3:4]
	v_cndmask_b32_e32 v2, v2, v4, vcc_lo
	v_cndmask_b32_e32 v1, v1, v3, vcc_lo
	ds_write_b64 v40, v[1:2]
.LBB52_147:                             ;   in Loop: Header=BB52_5 Depth=1
	s_or_b32 exec_lo, exec_lo, s10
	s_waitcnt lgkmcnt(0)
	s_barrier
	buffer_gl0_inv
	s_and_saveexec_b32 s10, s3
	s_cbranch_execz .LBB52_149
; %bb.148:                              ;   in Loop: Header=BB52_5 Depth=1
	ds_read2_b64 v[1:4], v40 offset1:16
	s_waitcnt lgkmcnt(0)
	v_cmp_lt_f64_e32 vcc_lo, v[1:2], v[3:4]
	v_cndmask_b32_e32 v2, v2, v4, vcc_lo
	v_cndmask_b32_e32 v1, v1, v3, vcc_lo
	ds_write_b64 v40, v[1:2]
.LBB52_149:                             ;   in Loop: Header=BB52_5 Depth=1
	;; [unrolled: 14-line block ×5, first 2 shown]
	s_or_b32 exec_lo, exec_lo, s10
	s_waitcnt lgkmcnt(0)
	s_barrier
	buffer_gl0_inv
	s_and_saveexec_b32 s10, s8
	s_cbranch_execz .LBB52_157
; %bb.156:                              ;   in Loop: Header=BB52_5 Depth=1
	ds_read_b128 v[1:4], v18
	s_waitcnt lgkmcnt(0)
	v_cmp_lt_f64_e32 vcc_lo, v[1:2], v[3:4]
	v_cndmask_b32_e32 v2, v2, v4, vcc_lo
	v_cndmask_b32_e32 v1, v1, v3, vcc_lo
	ds_write_b64 v18, v[1:2]
.LBB52_157:                             ;   in Loop: Header=BB52_5 Depth=1
	s_or_b32 exec_lo, exec_lo, s10
	s_waitcnt lgkmcnt(0)
	s_barrier
	buffer_gl0_inv
	ds_read_b64 v[1:2], v18
	s_load_dwordx2 s[10:11], s[56:57], 0x0
	s_waitcnt lgkmcnt(0)
	v_div_scale_f64 v[3:4], null, s[10:11], s[10:11], v[1:2]
	v_rcp_f64_e32 v[5:6], v[3:4]
	v_fma_f64 v[7:8], -v[3:4], v[5:6], 1.0
	v_fma_f64 v[5:6], v[5:6], v[7:8], v[5:6]
	v_fma_f64 v[7:8], -v[3:4], v[5:6], 1.0
	v_fma_f64 v[5:6], v[5:6], v[7:8], v[5:6]
	v_div_scale_f64 v[7:8], vcc_lo, v[1:2], s[10:11], v[1:2]
	v_mul_f64 v[9:10], v[7:8], v[5:6]
	v_fma_f64 v[3:4], -v[3:4], v[9:10], v[7:8]
	v_div_fmas_f64 v[3:4], v[3:4], v[5:6], v[9:10]
	v_div_fixup_f64 v[13:14], v[3:4], s[10:11], v[1:2]
	s_and_saveexec_b32 s11, s7
	s_cbranch_execz .LBB52_169
.LBB52_158:                             ;   in Loop: Header=BB52_5 Depth=1
	v_mov_b32_e32 v1, v41
	s_mov_b32 s69, 0
	s_branch .LBB52_160
.LBB52_159:                             ;   in Loop: Header=BB52_160 Depth=2
	s_or_b32 exec_lo, exec_lo, s70
	v_add_nc_u32_e32 v1, 0x80, v1
	v_cmp_le_u32_e32 vcc_lo, s65, v1
	s_or_b32 s69, vcc_lo, s69
	s_andn2_b32 exec_lo, exec_lo, s69
	s_cbranch_execz .LBB52_169
.LBB52_160:                             ;   Parent Loop BB52_5 Depth=1
                                        ; =>  This Loop Header: Depth=2
                                        ;       Child Loop BB52_163 Depth 3
                                        ;       Child Loop BB52_166 Depth 3
	s_mov_b32 s70, exec_lo
	v_cmpx_gt_i32_e64 s59, v1
	s_cbranch_execz .LBB52_159
; %bb.161:                              ;   in Loop: Header=BB52_160 Depth=2
	v_ashrrev_i32_e32 v2, 31, v1
	s_mov_b32 s71, exec_lo
	v_lshlrev_b64 v[3:4], 2, v[1:2]
	v_add_co_u32 v5, vcc_lo, s20, v3
	v_add_co_ci_u32_e64 v6, null, s21, v4, vcc_lo
	v_add_co_u32 v7, vcc_lo, s22, v3
	v_add_co_ci_u32_e64 v8, null, s23, v4, vcc_lo
	global_load_dword v5, v[5:6], off
	global_load_dword v6, v[7:8], off
	s_waitcnt vmcnt(1)
	v_add_nc_u32_e32 v5, v44, v5
	s_waitcnt vmcnt(0)
	v_subrev_nc_u32_e32 v10, s63, v6
	v_cmpx_lt_i32_e64 v5, v10
	s_cbranch_execz .LBB52_164
; %bb.162:                              ;   in Loop: Header=BB52_160 Depth=2
	v_ashrrev_i32_e32 v6, 31, v5
	s_mov_b32 s72, 0
	v_lshlrev_b64 v[8:9], 4, v[5:6]
	v_add_co_u32 v6, vcc_lo, s26, v8
	v_add_co_ci_u32_e64 v7, null, s27, v9, vcc_lo
	v_add_co_u32 v8, vcc_lo, s54, v8
	v_add_co_ci_u32_e64 v9, null, s55, v9, vcc_lo
	.p2align	6
.LBB52_163:                             ;   Parent Loop BB52_5 Depth=1
                                        ;     Parent Loop BB52_160 Depth=2
                                        ; =>    This Inner Loop Header: Depth=3
	global_load_dwordx4 v[19:22], v[8:9], off
	v_add_nc_u32_e32 v5, 8, v5
	v_add_co_u32 v8, vcc_lo, 0x80, v8
	v_add_co_ci_u32_e64 v9, null, 0, v9, vcc_lo
	v_cmp_ge_i32_e32 vcc_lo, v5, v10
	s_or_b32 s72, vcc_lo, s72
	s_waitcnt vmcnt(0)
	global_store_dwordx4 v[6:7], v[19:22], off
	v_add_co_u32 v6, s10, 0x80, v6
	v_add_co_ci_u32_e64 v7, null, 0, v7, s10
	s_andn2_b32 exec_lo, exec_lo, s72
	s_cbranch_execnz .LBB52_163
.LBB52_164:                             ;   in Loop: Header=BB52_160 Depth=2
	s_or_b32 exec_lo, exec_lo, s71
	v_add_co_u32 v5, vcc_lo, s12, v3
	v_add_co_ci_u32_e64 v6, null, s13, v4, vcc_lo
	v_add_co_u32 v3, vcc_lo, s14, v3
	v_add_co_ci_u32_e64 v4, null, s15, v4, vcc_lo
	global_load_dword v5, v[5:6], off
	global_load_dword v4, v[3:4], off
	s_mov_b32 s71, exec_lo
	s_waitcnt vmcnt(1)
	v_add_nc_u32_e32 v3, v45, v5
	s_waitcnt vmcnt(0)
	v_subrev_nc_u32_e32 v8, s64, v4
	v_cmpx_lt_i32_e64 v3, v8
	s_cbranch_execz .LBB52_167
; %bb.165:                              ;   in Loop: Header=BB52_160 Depth=2
	v_ashrrev_i32_e32 v4, 31, v3
	s_mov_b32 s72, 0
	v_lshlrev_b64 v[6:7], 4, v[3:4]
	v_add_co_u32 v4, vcc_lo, s18, v6
	v_add_co_ci_u32_e64 v5, null, s19, v7, vcc_lo
	v_add_co_u32 v6, vcc_lo, s52, v6
	v_add_co_ci_u32_e64 v7, null, s53, v7, vcc_lo
	.p2align	6
.LBB52_166:                             ;   Parent Loop BB52_5 Depth=1
                                        ;     Parent Loop BB52_160 Depth=2
                                        ; =>    This Inner Loop Header: Depth=3
	global_load_dwordx4 v[9:12], v[6:7], off
	v_add_nc_u32_e32 v3, 8, v3
	v_add_co_u32 v6, vcc_lo, 0x80, v6
	v_add_co_ci_u32_e64 v7, null, 0, v7, vcc_lo
	v_cmp_ge_i32_e32 vcc_lo, v3, v8
	s_or_b32 s72, vcc_lo, s72
	s_waitcnt vmcnt(0)
	global_store_dwordx4 v[4:5], v[9:12], off
	v_add_co_u32 v4, s10, 0x80, v4
	v_add_co_ci_u32_e64 v5, null, 0, v5, s10
	s_andn2_b32 exec_lo, exec_lo, s72
	s_cbranch_execnz .LBB52_166
.LBB52_167:                             ;   in Loop: Header=BB52_160 Depth=2
	s_or_b32 exec_lo, exec_lo, s71
	s_and_b32 exec_lo, exec_lo, s9
	s_cbranch_execz .LBB52_159
; %bb.168:                              ;   in Loop: Header=BB52_160 Depth=2
	v_lshlrev_b64 v[6:7], 4, v[1:2]
	v_add_co_u32 v2, vcc_lo, s50, v6
	v_add_co_ci_u32_e64 v3, null, s51, v7, vcc_lo
	v_add_co_u32 v6, vcc_lo, s48, v6
	v_add_co_ci_u32_e64 v7, null, s49, v7, vcc_lo
	global_load_dwordx4 v[2:5], v[2:3], off
	s_waitcnt vmcnt(0)
	global_store_dwordx4 v[6:7], v[2:5], off
	s_branch .LBB52_159
.LBB52_169:                             ;   in Loop: Header=BB52_5 Depth=1
	s_or_b32 exec_lo, exec_lo, s11
	s_mov_b32 s11, -1
	s_and_b32 vcc_lo, exec_lo, s60
	s_mov_b32 s69, -1
	s_cbranch_vccz .LBB52_179
; %bb.170:                              ;   in Loop: Header=BB52_5 Depth=1
	s_and_b32 vcc_lo, exec_lo, s67
	s_mov_b32 s10, -1
                                        ; implicit-def: $sgpr69
	s_cbranch_vccz .LBB52_176
; %bb.171:                              ;   in Loop: Header=BB52_5 Depth=1
	s_and_b32 vcc_lo, exec_lo, s66
                                        ; implicit-def: $sgpr69
	s_cbranch_vccz .LBB52_173
; %bb.172:                              ;   in Loop: Header=BB52_5 Depth=1
	v_cmp_ge_f64_e64 s69, s[46:47], v[13:14]
	s_mov_b32 s10, 0
.LBB52_173:                             ;   in Loop: Header=BB52_5 Depth=1
	s_andn2_b32 vcc_lo, exec_lo, s10
	s_cbranch_vccnz .LBB52_175
; %bb.174:                              ;   in Loop: Header=BB52_5 Depth=1
	v_cmp_ge_f64_e32 vcc_lo, s[46:47], v[15:16]
	s_andn2_b32 s10, s69, exec_lo
	s_and_b32 s69, vcc_lo, exec_lo
	s_or_b32 s69, s10, s69
.LBB52_175:                             ;   in Loop: Header=BB52_5 Depth=1
	s_mov_b32 s10, 0
.LBB52_176:                             ;   in Loop: Header=BB52_5 Depth=1
	s_andn2_b32 vcc_lo, exec_lo, s10
	s_cbranch_vccnz .LBB52_178
; %bb.177:                              ;   in Loop: Header=BB52_5 Depth=1
	v_cmp_ge_f64_e32 vcc_lo, s[46:47], v[15:16]
	v_cmp_ge_f64_e64 s10, s[46:47], v[13:14]
	s_andn2_b32 s69, s69, exec_lo
	s_and_b32 s10, vcc_lo, s10
	s_and_b32 s10, s10, exec_lo
	s_or_b32 s69, s69, s10
.LBB52_178:                             ;   in Loop: Header=BB52_5 Depth=1
	s_xor_b32 s69, s69, -1
.LBB52_179:                             ;   in Loop: Header=BB52_5 Depth=1
	v_mov_b32_e32 v1, s68
	s_and_saveexec_b32 s10, s69
	s_cbranch_execz .LBB52_4
; %bb.180:                              ;   in Loop: Header=BB52_5 Depth=1
	s_add_i32 s68, s68, 1
	v_mov_b32_e32 v1, s35
	s_cmp_eq_u32 s68, s35
	s_cselect_b32 s11, -1, 0
	s_orn2_b32 s11, s11, exec_lo
	s_branch .LBB52_4
.LBB52_181:
	s_or_b32 exec_lo, exec_lo, s34
	s_or_b32 exec_lo, exec_lo, s61
	s_andn2_b32 vcc_lo, exec_lo, s60
	s_cbranch_vccnz .LBB52_2
.LBB52_182:
	v_xor_b32_e32 v2, 4, v39
	v_xor_b32_e32 v3, 2, v39
	s_mov_b32 s0, exec_lo
	v_cmp_gt_i32_e32 vcc_lo, 32, v2
	v_cndmask_b32_e32 v2, v39, v2, vcc_lo
	v_cmp_gt_i32_e32 vcc_lo, 32, v3
	v_lshlrev_b32_e32 v2, 2, v2
	v_cndmask_b32_e32 v3, v39, v3, vcc_lo
	ds_bpermute_b32 v2, v2, v1
	v_lshlrev_b32_e32 v3, 2, v3
	s_waitcnt lgkmcnt(0)
	v_max_i32_e32 v1, v1, v2
	ds_bpermute_b32 v2, v3, v1
	v_xor_b32_e32 v3, 1, v39
	v_cmp_gt_i32_e32 vcc_lo, 32, v3
	v_cndmask_b32_e32 v3, v39, v3, vcc_lo
	s_waitcnt lgkmcnt(0)
	v_max_i32_e32 v1, v1, v2
	v_lshlrev_b32_e32 v2, 2, v3
	ds_bpermute_b32 v2, v2, v1
	v_cmpx_eq_u32_e32 7, v38
	s_cbranch_execz .LBB52_184
; %bb.183:
	v_lshlrev_b32_e32 v3, 2, v37
	s_waitcnt lgkmcnt(0)
	v_max_i32_e32 v1, v1, v2
	ds_write_b32 v3, v1 offset:1024
.LBB52_184:
	s_or_b32 exec_lo, exec_lo, s0
	v_lshlrev_b32_e32 v1, 2, v0
	s_mov_b32 s0, exec_lo
	s_waitcnt lgkmcnt(0)
	s_waitcnt_vscnt null, 0x0
	s_barrier
	buffer_gl0_inv
	v_cmpx_gt_u32_e32 64, v0
	s_cbranch_execz .LBB52_186
; %bb.185:
	ds_read2st64_b32 v[2:3], v1 offset0:4 offset1:5
	s_waitcnt lgkmcnt(0)
	v_max_i32_e32 v2, v2, v3
	ds_write_b32 v1, v2 offset:1024
.LBB52_186:
	s_or_b32 exec_lo, exec_lo, s0
	s_mov_b32 s0, exec_lo
	s_waitcnt lgkmcnt(0)
	s_barrier
	buffer_gl0_inv
	v_cmpx_gt_u32_e32 32, v0
	s_cbranch_execz .LBB52_188
; %bb.187:
	v_add_nc_u32_e32 v2, 0x400, v1
	ds_read2_b32 v[2:3], v2 offset1:32
	s_waitcnt lgkmcnt(0)
	v_max_i32_e32 v2, v2, v3
	ds_write_b32 v1, v2 offset:1024
.LBB52_188:
	s_or_b32 exec_lo, exec_lo, s0
	s_mov_b32 s0, exec_lo
	s_waitcnt lgkmcnt(0)
	s_barrier
	buffer_gl0_inv
	v_cmpx_gt_u32_e32 16, v0
	s_cbranch_execz .LBB52_190
; %bb.189:
	v_add_nc_u32_e32 v2, 0x400, v1
	ds_read2_b32 v[2:3], v2 offset1:16
	s_waitcnt lgkmcnt(0)
	v_max_i32_e32 v2, v2, v3
	ds_write_b32 v1, v2 offset:1024
.LBB52_190:
	;; [unrolled: 14-line block ×5, first 2 shown]
	s_or_b32 exec_lo, exec_lo, s0
	v_cmp_eq_u32_e32 vcc_lo, 0, v0
	s_waitcnt lgkmcnt(0)
	s_barrier
	buffer_gl0_inv
	s_and_saveexec_b32 s0, vcc_lo
	s_cbranch_execz .LBB52_198
; %bb.197:
	v_mov_b32_e32 v3, 0
	ds_read_b64 v[1:2], v3 offset:1024
	s_waitcnt lgkmcnt(0)
	v_max_i32_e32 v1, v1, v2
	ds_write_b32 v3, v1 offset:1024
.LBB52_198:
	s_or_b32 exec_lo, exec_lo, s0
	s_waitcnt lgkmcnt(0)
	s_barrier
	buffer_gl0_inv
	s_and_saveexec_b32 s0, vcc_lo
	s_cbranch_execz .LBB52_201
; %bb.199:
	v_mbcnt_lo_u32_b32 v1, exec_lo, 0
	v_cmp_eq_u32_e32 vcc_lo, 0, v1
	s_and_b32 exec_lo, exec_lo, vcc_lo
	s_cbranch_execz .LBB52_201
; %bb.200:
	v_mov_b32_e32 v1, 0
	ds_read_b32 v2, v1 offset:1024
	s_waitcnt lgkmcnt(0)
	v_add_nc_u32_e32 v2, 1, v2
	global_atomic_smax v1, v2, s[44:45]
.LBB52_201:
	s_or_b32 exec_lo, exec_lo, s0
	v_cmp_eq_u32_e32 vcc_lo, 0, v0
	s_and_b32 s0, vcc_lo, s58
	s_and_saveexec_b32 s1, s0
	s_cbranch_execz .LBB52_208
.LBB52_202:
	v_mov_b32_e32 v0, 0
	v_mov_b32_e32 v1, 0x7ff80000
	s_mov_b32 s0, exec_lo
.LBB52_203:                             ; =>This Inner Loop Header: Depth=1
	s_ff1_i32_b32 s4, s0
	v_max_f64 v[0:1], v[0:1], v[0:1]
	v_readlane_b32 s3, v16, s4
	v_readlane_b32 s2, v15, s4
	v_max_f64 v[2:3], s[2:3], s[2:3]
	s_lshl_b32 s2, 1, s4
	s_andn2_b32 s0, s0, s2
	s_cmp_lg_u32 s0, 0
	v_max_f64 v[0:1], v[0:1], v[2:3]
	s_cbranch_scc1 .LBB52_203
; %bb.204:
	v_mbcnt_lo_u32_b32 v2, exec_lo, 0
	s_mov_b32 s2, 0
	s_mov_b32 s3, exec_lo
	v_cmpx_eq_u32_e32 0, v2
	s_xor_b32 s3, exec_lo, s3
	s_cbranch_execz .LBB52_208
; %bb.205:
	v_mov_b32_e32 v6, 0
	v_max_f64 v[4:5], v[0:1], v[0:1]
	global_load_dwordx2 v[2:3], v6, s[28:29]
.LBB52_206:                             ; =>This Inner Loop Header: Depth=1
	s_waitcnt vmcnt(0)
	v_max_f64 v[0:1], v[2:3], v[2:3]
	v_max_f64 v[0:1], v[0:1], v[4:5]
	global_atomic_cmpswap_x2 v[0:1], v6, v[0:3], s[28:29] glc
	s_waitcnt vmcnt(0)
	v_cmp_eq_u64_e64 s0, v[0:1], v[2:3]
	v_mov_b32_e32 v3, v1
	v_mov_b32_e32 v2, v0
	s_or_b32 s2, s0, s2
	s_andn2_b32 exec_lo, exec_lo, s2
	s_cbranch_execnz .LBB52_206
; %bb.207:
	s_or_b32 exec_lo, exec_lo, s2
.LBB52_208:
	s_or_b32 exec_lo, exec_lo, s1
	s_and_b32 s0, vcc_lo, s33
	s_and_saveexec_b32 s1, s0
	s_cbranch_execz .LBB52_214
; %bb.209:
	v_mov_b32_e32 v0, 0
	v_mov_b32_e32 v1, 0x7ff80000
	s_mov_b32 s0, exec_lo
.LBB52_210:                             ; =>This Inner Loop Header: Depth=1
	s_ff1_i32_b32 s1, s0
	v_max_f64 v[0:1], v[0:1], v[0:1]
	v_readlane_b32 s3, v14, s1
	v_readlane_b32 s2, v13, s1
	s_lshl_b32 s1, 1, s1
	s_andn2_b32 s0, s0, s1
	v_max_f64 v[2:3], s[2:3], s[2:3]
	s_cmp_lg_u32 s0, 0
	v_max_f64 v[0:1], v[0:1], v[2:3]
	s_cbranch_scc1 .LBB52_210
; %bb.211:
	v_mbcnt_lo_u32_b32 v2, exec_lo, 0
	s_mov_b32 s0, 0
	s_mov_b32 s1, exec_lo
	v_cmpx_eq_u32_e32 0, v2
	s_xor_b32 s1, exec_lo, s1
	s_cbranch_execz .LBB52_214
; %bb.212:
	v_mov_b32_e32 v6, 0
	v_max_f64 v[4:5], v[0:1], v[0:1]
	global_load_dwordx2 v[2:3], v6, s[30:31]
.LBB52_213:                             ; =>This Inner Loop Header: Depth=1
	s_waitcnt vmcnt(0)
	v_max_f64 v[0:1], v[2:3], v[2:3]
	v_max_f64 v[0:1], v[0:1], v[4:5]
	global_atomic_cmpswap_x2 v[0:1], v6, v[0:3], s[30:31] glc
	s_waitcnt vmcnt(0)
	v_cmp_eq_u64_e32 vcc_lo, v[0:1], v[2:3]
	v_mov_b32_e32 v3, v1
	v_mov_b32_e32 v2, v0
	s_or_b32 s0, vcc_lo, s0
	s_andn2_b32 exec_lo, exec_lo, s0
	s_cbranch_execnz .LBB52_213
.LBB52_214:
	s_endpgm
	.section	.rodata,"a",@progbits
	.p2align	6, 0x0
	.amdhsa_kernel _ZN9rocsparseL6kernelILi1024ELi8E21rocsparse_complex_numIdEiiEEvbbbT3_PS3_NS_15floating_traitsIT1_E6data_tES3_T2_PKS9_SB_PKS3_PKS6_21rocsparse_index_base_SB_SB_SD_PS6_SH_SG_SB_SB_SD_SH_SH_SG_SH_SH_PS8_SI_PKS8_
		.amdhsa_group_segment_fixed_size 1536
		.amdhsa_private_segment_fixed_size 0
		.amdhsa_kernarg_size 208
		.amdhsa_user_sgpr_count 6
		.amdhsa_user_sgpr_private_segment_buffer 1
		.amdhsa_user_sgpr_dispatch_ptr 0
		.amdhsa_user_sgpr_queue_ptr 0
		.amdhsa_user_sgpr_kernarg_segment_ptr 1
		.amdhsa_user_sgpr_dispatch_id 0
		.amdhsa_user_sgpr_flat_scratch_init 0
		.amdhsa_user_sgpr_private_segment_size 0
		.amdhsa_wavefront_size32 1
		.amdhsa_uses_dynamic_stack 0
		.amdhsa_system_sgpr_private_segment_wavefront_offset 0
		.amdhsa_system_sgpr_workgroup_id_x 1
		.amdhsa_system_sgpr_workgroup_id_y 0
		.amdhsa_system_sgpr_workgroup_id_z 0
		.amdhsa_system_sgpr_workgroup_info 0
		.amdhsa_system_vgpr_workitem_id 0
		.amdhsa_next_free_vgpr 59
		.amdhsa_next_free_sgpr 83
		.amdhsa_reserve_vcc 1
		.amdhsa_reserve_flat_scratch 0
		.amdhsa_float_round_mode_32 0
		.amdhsa_float_round_mode_16_64 0
		.amdhsa_float_denorm_mode_32 3
		.amdhsa_float_denorm_mode_16_64 3
		.amdhsa_dx10_clamp 1
		.amdhsa_ieee_mode 1
		.amdhsa_fp16_overflow 0
		.amdhsa_workgroup_processor_mode 1
		.amdhsa_memory_ordered 1
		.amdhsa_forward_progress 1
		.amdhsa_shared_vgpr_count 0
		.amdhsa_exception_fp_ieee_invalid_op 0
		.amdhsa_exception_fp_denorm_src 0
		.amdhsa_exception_fp_ieee_div_zero 0
		.amdhsa_exception_fp_ieee_overflow 0
		.amdhsa_exception_fp_ieee_underflow 0
		.amdhsa_exception_fp_ieee_inexact 0
		.amdhsa_exception_int_div_zero 0
	.end_amdhsa_kernel
	.section	.text._ZN9rocsparseL6kernelILi1024ELi8E21rocsparse_complex_numIdEiiEEvbbbT3_PS3_NS_15floating_traitsIT1_E6data_tES3_T2_PKS9_SB_PKS3_PKS6_21rocsparse_index_base_SB_SB_SD_PS6_SH_SG_SB_SB_SD_SH_SH_SG_SH_SH_PS8_SI_PKS8_,"axG",@progbits,_ZN9rocsparseL6kernelILi1024ELi8E21rocsparse_complex_numIdEiiEEvbbbT3_PS3_NS_15floating_traitsIT1_E6data_tES3_T2_PKS9_SB_PKS3_PKS6_21rocsparse_index_base_SB_SB_SD_PS6_SH_SG_SB_SB_SD_SH_SH_SG_SH_SH_PS8_SI_PKS8_,comdat
.Lfunc_end52:
	.size	_ZN9rocsparseL6kernelILi1024ELi8E21rocsparse_complex_numIdEiiEEvbbbT3_PS3_NS_15floating_traitsIT1_E6data_tES3_T2_PKS9_SB_PKS3_PKS6_21rocsparse_index_base_SB_SB_SD_PS6_SH_SG_SB_SB_SD_SH_SH_SG_SH_SH_PS8_SI_PKS8_, .Lfunc_end52-_ZN9rocsparseL6kernelILi1024ELi8E21rocsparse_complex_numIdEiiEEvbbbT3_PS3_NS_15floating_traitsIT1_E6data_tES3_T2_PKS9_SB_PKS3_PKS6_21rocsparse_index_base_SB_SB_SD_PS6_SH_SG_SB_SB_SD_SH_SH_SG_SH_SH_PS8_SI_PKS8_
                                        ; -- End function
	.set _ZN9rocsparseL6kernelILi1024ELi8E21rocsparse_complex_numIdEiiEEvbbbT3_PS3_NS_15floating_traitsIT1_E6data_tES3_T2_PKS9_SB_PKS3_PKS6_21rocsparse_index_base_SB_SB_SD_PS6_SH_SG_SB_SB_SD_SH_SH_SG_SH_SH_PS8_SI_PKS8_.num_vgpr, 59
	.set _ZN9rocsparseL6kernelILi1024ELi8E21rocsparse_complex_numIdEiiEEvbbbT3_PS3_NS_15floating_traitsIT1_E6data_tES3_T2_PKS9_SB_PKS3_PKS6_21rocsparse_index_base_SB_SB_SD_PS6_SH_SG_SB_SB_SD_SH_SH_SG_SH_SH_PS8_SI_PKS8_.num_agpr, 0
	.set _ZN9rocsparseL6kernelILi1024ELi8E21rocsparse_complex_numIdEiiEEvbbbT3_PS3_NS_15floating_traitsIT1_E6data_tES3_T2_PKS9_SB_PKS3_PKS6_21rocsparse_index_base_SB_SB_SD_PS6_SH_SG_SB_SB_SD_SH_SH_SG_SH_SH_PS8_SI_PKS8_.numbered_sgpr, 83
	.set _ZN9rocsparseL6kernelILi1024ELi8E21rocsparse_complex_numIdEiiEEvbbbT3_PS3_NS_15floating_traitsIT1_E6data_tES3_T2_PKS9_SB_PKS3_PKS6_21rocsparse_index_base_SB_SB_SD_PS6_SH_SG_SB_SB_SD_SH_SH_SG_SH_SH_PS8_SI_PKS8_.num_named_barrier, 0
	.set _ZN9rocsparseL6kernelILi1024ELi8E21rocsparse_complex_numIdEiiEEvbbbT3_PS3_NS_15floating_traitsIT1_E6data_tES3_T2_PKS9_SB_PKS3_PKS6_21rocsparse_index_base_SB_SB_SD_PS6_SH_SG_SB_SB_SD_SH_SH_SG_SH_SH_PS8_SI_PKS8_.private_seg_size, 0
	.set _ZN9rocsparseL6kernelILi1024ELi8E21rocsparse_complex_numIdEiiEEvbbbT3_PS3_NS_15floating_traitsIT1_E6data_tES3_T2_PKS9_SB_PKS3_PKS6_21rocsparse_index_base_SB_SB_SD_PS6_SH_SG_SB_SB_SD_SH_SH_SG_SH_SH_PS8_SI_PKS8_.uses_vcc, 1
	.set _ZN9rocsparseL6kernelILi1024ELi8E21rocsparse_complex_numIdEiiEEvbbbT3_PS3_NS_15floating_traitsIT1_E6data_tES3_T2_PKS9_SB_PKS3_PKS6_21rocsparse_index_base_SB_SB_SD_PS6_SH_SG_SB_SB_SD_SH_SH_SG_SH_SH_PS8_SI_PKS8_.uses_flat_scratch, 0
	.set _ZN9rocsparseL6kernelILi1024ELi8E21rocsparse_complex_numIdEiiEEvbbbT3_PS3_NS_15floating_traitsIT1_E6data_tES3_T2_PKS9_SB_PKS3_PKS6_21rocsparse_index_base_SB_SB_SD_PS6_SH_SG_SB_SB_SD_SH_SH_SG_SH_SH_PS8_SI_PKS8_.has_dyn_sized_stack, 0
	.set _ZN9rocsparseL6kernelILi1024ELi8E21rocsparse_complex_numIdEiiEEvbbbT3_PS3_NS_15floating_traitsIT1_E6data_tES3_T2_PKS9_SB_PKS3_PKS6_21rocsparse_index_base_SB_SB_SD_PS6_SH_SG_SB_SB_SD_SH_SH_SG_SH_SH_PS8_SI_PKS8_.has_recursion, 0
	.set _ZN9rocsparseL6kernelILi1024ELi8E21rocsparse_complex_numIdEiiEEvbbbT3_PS3_NS_15floating_traitsIT1_E6data_tES3_T2_PKS9_SB_PKS3_PKS6_21rocsparse_index_base_SB_SB_SD_PS6_SH_SG_SB_SB_SD_SH_SH_SG_SH_SH_PS8_SI_PKS8_.has_indirect_call, 0
	.section	.AMDGPU.csdata,"",@progbits
; Kernel info:
; codeLenInByte = 10272
; TotalNumSgprs: 85
; NumVgprs: 59
; ScratchSize: 0
; MemoryBound: 1
; FloatMode: 240
; IeeeMode: 1
; LDSByteSize: 1536 bytes/workgroup (compile time only)
; SGPRBlocks: 0
; VGPRBlocks: 7
; NumSGPRsForWavesPerEU: 85
; NumVGPRsForWavesPerEU: 59
; Occupancy: 16
; WaveLimiterHint : 1
; COMPUTE_PGM_RSRC2:SCRATCH_EN: 0
; COMPUTE_PGM_RSRC2:USER_SGPR: 6
; COMPUTE_PGM_RSRC2:TRAP_HANDLER: 0
; COMPUTE_PGM_RSRC2:TGID_X_EN: 1
; COMPUTE_PGM_RSRC2:TGID_Y_EN: 0
; COMPUTE_PGM_RSRC2:TGID_Z_EN: 0
; COMPUTE_PGM_RSRC2:TIDIG_COMP_CNT: 0
	.section	.text._ZN9rocsparseL6kernelILi1024ELi16E21rocsparse_complex_numIdEiiEEvbbbT3_PS3_NS_15floating_traitsIT1_E6data_tES3_T2_PKS9_SB_PKS3_PKS6_21rocsparse_index_base_SB_SB_SD_PS6_SH_SG_SB_SB_SD_SH_SH_SG_SH_SH_PS8_SI_PKS8_,"axG",@progbits,_ZN9rocsparseL6kernelILi1024ELi16E21rocsparse_complex_numIdEiiEEvbbbT3_PS3_NS_15floating_traitsIT1_E6data_tES3_T2_PKS9_SB_PKS3_PKS6_21rocsparse_index_base_SB_SB_SD_PS6_SH_SG_SB_SB_SD_SH_SH_SG_SH_SH_PS8_SI_PKS8_,comdat
	.globl	_ZN9rocsparseL6kernelILi1024ELi16E21rocsparse_complex_numIdEiiEEvbbbT3_PS3_NS_15floating_traitsIT1_E6data_tES3_T2_PKS9_SB_PKS3_PKS6_21rocsparse_index_base_SB_SB_SD_PS6_SH_SG_SB_SB_SD_SH_SH_SG_SH_SH_PS8_SI_PKS8_ ; -- Begin function _ZN9rocsparseL6kernelILi1024ELi16E21rocsparse_complex_numIdEiiEEvbbbT3_PS3_NS_15floating_traitsIT1_E6data_tES3_T2_PKS9_SB_PKS3_PKS6_21rocsparse_index_base_SB_SB_SD_PS6_SH_SG_SB_SB_SD_SH_SH_SG_SH_SH_PS8_SI_PKS8_
	.p2align	8
	.type	_ZN9rocsparseL6kernelILi1024ELi16E21rocsparse_complex_numIdEiiEEvbbbT3_PS3_NS_15floating_traitsIT1_E6data_tES3_T2_PKS9_SB_PKS3_PKS6_21rocsparse_index_base_SB_SB_SD_PS6_SH_SG_SB_SB_SD_SH_SH_SG_SH_SH_PS8_SI_PKS8_,@function
_ZN9rocsparseL6kernelILi1024ELi16E21rocsparse_complex_numIdEiiEEvbbbT3_PS3_NS_15floating_traitsIT1_E6data_tES3_T2_PKS9_SB_PKS3_PKS6_21rocsparse_index_base_SB_SB_SD_PS6_SH_SG_SB_SB_SD_SH_SH_SG_SH_SH_PS8_SI_PKS8_: ; @_ZN9rocsparseL6kernelILi1024ELi16E21rocsparse_complex_numIdEiiEEvbbbT3_PS3_NS_15floating_traitsIT1_E6data_tES3_T2_PKS9_SB_PKS3_PKS6_21rocsparse_index_base_SB_SB_SD_PS6_SH_SG_SB_SB_SD_SH_SH_SG_SH_SH_PS8_SI_PKS8_
; %bb.0:
	s_clause 0x4
	s_load_dword s0, s[4:5], 0x0
	s_load_dwordx2 s[10:11], s[4:5], 0x0
	s_load_dword s57, s[4:5], 0x18
	s_load_dwordx4 s[44:47], s[4:5], 0x8
	s_load_dwordx4 s[28:31], s[4:5], 0xb8
	v_lshrrev_b32_e32 v37, 4, v0
	v_mov_b32_e32 v1, 0
	v_mov_b32_e32 v15, 0
	;; [unrolled: 1-line block ×3, first 2 shown]
	v_lshlrev_b32_e32 v40, 3, v0
	v_and_b32_e32 v38, 15, v0
	v_mov_b32_e32 v2, v1
	v_mov_b32_e32 v16, 0
	;; [unrolled: 1-line block ×3, first 2 shown]
	v_mbcnt_lo_u32_b32 v39, -1, 0
	s_mov_b32 s59, 0
	ds_write_b64 v40, v[1:2]
	s_waitcnt lgkmcnt(0)
	s_barrier
	buffer_gl0_inv
	s_bitcmp1_b32 s0, 0
	s_cselect_b32 s58, -1, 0
	s_bitcmp1_b32 s0, 8
	s_cselect_b32 s56, -1, 0
	;; [unrolled: 2-line block ×3, first 2 shown]
	s_lshl_b32 s64, s6, 10
	s_cmp_gt_i32 s11, 0
	v_or_b32_e32 v41, s64, v37
	s_cselect_b32 s0, -1, 0
	v_cmp_gt_i32_e32 vcc_lo, s57, v41
	s_and_b32 s0, s0, vcc_lo
	s_and_saveexec_b32 s60, s0
	s_cbranch_execnz .LBB53_3
; %bb.1:
	s_or_b32 exec_lo, exec_lo, s60
	s_andn2_b32 vcc_lo, exec_lo, s58
	s_cbranch_vccz .LBB53_178
.LBB53_2:
	v_cmp_eq_u32_e32 vcc_lo, 0, v0
	s_and_b32 s0, vcc_lo, s56
	s_and_saveexec_b32 s1, s0
	s_cbranch_execnz .LBB53_196
	s_branch .LBB53_202
.LBB53_3:
	s_clause 0x9
	s_load_dword s61, s[4:5], 0x40
	s_load_dword s62, s[4:5], 0x70
	;; [unrolled: 1-line block ×3, first 2 shown]
	s_load_dwordx2 s[34:35], s[4:5], 0x98
	s_load_dwordx2 s[52:53], s[4:5], 0x68
	;; [unrolled: 1-line block ×3, first 2 shown]
	s_load_dwordx4 s[48:51], s[4:5], 0xa8
	s_load_dwordx8 s[12:19], s[4:5], 0x78
	s_load_dwordx8 s[20:27], s[4:5], 0x48
	;; [unrolled: 1-line block ×3, first 2 shown]
	s_addk_i32 s64, 0x400
	v_mov_b32_e32 v13, 0
	v_mov_b32_e32 v15, 0
	v_cmp_eq_u32_e64 s0, 15, v38
	v_lshlrev_b32_e32 v42, 3, v37
	v_cmp_gt_u32_e64 s1, 32, v0
	v_cmp_gt_u32_e64 s2, 16, v0
	;; [unrolled: 1-line block ×5, first 2 shown]
	v_cmp_eq_u32_e64 s6, 0, v0
	v_cmp_gt_u32_e64 s7, s64, v41
	s_waitcnt lgkmcnt(0)
	v_subrev_nc_u32_e32 v43, s61, v38
	v_subrev_nc_u32_e32 v44, s62, v38
	;; [unrolled: 1-line block ×3, first 2 shown]
	v_cmp_eq_u32_e64 s8, 0, v38
	v_mov_b32_e32 v14, 0
	v_mov_b32_e32 v16, 0
	;; [unrolled: 1-line block ×3, first 2 shown]
	s_and_b32 s9, s56, s33
	s_xor_b32 s65, s56, -1
	s_xor_b32 s66, s9, -1
	s_mov_b32 s67, 0
	s_branch .LBB53_5
.LBB53_4:                               ;   in Loop: Header=BB53_5 Depth=1
	s_or_b32 exec_lo, exec_lo, s9
	s_and_b32 s9, exec_lo, s10
	s_or_b32 s59, s9, s59
	s_andn2_b32 exec_lo, exec_lo, s59
	s_cbranch_execz .LBB53_177
.LBB53_5:                               ; =>This Loop Header: Depth=1
                                        ;     Child Loop BB53_9 Depth 2
                                        ;       Child Loop BB53_14 Depth 3
                                        ;         Child Loop BB53_18 Depth 4
                                        ;         Child Loop BB53_53 Depth 4
	;; [unrolled: 1-line block ×5, first 2 shown]
                                        ;     Child Loop BB53_156 Depth 2
                                        ;       Child Loop BB53_159 Depth 3
                                        ;       Child Loop BB53_162 Depth 3
	v_cndmask_b32_e64 v16, v16, 0, s56
	v_cndmask_b32_e64 v15, v15, 0, s56
	;; [unrolled: 1-line block ×4, first 2 shown]
	s_mov_b32 s68, 0
	s_branch .LBB53_9
.LBB53_6:                               ;   in Loop: Header=BB53_9 Depth=2
	s_or_b32 exec_lo, exec_lo, s71
.LBB53_7:                               ;   in Loop: Header=BB53_9 Depth=2
	s_or_b32 exec_lo, exec_lo, s70
.LBB53_8:                               ;   in Loop: Header=BB53_9 Depth=2
	s_or_b32 exec_lo, exec_lo, s69
	s_add_i32 s68, s68, 1
	s_cmp_eq_u32 s68, 16
	s_cbranch_scc1 .LBB53_121
.LBB53_9:                               ;   Parent Loop BB53_5 Depth=1
                                        ; =>  This Loop Header: Depth=2
                                        ;       Child Loop BB53_14 Depth 3
                                        ;         Child Loop BB53_18 Depth 4
                                        ;         Child Loop BB53_53 Depth 4
	;; [unrolled: 1-line block ×5, first 2 shown]
	v_lshl_add_u32 v19, s68, 6, v41
	s_mov_b32 s69, exec_lo
	v_cmpx_gt_i32_e64 s57, v19
	s_cbranch_execz .LBB53_8
; %bb.10:                               ;   in Loop: Header=BB53_9 Depth=2
	v_ashrrev_i32_e32 v20, 31, v19
	s_mov_b32 s70, exec_lo
	v_lshlrev_b64 v[1:2], 2, v[19:20]
	v_add_co_u32 v3, vcc_lo, s36, v1
	v_add_co_ci_u32_e64 v4, null, s37, v2, vcc_lo
	v_add_co_u32 v5, vcc_lo, s38, v1
	v_add_co_ci_u32_e64 v6, null, s39, v2, vcc_lo
	global_load_dword v3, v[3:4], off
	global_load_dword v4, v[5:6], off
	s_waitcnt vmcnt(1)
	v_add_nc_u32_e32 v20, v43, v3
	s_waitcnt vmcnt(0)
	v_subrev_nc_u32_e32 v46, s61, v4
	v_cmpx_lt_i32_e64 v20, v46
	s_cbranch_execz .LBB53_7
; %bb.11:                               ;   in Loop: Header=BB53_9 Depth=2
	v_add_co_u32 v3, vcc_lo, s20, v1
	v_add_co_ci_u32_e64 v4, null, s21, v2, vcc_lo
	v_add_co_u32 v1, vcc_lo, s22, v1
	v_add_co_ci_u32_e64 v2, null, s23, v2, vcc_lo
	global_load_dword v3, v[3:4], off
	s_mov_b32 s71, 0
	global_load_dword v4, v[1:2], off
	s_waitcnt vmcnt(1)
	v_subrev_nc_u32_e32 v22, s62, v3
	s_waitcnt vmcnt(0)
	v_sub_nc_u32_e32 v47, v4, v3
	v_ashrrev_i32_e32 v23, 31, v22
	v_cmp_lt_i32_e64 s9, 0, v47
	v_lshlrev_b64 v[1:2], 2, v[22:23]
	v_lshlrev_b64 v[3:4], 4, v[22:23]
	v_add_co_u32 v48, vcc_lo, s24, v1
	v_add_co_ci_u32_e64 v49, null, s25, v2, vcc_lo
	v_add_co_u32 v50, vcc_lo, s26, v3
	v_add_co_ci_u32_e64 v51, null, s27, v4, vcc_lo
	s_branch .LBB53_14
.LBB53_12:                              ;   in Loop: Header=BB53_14 Depth=3
	s_or_b32 exec_lo, exec_lo, s72
.LBB53_13:                              ;   in Loop: Header=BB53_14 Depth=3
	s_or_b32 exec_lo, exec_lo, s10
	v_add_nc_u32_e32 v20, 16, v20
	v_cmp_ge_i32_e32 vcc_lo, v20, v46
	s_or_b32 s71, vcc_lo, s71
	s_andn2_b32 exec_lo, exec_lo, s71
	s_cbranch_execz .LBB53_6
.LBB53_14:                              ;   Parent Loop BB53_5 Depth=1
                                        ;     Parent Loop BB53_9 Depth=2
                                        ; =>    This Loop Header: Depth=3
                                        ;         Child Loop BB53_18 Depth 4
                                        ;         Child Loop BB53_53 Depth 4
	;; [unrolled: 1-line block ×5, first 2 shown]
	v_ashrrev_i32_e32 v21, 31, v20
	v_mov_b32_e32 v17, 0
	v_mov_b32_e32 v25, 0
	;; [unrolled: 1-line block ×4, first 2 shown]
	v_lshlrev_b64 v[1:2], 2, v[20:21]
	v_mov_b32_e32 v28, 0
	v_mov_b32_e32 v30, v17
	v_add_co_u32 v1, vcc_lo, s40, v1
	v_add_co_ci_u32_e64 v2, null, s41, v2, vcc_lo
	global_load_dword v1, v[1:2], off
	s_waitcnt vmcnt(0)
	v_subrev_nc_u32_e32 v23, s61, v1
	v_ashrrev_i32_e32 v24, 31, v23
	v_lshlrev_b64 v[1:2], 2, v[23:24]
	v_add_co_u32 v3, vcc_lo, s12, v1
	v_add_co_ci_u32_e64 v4, null, s13, v2, vcc_lo
	v_add_co_u32 v1, vcc_lo, s14, v1
	v_add_co_ci_u32_e64 v2, null, s15, v2, vcc_lo
	global_load_dword v3, v[3:4], off
	global_load_dword v1, v[1:2], off
	s_waitcnt vmcnt(1)
	v_subrev_nc_u32_e32 v29, s63, v3
	s_waitcnt vmcnt(0)
	v_sub_nc_u32_e32 v52, v1, v3
	s_and_saveexec_b32 s72, s9
	s_cbranch_execz .LBB53_22
; %bb.15:                               ;   in Loop: Header=BB53_14 Depth=3
	v_ashrrev_i32_e32 v30, 31, v29
	v_mov_b32_e32 v25, 0
	v_mov_b32_e32 v27, 0
	;; [unrolled: 1-line block ×4, first 2 shown]
	v_lshlrev_b64 v[1:2], 2, v[29:30]
	v_lshlrev_b64 v[3:4], 4, v[29:30]
	v_mov_b32_e32 v30, 0
	v_mov_b32_e32 v17, 0
	s_mov_b32 s73, 0
                                        ; implicit-def: $sgpr74
	v_add_co_u32 v1, vcc_lo, s16, v1
	v_add_co_ci_u32_e64 v2, null, s17, v2, vcc_lo
	v_add_co_u32 v3, vcc_lo, s18, v3
	v_add_co_ci_u32_e64 v4, null, s19, v4, vcc_lo
	s_branch .LBB53_18
.LBB53_16:                              ;   in Loop: Header=BB53_18 Depth=4
	s_or_b32 exec_lo, exec_lo, s10
	v_cmp_le_i32_e32 vcc_lo, v5, v6
	v_cmp_ge_i32_e64 s10, v5, v6
	v_add_co_ci_u32_e64 v17, null, 0, v17, vcc_lo
	v_add_co_ci_u32_e64 v30, null, 0, v30, s10
	s_andn2_b32 s10, s74, exec_lo
	v_cmp_ge_i32_e32 vcc_lo, v17, v47
	s_and_b32 s74, vcc_lo, exec_lo
	s_or_b32 s74, s10, s74
.LBB53_17:                              ;   in Loop: Header=BB53_18 Depth=4
	s_or_b32 exec_lo, exec_lo, s75
	s_and_b32 s10, exec_lo, s74
	s_or_b32 s73, s10, s73
	s_andn2_b32 exec_lo, exec_lo, s73
	s_cbranch_execz .LBB53_21
.LBB53_18:                              ;   Parent Loop BB53_5 Depth=1
                                        ;     Parent Loop BB53_9 Depth=2
                                        ;       Parent Loop BB53_14 Depth=3
                                        ; =>      This Inner Loop Header: Depth=4
	s_or_b32 s74, s74, exec_lo
	s_mov_b32 s75, exec_lo
	v_cmpx_lt_i32_e64 v30, v52
	s_cbranch_execz .LBB53_17
; %bb.19:                               ;   in Loop: Header=BB53_18 Depth=4
	v_mov_b32_e32 v31, v18
	v_lshlrev_b64 v[5:6], 2, v[17:18]
	s_mov_b32 s10, exec_lo
	v_lshlrev_b64 v[7:8], 2, v[30:31]
	v_add_co_u32 v5, vcc_lo, v48, v5
	v_add_co_ci_u32_e64 v6, null, v49, v6, vcc_lo
	v_add_co_u32 v7, vcc_lo, v1, v7
	v_add_co_ci_u32_e64 v8, null, v2, v8, vcc_lo
	global_load_dword v5, v[5:6], off
	global_load_dword v6, v[7:8], off
	s_waitcnt vmcnt(1)
	v_subrev_nc_u32_e32 v5, s62, v5
	s_waitcnt vmcnt(0)
	v_subrev_nc_u32_e32 v6, s63, v6
	v_cmpx_eq_u32_e64 v5, v6
	s_cbranch_execz .LBB53_16
; %bb.20:                               ;   in Loop: Header=BB53_18 Depth=4
	v_lshlrev_b64 v[7:8], 4, v[17:18]
	v_lshlrev_b64 v[9:10], 4, v[30:31]
	v_add_co_u32 v7, vcc_lo, v50, v7
	v_add_co_ci_u32_e64 v8, null, v51, v8, vcc_lo
	v_add_co_u32 v11, vcc_lo, v3, v9
	v_add_co_ci_u32_e64 v12, null, v4, v10, vcc_lo
	global_load_dwordx4 v[7:10], v[7:8], off
	global_load_dwordx4 v[31:34], v[11:12], off
	s_waitcnt vmcnt(0)
	v_fma_f64 v[11:12], v[7:8], v[31:32], v[25:26]
	v_fma_f64 v[27:28], v[9:10], v[31:32], v[27:28]
	v_fma_f64 v[25:26], -v[9:10], v[33:34], v[11:12]
	v_fma_f64 v[27:28], v[7:8], v[33:34], v[27:28]
	s_branch .LBB53_16
.LBB53_21:                              ;   in Loop: Header=BB53_14 Depth=3
	s_or_b32 exec_lo, exec_lo, s73
.LBB53_22:                              ;   in Loop: Header=BB53_14 Depth=3
	s_or_b32 exec_lo, exec_lo, s72
	v_lshlrev_b64 v[1:2], 4, v[20:21]
	v_cmp_le_i32_e64 s10, v19, v23
	s_mov_b32 s72, exec_lo
	v_add_co_u32 v1, vcc_lo, s42, v1
	v_add_co_ci_u32_e64 v2, null, s43, v2, vcc_lo
	global_load_dwordx4 v[1:4], v[1:2], off
	s_waitcnt vmcnt(0)
	v_add_f64 v[5:6], v[1:2], -v[25:26]
	v_add_f64 v[7:8], v[3:4], -v[27:28]
	v_cmpx_gt_i32_e64 v19, v23
	s_cbranch_execz .LBB53_32
; %bb.23:                               ;   in Loop: Header=BB53_14 Depth=3
	v_lshlrev_b64 v[9:10], 4, v[23:24]
	s_mov_b32 s73, exec_lo
                                        ; implicit-def: $vgpr35_vgpr36
	v_add_co_u32 v9, vcc_lo, s48, v9
	v_add_co_ci_u32_e64 v10, null, s49, v10, vcc_lo
	global_load_dwordx4 v[9:12], v[9:10], off
	s_waitcnt vmcnt(0)
	v_cmp_gt_f64_e32 vcc_lo, 0, v[9:10]
	v_xor_b32_e32 v21, 0x80000000, v10
	v_xor_b32_e32 v33, 0x80000000, v12
	v_mov_b32_e32 v31, v9
	v_cndmask_b32_e32 v32, v10, v21, vcc_lo
	v_cmp_gt_f64_e32 vcc_lo, 0, v[11:12]
	v_cndmask_b32_e32 v34, v12, v33, vcc_lo
	v_mov_b32_e32 v33, v11
	v_cmpx_ngt_f64_e32 v[31:32], v[33:34]
	s_xor_b32 s73, exec_lo, s73
	s_cbranch_execz .LBB53_27
; %bb.24:                               ;   in Loop: Header=BB53_14 Depth=3
	v_mov_b32_e32 v35, 0
	v_mov_b32_e32 v36, 0
	s_mov_b32 s74, exec_lo
	v_cmpx_neq_f64_e32 0, v[11:12]
	s_cbranch_execz .LBB53_26
; %bb.25:                               ;   in Loop: Header=BB53_14 Depth=3
	v_div_scale_f64 v[35:36], null, v[33:34], v[33:34], v[31:32]
	v_div_scale_f64 v[57:58], vcc_lo, v[31:32], v[33:34], v[31:32]
	v_rcp_f64_e32 v[53:54], v[35:36]
	v_fma_f64 v[55:56], -v[35:36], v[53:54], 1.0
	v_fma_f64 v[53:54], v[53:54], v[55:56], v[53:54]
	v_fma_f64 v[55:56], -v[35:36], v[53:54], 1.0
	v_fma_f64 v[53:54], v[53:54], v[55:56], v[53:54]
	v_mul_f64 v[55:56], v[57:58], v[53:54]
	v_fma_f64 v[35:36], -v[35:36], v[55:56], v[57:58]
	v_div_fmas_f64 v[35:36], v[35:36], v[53:54], v[55:56]
	v_div_fixup_f64 v[31:32], v[35:36], v[33:34], v[31:32]
	v_fma_f64 v[31:32], v[31:32], v[31:32], 1.0
	v_cmp_gt_f64_e32 vcc_lo, 0x10000000, v[31:32]
	v_cndmask_b32_e64 v21, 0, 0x100, vcc_lo
	v_ldexp_f64 v[31:32], v[31:32], v21
	v_cndmask_b32_e64 v21, 0, 0xffffff80, vcc_lo
	v_rsq_f64_e32 v[35:36], v[31:32]
	v_cmp_class_f64_e64 vcc_lo, v[31:32], 0x260
	v_mul_f64 v[53:54], v[31:32], v[35:36]
	v_mul_f64 v[35:36], v[35:36], 0.5
	v_fma_f64 v[55:56], -v[35:36], v[53:54], 0.5
	v_fma_f64 v[53:54], v[53:54], v[55:56], v[53:54]
	v_fma_f64 v[35:36], v[35:36], v[55:56], v[35:36]
	v_fma_f64 v[55:56], -v[53:54], v[53:54], v[31:32]
	v_fma_f64 v[53:54], v[55:56], v[35:36], v[53:54]
	v_fma_f64 v[55:56], -v[53:54], v[53:54], v[31:32]
	v_fma_f64 v[35:36], v[55:56], v[35:36], v[53:54]
	v_ldexp_f64 v[35:36], v[35:36], v21
	v_cndmask_b32_e32 v32, v36, v32, vcc_lo
	v_cndmask_b32_e32 v31, v35, v31, vcc_lo
	v_mul_f64 v[35:36], v[33:34], v[31:32]
.LBB53_26:                              ;   in Loop: Header=BB53_14 Depth=3
	s_or_b32 exec_lo, exec_lo, s74
                                        ; implicit-def: $vgpr31_vgpr32
                                        ; implicit-def: $vgpr33_vgpr34
.LBB53_27:                              ;   in Loop: Header=BB53_14 Depth=3
	s_andn2_saveexec_b32 s73, s73
	s_cbranch_execz .LBB53_29
; %bb.28:                               ;   in Loop: Header=BB53_14 Depth=3
	v_div_scale_f64 v[35:36], null, v[31:32], v[31:32], v[33:34]
	v_div_scale_f64 v[57:58], vcc_lo, v[33:34], v[31:32], v[33:34]
	v_rcp_f64_e32 v[53:54], v[35:36]
	v_fma_f64 v[55:56], -v[35:36], v[53:54], 1.0
	v_fma_f64 v[53:54], v[53:54], v[55:56], v[53:54]
	v_fma_f64 v[55:56], -v[35:36], v[53:54], 1.0
	v_fma_f64 v[53:54], v[53:54], v[55:56], v[53:54]
	v_mul_f64 v[55:56], v[57:58], v[53:54]
	v_fma_f64 v[35:36], -v[35:36], v[55:56], v[57:58]
	v_div_fmas_f64 v[35:36], v[35:36], v[53:54], v[55:56]
	v_div_fixup_f64 v[33:34], v[35:36], v[31:32], v[33:34]
	v_fma_f64 v[33:34], v[33:34], v[33:34], 1.0
	v_cmp_gt_f64_e32 vcc_lo, 0x10000000, v[33:34]
	v_cndmask_b32_e64 v21, 0, 0x100, vcc_lo
	v_ldexp_f64 v[33:34], v[33:34], v21
	v_cndmask_b32_e64 v21, 0, 0xffffff80, vcc_lo
	v_rsq_f64_e32 v[35:36], v[33:34]
	v_cmp_class_f64_e64 vcc_lo, v[33:34], 0x260
	v_mul_f64 v[53:54], v[33:34], v[35:36]
	v_mul_f64 v[35:36], v[35:36], 0.5
	v_fma_f64 v[55:56], -v[35:36], v[53:54], 0.5
	v_fma_f64 v[53:54], v[53:54], v[55:56], v[53:54]
	v_fma_f64 v[35:36], v[35:36], v[55:56], v[35:36]
	v_fma_f64 v[55:56], -v[53:54], v[53:54], v[33:34]
	v_fma_f64 v[53:54], v[55:56], v[35:36], v[53:54]
	v_fma_f64 v[55:56], -v[53:54], v[53:54], v[33:34]
	v_fma_f64 v[35:36], v[55:56], v[35:36], v[53:54]
	v_ldexp_f64 v[35:36], v[35:36], v21
	v_cndmask_b32_e32 v34, v36, v34, vcc_lo
	v_cndmask_b32_e32 v33, v35, v33, vcc_lo
	v_mul_f64 v[35:36], v[31:32], v[33:34]
.LBB53_29:                              ;   in Loop: Header=BB53_14 Depth=3
	s_or_b32 exec_lo, exec_lo, s73
	v_mov_b32_e32 v31, 0
	v_mov_b32_e32 v33, 0
	;; [unrolled: 1-line block ×4, first 2 shown]
	s_mov_b32 s73, exec_lo
	v_cmpx_lt_f64_e32 0, v[35:36]
	s_cbranch_execz .LBB53_31
; %bb.30:                               ;   in Loop: Header=BB53_14 Depth=3
	v_mul_f64 v[31:32], v[11:12], v[11:12]
	v_fma_f64 v[31:32], v[9:10], v[9:10], v[31:32]
	v_div_scale_f64 v[33:34], null, v[31:32], v[31:32], 1.0
	v_div_scale_f64 v[55:56], vcc_lo, 1.0, v[31:32], 1.0
	v_rcp_f64_e32 v[35:36], v[33:34]
	v_fma_f64 v[53:54], -v[33:34], v[35:36], 1.0
	v_fma_f64 v[35:36], v[35:36], v[53:54], v[35:36]
	v_fma_f64 v[53:54], -v[33:34], v[35:36], 1.0
	v_fma_f64 v[35:36], v[35:36], v[53:54], v[35:36]
	v_mul_f64 v[53:54], v[55:56], v[35:36]
	v_fma_f64 v[33:34], -v[33:34], v[53:54], v[55:56]
	v_mul_f64 v[55:56], v[7:8], v[11:12]
	v_mul_f64 v[11:12], v[11:12], -v[5:6]
	v_div_fmas_f64 v[33:34], v[33:34], v[35:36], v[53:54]
	v_fma_f64 v[5:6], v[5:6], v[9:10], v[55:56]
	v_fma_f64 v[7:8], v[7:8], v[9:10], v[11:12]
	v_div_fixup_f64 v[31:32], v[33:34], v[31:32], 1.0
	v_mul_f64 v[33:34], v[5:6], v[31:32]
	v_mul_f64 v[31:32], v[7:8], v[31:32]
.LBB53_31:                              ;   in Loop: Header=BB53_14 Depth=3
	s_or_b32 exec_lo, exec_lo, s73
	v_mov_b32_e32 v7, v31
	v_mov_b32_e32 v5, v33
	;; [unrolled: 1-line block ×4, first 2 shown]
.LBB53_32:                              ;   in Loop: Header=BB53_14 Depth=3
	s_or_b32 exec_lo, exec_lo, s72
	v_cmp_gt_f64_e32 vcc_lo, 0, v[5:6]
	v_xor_b32_e32 v10, 0x80000000, v6
	v_xor_b32_e32 v11, 0x80000000, v8
	v_mov_b32_e32 v9, v5
	s_mov_b32 s72, exec_lo
                                        ; implicit-def: $vgpr31_vgpr32
	v_cndmask_b32_e32 v10, v6, v10, vcc_lo
	v_cmp_gt_f64_e32 vcc_lo, 0, v[7:8]
	v_cndmask_b32_e32 v12, v8, v11, vcc_lo
	v_mov_b32_e32 v11, v7
	v_cmpx_ngt_f64_e32 v[9:10], v[11:12]
	s_xor_b32 s72, exec_lo, s72
	s_cbranch_execnz .LBB53_36
; %bb.33:                               ;   in Loop: Header=BB53_14 Depth=3
	s_andn2_saveexec_b32 s72, s72
	s_cbranch_execnz .LBB53_39
.LBB53_34:                              ;   in Loop: Header=BB53_14 Depth=3
	s_or_b32 exec_lo, exec_lo, s72
	v_cmp_class_f64_e64 s72, v[31:32], 0x1f8
	s_and_saveexec_b32 s73, s72
	s_cbranch_execnz .LBB53_40
.LBB53_35:                              ;   in Loop: Header=BB53_14 Depth=3
	s_or_b32 exec_lo, exec_lo, s73
	s_and_b32 s72, s33, s72
	s_and_saveexec_b32 s10, s72
	s_cbranch_execz .LBB53_13
	s_branch .LBB53_81
.LBB53_36:                              ;   in Loop: Header=BB53_14 Depth=3
	v_mov_b32_e32 v31, 0
	v_mov_b32_e32 v32, 0
	s_mov_b32 s73, exec_lo
	v_cmpx_neq_f64_e32 0, v[7:8]
	s_cbranch_execz .LBB53_38
; %bb.37:                               ;   in Loop: Header=BB53_14 Depth=3
	v_div_scale_f64 v[31:32], null, v[11:12], v[11:12], v[9:10]
	v_div_scale_f64 v[53:54], vcc_lo, v[9:10], v[11:12], v[9:10]
	v_rcp_f64_e32 v[33:34], v[31:32]
	v_fma_f64 v[35:36], -v[31:32], v[33:34], 1.0
	v_fma_f64 v[33:34], v[33:34], v[35:36], v[33:34]
	v_fma_f64 v[35:36], -v[31:32], v[33:34], 1.0
	v_fma_f64 v[33:34], v[33:34], v[35:36], v[33:34]
	v_mul_f64 v[35:36], v[53:54], v[33:34]
	v_fma_f64 v[31:32], -v[31:32], v[35:36], v[53:54]
	v_div_fmas_f64 v[31:32], v[31:32], v[33:34], v[35:36]
	v_div_fixup_f64 v[9:10], v[31:32], v[11:12], v[9:10]
	v_fma_f64 v[9:10], v[9:10], v[9:10], 1.0
	v_cmp_gt_f64_e32 vcc_lo, 0x10000000, v[9:10]
	v_cndmask_b32_e64 v21, 0, 0x100, vcc_lo
	v_ldexp_f64 v[9:10], v[9:10], v21
	v_cndmask_b32_e64 v21, 0, 0xffffff80, vcc_lo
	v_rsq_f64_e32 v[31:32], v[9:10]
	v_cmp_class_f64_e64 vcc_lo, v[9:10], 0x260
	v_mul_f64 v[33:34], v[9:10], v[31:32]
	v_mul_f64 v[31:32], v[31:32], 0.5
	v_fma_f64 v[35:36], -v[31:32], v[33:34], 0.5
	v_fma_f64 v[33:34], v[33:34], v[35:36], v[33:34]
	v_fma_f64 v[31:32], v[31:32], v[35:36], v[31:32]
	v_fma_f64 v[35:36], -v[33:34], v[33:34], v[9:10]
	v_fma_f64 v[33:34], v[35:36], v[31:32], v[33:34]
	v_fma_f64 v[35:36], -v[33:34], v[33:34], v[9:10]
	v_fma_f64 v[31:32], v[35:36], v[31:32], v[33:34]
	v_ldexp_f64 v[31:32], v[31:32], v21
	v_cndmask_b32_e32 v10, v32, v10, vcc_lo
	v_cndmask_b32_e32 v9, v31, v9, vcc_lo
	v_mul_f64 v[31:32], v[11:12], v[9:10]
.LBB53_38:                              ;   in Loop: Header=BB53_14 Depth=3
	s_or_b32 exec_lo, exec_lo, s73
                                        ; implicit-def: $vgpr9_vgpr10
                                        ; implicit-def: $vgpr11_vgpr12
	s_andn2_saveexec_b32 s72, s72
	s_cbranch_execz .LBB53_34
.LBB53_39:                              ;   in Loop: Header=BB53_14 Depth=3
	v_div_scale_f64 v[31:32], null, v[9:10], v[9:10], v[11:12]
	v_div_scale_f64 v[53:54], vcc_lo, v[11:12], v[9:10], v[11:12]
	v_rcp_f64_e32 v[33:34], v[31:32]
	v_fma_f64 v[35:36], -v[31:32], v[33:34], 1.0
	v_fma_f64 v[33:34], v[33:34], v[35:36], v[33:34]
	v_fma_f64 v[35:36], -v[31:32], v[33:34], 1.0
	v_fma_f64 v[33:34], v[33:34], v[35:36], v[33:34]
	v_mul_f64 v[35:36], v[53:54], v[33:34]
	v_fma_f64 v[31:32], -v[31:32], v[35:36], v[53:54]
	v_div_fmas_f64 v[31:32], v[31:32], v[33:34], v[35:36]
	v_div_fixup_f64 v[11:12], v[31:32], v[9:10], v[11:12]
	v_fma_f64 v[11:12], v[11:12], v[11:12], 1.0
	v_cmp_gt_f64_e32 vcc_lo, 0x10000000, v[11:12]
	v_cndmask_b32_e64 v21, 0, 0x100, vcc_lo
	v_ldexp_f64 v[11:12], v[11:12], v21
	v_cndmask_b32_e64 v21, 0, 0xffffff80, vcc_lo
	v_rsq_f64_e32 v[31:32], v[11:12]
	v_cmp_class_f64_e64 vcc_lo, v[11:12], 0x260
	v_mul_f64 v[33:34], v[11:12], v[31:32]
	v_mul_f64 v[31:32], v[31:32], 0.5
	v_fma_f64 v[35:36], -v[31:32], v[33:34], 0.5
	v_fma_f64 v[33:34], v[33:34], v[35:36], v[33:34]
	v_fma_f64 v[31:32], v[31:32], v[35:36], v[31:32]
	v_fma_f64 v[35:36], -v[33:34], v[33:34], v[11:12]
	v_fma_f64 v[33:34], v[35:36], v[31:32], v[33:34]
	v_fma_f64 v[35:36], -v[33:34], v[33:34], v[11:12]
	v_fma_f64 v[31:32], v[35:36], v[31:32], v[33:34]
	v_ldexp_f64 v[31:32], v[31:32], v21
	v_cndmask_b32_e32 v12, v32, v12, vcc_lo
	v_cndmask_b32_e32 v11, v31, v11, vcc_lo
	v_mul_f64 v[31:32], v[9:10], v[11:12]
	s_or_b32 exec_lo, exec_lo, s72
	v_cmp_class_f64_e64 s72, v[31:32], 0x1f8
	s_and_saveexec_b32 s73, s72
	s_cbranch_execz .LBB53_35
.LBB53_40:                              ;   in Loop: Header=BB53_14 Depth=3
	s_and_saveexec_b32 s74, s10
	s_xor_b32 s10, exec_lo, s74
	s_cbranch_execz .LBB53_65
; %bb.41:                               ;   in Loop: Header=BB53_14 Depth=3
	s_mov_b32 s74, exec_lo
	v_cmpx_ge_i32_e64 v19, v23
	s_xor_b32 s74, exec_lo, s74
	s_cbranch_execz .LBB53_49
; %bb.42:                               ;   in Loop: Header=BB53_14 Depth=3
	v_lshlrev_b64 v[9:10], 4, v[23:24]
	v_add_co_u32 v11, vcc_lo, s50, v9
	v_add_co_ci_u32_e64 v12, null, s51, v10, vcc_lo
	s_andn2_b32 vcc_lo, exec_lo, s56
	global_store_dwordx4 v[11:12], v[5:8], off
	s_cbranch_vccnz .LBB53_48
; %bb.43:                               ;   in Loop: Header=BB53_14 Depth=3
	v_add_co_u32 v9, vcc_lo, s48, v9
	v_add_co_ci_u32_e64 v10, null, s49, v10, vcc_lo
	s_mov_b32 s75, exec_lo
	global_load_dwordx4 v[9:12], v[9:10], off
	s_waitcnt vmcnt(0)
	v_add_f64 v[5:6], v[9:10], -v[5:6]
	v_add_f64 v[11:12], v[11:12], -v[7:8]
                                        ; implicit-def: $vgpr9_vgpr10
	v_cmp_gt_f64_e32 vcc_lo, 0, v[5:6]
	v_xor_b32_e32 v7, 0x80000000, v6
	v_xor_b32_e32 v8, 0x80000000, v12
	v_cndmask_b32_e32 v6, v6, v7, vcc_lo
	v_cmp_gt_f64_e32 vcc_lo, 0, v[11:12]
	v_mov_b32_e32 v7, v11
	v_cndmask_b32_e32 v8, v12, v8, vcc_lo
	v_cmpx_ngt_f64_e32 v[5:6], v[7:8]
	s_xor_b32 s75, exec_lo, s75
	s_cbranch_execnz .LBB53_109
; %bb.44:                               ;   in Loop: Header=BB53_14 Depth=3
	s_andn2_saveexec_b32 s75, s75
	s_cbranch_execnz .LBB53_112
.LBB53_45:                              ;   in Loop: Header=BB53_14 Depth=3
	s_or_b32 exec_lo, exec_lo, s75
	v_cmp_class_f64_e64 s76, v[9:10], 0x1f8
	s_and_saveexec_b32 s75, s76
.LBB53_46:                              ;   in Loop: Header=BB53_14 Depth=3
	v_cmp_lt_f64_e32 vcc_lo, v[15:16], v[9:10]
	v_cndmask_b32_e32 v16, v16, v10, vcc_lo
	v_cndmask_b32_e32 v15, v15, v9, vcc_lo
.LBB53_47:                              ;   in Loop: Header=BB53_14 Depth=3
	s_or_b32 exec_lo, exec_lo, s75
.LBB53_48:                              ;   in Loop: Header=BB53_14 Depth=3
                                        ; implicit-def: $vgpr5_vgpr6
.LBB53_49:                              ;   in Loop: Header=BB53_14 Depth=3
	s_andn2_saveexec_b32 s74, s74
	s_cbranch_execz .LBB53_64
; %bb.50:                               ;   in Loop: Header=BB53_14 Depth=3
	s_mov_b32 s75, exec_lo
	v_cmpx_lt_i32_e64 v30, v52
	s_cbranch_execz .LBB53_63
; %bb.51:                               ;   in Loop: Header=BB53_14 Depth=3
	v_mov_b32_e32 v11, v30
	s_mov_b32 s76, 0
                                        ; implicit-def: $sgpr77
                                        ; implicit-def: $sgpr79
                                        ; implicit-def: $sgpr78
	s_inst_prefetch 0x1
	s_branch .LBB53_53
	.p2align	6
.LBB53_52:                              ;   in Loop: Header=BB53_53 Depth=4
	s_or_b32 exec_lo, exec_lo, s80
	s_and_b32 s80, exec_lo, s79
	s_or_b32 s76, s80, s76
	s_andn2_b32 s77, s77, exec_lo
	s_and_b32 s80, s78, exec_lo
	s_or_b32 s77, s77, s80
	s_andn2_b32 exec_lo, exec_lo, s76
	s_cbranch_execz .LBB53_55
.LBB53_53:                              ;   Parent Loop BB53_5 Depth=1
                                        ;     Parent Loop BB53_9 Depth=2
                                        ;       Parent Loop BB53_14 Depth=3
                                        ; =>      This Inner Loop Header: Depth=4
	v_add_nc_u32_e32 v9, v29, v11
	s_or_b32 s78, s78, exec_lo
	s_or_b32 s79, s79, exec_lo
	s_mov_b32 s80, exec_lo
	v_ashrrev_i32_e32 v10, 31, v9
	v_lshlrev_b64 v[31:32], 2, v[9:10]
	v_add_co_u32 v31, vcc_lo, s16, v31
	v_add_co_ci_u32_e64 v32, null, s17, v32, vcc_lo
	global_load_dword v12, v[31:32], off
	s_waitcnt vmcnt(0)
	v_subrev_nc_u32_e32 v12, s63, v12
	v_cmpx_ne_u32_e64 v12, v19
	s_cbranch_execz .LBB53_52
; %bb.54:                               ;   in Loop: Header=BB53_53 Depth=4
	v_add_nc_u32_e32 v11, 1, v11
	s_andn2_b32 s79, s79, exec_lo
	s_andn2_b32 s78, s78, exec_lo
	v_cmp_ge_i32_e32 vcc_lo, v11, v52
	s_and_b32 s81, vcc_lo, exec_lo
	s_or_b32 s79, s79, s81
	s_branch .LBB53_52
.LBB53_55:                              ;   in Loop: Header=BB53_14 Depth=3
	s_inst_prefetch 0x2
	s_or_b32 exec_lo, exec_lo, s76
	s_and_saveexec_b32 s76, s77
	s_xor_b32 s76, exec_lo, s76
	s_cbranch_execz .LBB53_62
; %bb.56:                               ;   in Loop: Header=BB53_14 Depth=3
	v_lshlrev_b64 v[9:10], 4, v[9:10]
	v_add_co_u32 v11, vcc_lo, s34, v9
	v_add_co_ci_u32_e64 v12, null, s35, v10, vcc_lo
	s_andn2_b32 vcc_lo, exec_lo, s56
	global_store_dwordx4 v[11:12], v[5:8], off
	s_cbranch_vccnz .LBB53_62
; %bb.57:                               ;   in Loop: Header=BB53_14 Depth=3
	v_add_co_u32 v9, vcc_lo, s18, v9
	v_add_co_ci_u32_e64 v10, null, s19, v10, vcc_lo
	s_mov_b32 s77, exec_lo
	global_load_dwordx4 v[9:12], v[9:10], off
	s_waitcnt vmcnt(0)
	v_add_f64 v[5:6], v[9:10], -v[5:6]
	v_add_f64 v[11:12], v[11:12], -v[7:8]
                                        ; implicit-def: $vgpr9_vgpr10
	v_cmp_gt_f64_e32 vcc_lo, 0, v[5:6]
	v_xor_b32_e32 v7, 0x80000000, v6
	v_xor_b32_e32 v8, 0x80000000, v12
	v_cndmask_b32_e32 v6, v6, v7, vcc_lo
	v_cmp_gt_f64_e32 vcc_lo, 0, v[11:12]
	v_mov_b32_e32 v7, v11
	v_cndmask_b32_e32 v8, v12, v8, vcc_lo
	v_cmpx_ngt_f64_e32 v[5:6], v[7:8]
	s_xor_b32 s77, exec_lo, s77
	s_cbranch_execnz .LBB53_117
; %bb.58:                               ;   in Loop: Header=BB53_14 Depth=3
	s_andn2_saveexec_b32 s77, s77
	s_cbranch_execnz .LBB53_120
.LBB53_59:                              ;   in Loop: Header=BB53_14 Depth=3
	s_or_b32 exec_lo, exec_lo, s77
	v_cmp_class_f64_e64 s78, v[9:10], 0x1f8
	s_and_saveexec_b32 s77, s78
.LBB53_60:                              ;   in Loop: Header=BB53_14 Depth=3
	v_cmp_lt_f64_e32 vcc_lo, v[15:16], v[9:10]
	v_cndmask_b32_e32 v16, v16, v10, vcc_lo
	v_cndmask_b32_e32 v15, v15, v9, vcc_lo
.LBB53_61:                              ;   in Loop: Header=BB53_14 Depth=3
	s_or_b32 exec_lo, exec_lo, s77
.LBB53_62:                              ;   in Loop: Header=BB53_14 Depth=3
	s_or_b32 exec_lo, exec_lo, s76
.LBB53_63:                              ;   in Loop: Header=BB53_14 Depth=3
	s_or_b32 exec_lo, exec_lo, s75
.LBB53_64:                              ;   in Loop: Header=BB53_14 Depth=3
	s_or_b32 exec_lo, exec_lo, s74
                                        ; implicit-def: $vgpr5_vgpr6
.LBB53_65:                              ;   in Loop: Header=BB53_14 Depth=3
	s_andn2_saveexec_b32 s10, s10
	s_cbranch_execz .LBB53_80
; %bb.66:                               ;   in Loop: Header=BB53_14 Depth=3
	s_mov_b32 s74, exec_lo
	v_cmpx_lt_i32_e64 v17, v47
	s_cbranch_execz .LBB53_79
; %bb.67:                               ;   in Loop: Header=BB53_14 Depth=3
	v_mov_b32_e32 v11, v17
	s_mov_b32 s75, 0
                                        ; implicit-def: $sgpr76
                                        ; implicit-def: $sgpr78
                                        ; implicit-def: $sgpr77
	s_inst_prefetch 0x1
	s_branch .LBB53_69
	.p2align	6
.LBB53_68:                              ;   in Loop: Header=BB53_69 Depth=4
	s_or_b32 exec_lo, exec_lo, s79
	s_and_b32 s79, exec_lo, s78
	s_or_b32 s75, s79, s75
	s_andn2_b32 s76, s76, exec_lo
	s_and_b32 s79, s77, exec_lo
	s_or_b32 s76, s76, s79
	s_andn2_b32 exec_lo, exec_lo, s75
	s_cbranch_execz .LBB53_71
.LBB53_69:                              ;   Parent Loop BB53_5 Depth=1
                                        ;     Parent Loop BB53_9 Depth=2
                                        ;       Parent Loop BB53_14 Depth=3
                                        ; =>      This Inner Loop Header: Depth=4
	v_add_nc_u32_e32 v9, v22, v11
	s_or_b32 s77, s77, exec_lo
	s_or_b32 s78, s78, exec_lo
	s_mov_b32 s79, exec_lo
	v_ashrrev_i32_e32 v10, 31, v9
	v_lshlrev_b64 v[31:32], 2, v[9:10]
	v_add_co_u32 v31, vcc_lo, s24, v31
	v_add_co_ci_u32_e64 v32, null, s25, v32, vcc_lo
	global_load_dword v12, v[31:32], off
	s_waitcnt vmcnt(0)
	v_subrev_nc_u32_e32 v12, s62, v12
	v_cmpx_ne_u32_e64 v12, v23
	s_cbranch_execz .LBB53_68
; %bb.70:                               ;   in Loop: Header=BB53_69 Depth=4
	v_add_nc_u32_e32 v11, 1, v11
	s_andn2_b32 s78, s78, exec_lo
	s_andn2_b32 s77, s77, exec_lo
	v_cmp_ge_i32_e32 vcc_lo, v11, v47
	s_and_b32 s80, vcc_lo, exec_lo
	s_or_b32 s78, s78, s80
	s_branch .LBB53_68
.LBB53_71:                              ;   in Loop: Header=BB53_14 Depth=3
	s_inst_prefetch 0x2
	s_or_b32 exec_lo, exec_lo, s75
	s_and_saveexec_b32 s75, s76
	s_xor_b32 s75, exec_lo, s75
	s_cbranch_execz .LBB53_78
; %bb.72:                               ;   in Loop: Header=BB53_14 Depth=3
	v_lshlrev_b64 v[9:10], 4, v[9:10]
	v_add_co_u32 v11, vcc_lo, s52, v9
	v_add_co_ci_u32_e64 v12, null, s53, v10, vcc_lo
	s_andn2_b32 vcc_lo, exec_lo, s56
	global_store_dwordx4 v[11:12], v[5:8], off
	s_cbranch_vccnz .LBB53_78
; %bb.73:                               ;   in Loop: Header=BB53_14 Depth=3
	v_add_co_u32 v9, vcc_lo, s26, v9
	v_add_co_ci_u32_e64 v10, null, s27, v10, vcc_lo
	s_mov_b32 s76, exec_lo
	global_load_dwordx4 v[9:12], v[9:10], off
	s_waitcnt vmcnt(0)
	v_add_f64 v[5:6], v[9:10], -v[5:6]
	v_add_f64 v[11:12], v[11:12], -v[7:8]
                                        ; implicit-def: $vgpr9_vgpr10
	v_cmp_gt_f64_e32 vcc_lo, 0, v[5:6]
	v_xor_b32_e32 v7, 0x80000000, v6
	v_xor_b32_e32 v8, 0x80000000, v12
	v_cndmask_b32_e32 v6, v6, v7, vcc_lo
	v_cmp_gt_f64_e32 vcc_lo, 0, v[11:12]
	v_mov_b32_e32 v7, v11
	v_cndmask_b32_e32 v8, v12, v8, vcc_lo
	v_cmpx_ngt_f64_e32 v[5:6], v[7:8]
	s_xor_b32 s76, exec_lo, s76
	s_cbranch_execnz .LBB53_113
; %bb.74:                               ;   in Loop: Header=BB53_14 Depth=3
	s_andn2_saveexec_b32 s76, s76
	s_cbranch_execnz .LBB53_116
.LBB53_75:                              ;   in Loop: Header=BB53_14 Depth=3
	s_or_b32 exec_lo, exec_lo, s76
	v_cmp_class_f64_e64 s77, v[9:10], 0x1f8
	s_and_saveexec_b32 s76, s77
.LBB53_76:                              ;   in Loop: Header=BB53_14 Depth=3
	v_cmp_lt_f64_e32 vcc_lo, v[15:16], v[9:10]
	v_cndmask_b32_e32 v16, v16, v10, vcc_lo
	v_cndmask_b32_e32 v15, v15, v9, vcc_lo
.LBB53_77:                              ;   in Loop: Header=BB53_14 Depth=3
	s_or_b32 exec_lo, exec_lo, s76
.LBB53_78:                              ;   in Loop: Header=BB53_14 Depth=3
	s_or_b32 exec_lo, exec_lo, s75
.LBB53_79:                              ;   in Loop: Header=BB53_14 Depth=3
	s_or_b32 exec_lo, exec_lo, s74
.LBB53_80:                              ;   in Loop: Header=BB53_14 Depth=3
	s_or_b32 exec_lo, exec_lo, s10
	s_or_b32 exec_lo, exec_lo, s73
	s_and_b32 s72, s33, s72
	s_and_saveexec_b32 s10, s72
	s_cbranch_execz .LBB53_13
.LBB53_81:                              ;   in Loop: Header=BB53_14 Depth=3
	s_mov_b32 s72, exec_lo
	v_cmpx_ge_i32_e64 v30, v52
	s_xor_b32 s72, exec_lo, s72
	s_cbranch_execnz .LBB53_88
; %bb.82:                               ;   in Loop: Header=BB53_14 Depth=3
	s_andn2_saveexec_b32 s72, s72
	s_cbranch_execnz .LBB53_102
.LBB53_83:                              ;   in Loop: Header=BB53_14 Depth=3
	s_or_b32 exec_lo, exec_lo, s72
	s_mov_b32 s72, exec_lo
	v_cmpx_eq_u32_e64 v19, v23
	s_cbranch_execz .LBB53_85
.LBB53_84:                              ;   in Loop: Header=BB53_14 Depth=3
	v_lshlrev_b64 v[5:6], 4, v[23:24]
	v_add_co_u32 v5, vcc_lo, s48, v5
	v_add_co_ci_u32_e64 v6, null, s49, v6, vcc_lo
	global_load_dwordx4 v[5:8], v[5:6], off
	s_waitcnt vmcnt(0)
	v_add_f64 v[25:26], v[25:26], v[5:6]
	v_add_f64 v[27:28], v[27:28], v[7:8]
.LBB53_85:                              ;   in Loop: Header=BB53_14 Depth=3
	s_or_b32 exec_lo, exec_lo, s72
	v_add_f64 v[1:2], v[1:2], -v[25:26]
	v_add_f64 v[7:8], v[3:4], -v[27:28]
	s_mov_b32 s72, exec_lo
                                        ; implicit-def: $vgpr5_vgpr6
	v_cmp_gt_f64_e32 vcc_lo, 0, v[1:2]
	v_xor_b32_e32 v3, 0x80000000, v2
	v_xor_b32_e32 v4, 0x80000000, v8
	v_cndmask_b32_e32 v2, v2, v3, vcc_lo
	v_cmp_gt_f64_e32 vcc_lo, 0, v[7:8]
	v_mov_b32_e32 v3, v7
	v_cndmask_b32_e32 v4, v8, v4, vcc_lo
	v_cmpx_ngt_f64_e32 v[1:2], v[3:4]
	s_xor_b32 s72, exec_lo, s72
	s_cbranch_execnz .LBB53_93
; %bb.86:                               ;   in Loop: Header=BB53_14 Depth=3
	s_andn2_saveexec_b32 s72, s72
	s_cbranch_execnz .LBB53_96
.LBB53_87:                              ;   in Loop: Header=BB53_14 Depth=3
	s_or_b32 exec_lo, exec_lo, s72
	v_cmp_class_f64_e64 s73, v[5:6], 0x1f8
	s_and_saveexec_b32 s72, s73
	s_cbranch_execz .LBB53_12
	s_branch .LBB53_97
.LBB53_88:                              ;   in Loop: Header=BB53_14 Depth=3
	s_mov_b32 s73, exec_lo
	v_cmpx_lt_i32_e64 v17, v47
	s_cbranch_execz .LBB53_101
; %bb.89:                               ;   in Loop: Header=BB53_14 Depth=3
	s_mov_b32 s75, 0
                                        ; implicit-def: $sgpr74
                                        ; implicit-def: $sgpr77
                                        ; implicit-def: $sgpr76
	s_inst_prefetch 0x1
	s_branch .LBB53_91
	.p2align	6
.LBB53_90:                              ;   in Loop: Header=BB53_91 Depth=4
	s_or_b32 exec_lo, exec_lo, s78
	s_and_b32 s78, exec_lo, s77
	s_or_b32 s75, s78, s75
	s_andn2_b32 s74, s74, exec_lo
	s_and_b32 s78, s76, exec_lo
	s_or_b32 s74, s74, s78
	s_andn2_b32 exec_lo, exec_lo, s75
	s_cbranch_execz .LBB53_98
.LBB53_91:                              ;   Parent Loop BB53_5 Depth=1
                                        ;     Parent Loop BB53_9 Depth=2
                                        ;       Parent Loop BB53_14 Depth=3
                                        ; =>      This Inner Loop Header: Depth=4
	v_add_nc_u32_e32 v5, v22, v17
	s_or_b32 s76, s76, exec_lo
	s_or_b32 s77, s77, exec_lo
	s_mov_b32 s78, exec_lo
	v_ashrrev_i32_e32 v6, 31, v5
	v_lshlrev_b64 v[7:8], 2, v[5:6]
	v_add_co_u32 v7, vcc_lo, s24, v7
	v_add_co_ci_u32_e64 v8, null, s25, v8, vcc_lo
	global_load_dword v7, v[7:8], off
	s_waitcnt vmcnt(0)
	v_subrev_nc_u32_e32 v7, s62, v7
	v_cmpx_ne_u32_e64 v7, v23
	s_cbranch_execz .LBB53_90
; %bb.92:                               ;   in Loop: Header=BB53_91 Depth=4
	v_add_nc_u32_e32 v17, 1, v17
	s_andn2_b32 s77, s77, exec_lo
	s_andn2_b32 s76, s76, exec_lo
	v_cmp_ge_i32_e32 vcc_lo, v17, v47
	s_and_b32 s79, vcc_lo, exec_lo
	s_or_b32 s77, s77, s79
	s_branch .LBB53_90
.LBB53_93:                              ;   in Loop: Header=BB53_14 Depth=3
	v_mov_b32_e32 v5, 0
	v_mov_b32_e32 v6, 0
	s_mov_b32 s73, exec_lo
	v_cmpx_neq_f64_e32 0, v[7:8]
	s_cbranch_execz .LBB53_95
; %bb.94:                               ;   in Loop: Header=BB53_14 Depth=3
	v_div_scale_f64 v[5:6], null, v[3:4], v[3:4], v[1:2]
	v_div_scale_f64 v[11:12], vcc_lo, v[1:2], v[3:4], v[1:2]
	v_rcp_f64_e32 v[7:8], v[5:6]
	v_fma_f64 v[9:10], -v[5:6], v[7:8], 1.0
	v_fma_f64 v[7:8], v[7:8], v[9:10], v[7:8]
	v_fma_f64 v[9:10], -v[5:6], v[7:8], 1.0
	v_fma_f64 v[7:8], v[7:8], v[9:10], v[7:8]
	v_mul_f64 v[9:10], v[11:12], v[7:8]
	v_fma_f64 v[5:6], -v[5:6], v[9:10], v[11:12]
	v_div_fmas_f64 v[5:6], v[5:6], v[7:8], v[9:10]
	v_div_fixup_f64 v[1:2], v[5:6], v[3:4], v[1:2]
	v_fma_f64 v[1:2], v[1:2], v[1:2], 1.0
	v_cmp_gt_f64_e32 vcc_lo, 0x10000000, v[1:2]
	v_cndmask_b32_e64 v5, 0, 0x100, vcc_lo
	v_ldexp_f64 v[1:2], v[1:2], v5
	v_rsq_f64_e32 v[5:6], v[1:2]
	v_mul_f64 v[7:8], v[1:2], v[5:6]
	v_mul_f64 v[5:6], v[5:6], 0.5
	v_fma_f64 v[9:10], -v[5:6], v[7:8], 0.5
	v_fma_f64 v[7:8], v[7:8], v[9:10], v[7:8]
	v_fma_f64 v[5:6], v[5:6], v[9:10], v[5:6]
	v_fma_f64 v[9:10], -v[7:8], v[7:8], v[1:2]
	v_fma_f64 v[7:8], v[9:10], v[5:6], v[7:8]
	v_fma_f64 v[9:10], -v[7:8], v[7:8], v[1:2]
	v_fma_f64 v[5:6], v[9:10], v[5:6], v[7:8]
	v_cndmask_b32_e64 v7, 0, 0xffffff80, vcc_lo
	v_cmp_class_f64_e64 vcc_lo, v[1:2], 0x260
	v_ldexp_f64 v[5:6], v[5:6], v7
	v_cndmask_b32_e32 v2, v6, v2, vcc_lo
	v_cndmask_b32_e32 v1, v5, v1, vcc_lo
	v_mul_f64 v[5:6], v[3:4], v[1:2]
.LBB53_95:                              ;   in Loop: Header=BB53_14 Depth=3
	s_or_b32 exec_lo, exec_lo, s73
                                        ; implicit-def: $vgpr1_vgpr2
                                        ; implicit-def: $vgpr3_vgpr4
	s_andn2_saveexec_b32 s72, s72
	s_cbranch_execz .LBB53_87
.LBB53_96:                              ;   in Loop: Header=BB53_14 Depth=3
	v_div_scale_f64 v[5:6], null, v[1:2], v[1:2], v[3:4]
	v_div_scale_f64 v[11:12], vcc_lo, v[3:4], v[1:2], v[3:4]
	v_rcp_f64_e32 v[7:8], v[5:6]
	v_fma_f64 v[9:10], -v[5:6], v[7:8], 1.0
	v_fma_f64 v[7:8], v[7:8], v[9:10], v[7:8]
	v_fma_f64 v[9:10], -v[5:6], v[7:8], 1.0
	v_fma_f64 v[7:8], v[7:8], v[9:10], v[7:8]
	v_mul_f64 v[9:10], v[11:12], v[7:8]
	v_fma_f64 v[5:6], -v[5:6], v[9:10], v[11:12]
	v_div_fmas_f64 v[5:6], v[5:6], v[7:8], v[9:10]
	v_div_fixup_f64 v[3:4], v[5:6], v[1:2], v[3:4]
	v_fma_f64 v[3:4], v[3:4], v[3:4], 1.0
	v_cmp_gt_f64_e32 vcc_lo, 0x10000000, v[3:4]
	v_cndmask_b32_e64 v5, 0, 0x100, vcc_lo
	v_ldexp_f64 v[3:4], v[3:4], v5
	v_rsq_f64_e32 v[5:6], v[3:4]
	v_mul_f64 v[7:8], v[3:4], v[5:6]
	v_mul_f64 v[5:6], v[5:6], 0.5
	v_fma_f64 v[9:10], -v[5:6], v[7:8], 0.5
	v_fma_f64 v[7:8], v[7:8], v[9:10], v[7:8]
	v_fma_f64 v[5:6], v[5:6], v[9:10], v[5:6]
	v_fma_f64 v[9:10], -v[7:8], v[7:8], v[3:4]
	v_fma_f64 v[7:8], v[9:10], v[5:6], v[7:8]
	v_fma_f64 v[9:10], -v[7:8], v[7:8], v[3:4]
	v_fma_f64 v[5:6], v[9:10], v[5:6], v[7:8]
	v_cndmask_b32_e64 v7, 0, 0xffffff80, vcc_lo
	v_cmp_class_f64_e64 vcc_lo, v[3:4], 0x260
	v_ldexp_f64 v[5:6], v[5:6], v7
	v_cndmask_b32_e32 v4, v6, v4, vcc_lo
	v_cndmask_b32_e32 v3, v5, v3, vcc_lo
	v_mul_f64 v[5:6], v[1:2], v[3:4]
	s_or_b32 exec_lo, exec_lo, s72
	v_cmp_class_f64_e64 s73, v[5:6], 0x1f8
	s_and_saveexec_b32 s72, s73
	s_cbranch_execz .LBB53_12
.LBB53_97:                              ;   in Loop: Header=BB53_14 Depth=3
	v_cmp_lt_f64_e32 vcc_lo, v[13:14], v[5:6]
	v_cndmask_b32_e32 v14, v14, v6, vcc_lo
	v_cndmask_b32_e32 v13, v13, v5, vcc_lo
	s_branch .LBB53_12
.LBB53_98:                              ;   in Loop: Header=BB53_14 Depth=3
	s_inst_prefetch 0x2
	s_or_b32 exec_lo, exec_lo, s75
	s_and_saveexec_b32 s75, s74
	s_xor_b32 s74, exec_lo, s75
	s_cbranch_execz .LBB53_100
; %bb.99:                               ;   in Loop: Header=BB53_14 Depth=3
	v_lshlrev_b64 v[7:8], 4, v[23:24]
	v_lshlrev_b64 v[5:6], 4, v[5:6]
	v_add_co_u32 v7, vcc_lo, s48, v7
	v_add_co_ci_u32_e64 v8, null, s49, v8, vcc_lo
	v_add_co_u32 v9, vcc_lo, s26, v5
	v_add_co_ci_u32_e64 v10, null, s27, v6, vcc_lo
	global_load_dwordx4 v[5:8], v[7:8], off
	global_load_dwordx4 v[9:12], v[9:10], off
	s_waitcnt vmcnt(0)
	v_mul_f64 v[29:30], v[7:8], -v[11:12]
	v_mul_f64 v[7:8], v[7:8], v[9:10]
	v_fma_f64 v[9:10], v[9:10], v[5:6], v[29:30]
	v_fma_f64 v[5:6], v[11:12], v[5:6], v[7:8]
	v_add_f64 v[25:26], v[25:26], v[9:10]
	v_add_f64 v[27:28], v[27:28], v[5:6]
.LBB53_100:                             ;   in Loop: Header=BB53_14 Depth=3
	s_or_b32 exec_lo, exec_lo, s74
.LBB53_101:                             ;   in Loop: Header=BB53_14 Depth=3
	s_or_b32 exec_lo, exec_lo, s73
                                        ; implicit-def: $vgpr30
                                        ; implicit-def: $vgpr29
                                        ; implicit-def: $vgpr52
	s_andn2_saveexec_b32 s72, s72
	s_cbranch_execz .LBB53_83
.LBB53_102:                             ;   in Loop: Header=BB53_14 Depth=3
	s_mov_b32 s74, 0
                                        ; implicit-def: $sgpr73
                                        ; implicit-def: $sgpr76
                                        ; implicit-def: $sgpr75
	s_inst_prefetch 0x1
	s_branch .LBB53_104
	.p2align	6
.LBB53_103:                             ;   in Loop: Header=BB53_104 Depth=4
	s_or_b32 exec_lo, exec_lo, s77
	s_and_b32 s77, exec_lo, s76
	s_or_b32 s74, s77, s74
	s_andn2_b32 s73, s73, exec_lo
	s_and_b32 s77, s75, exec_lo
	s_or_b32 s73, s73, s77
	s_andn2_b32 exec_lo, exec_lo, s74
	s_cbranch_execz .LBB53_106
.LBB53_104:                             ;   Parent Loop BB53_5 Depth=1
                                        ;     Parent Loop BB53_9 Depth=2
                                        ;       Parent Loop BB53_14 Depth=3
                                        ; =>      This Inner Loop Header: Depth=4
	v_add_nc_u32_e32 v5, v29, v30
	s_or_b32 s75, s75, exec_lo
	s_or_b32 s76, s76, exec_lo
	s_mov_b32 s77, exec_lo
	v_ashrrev_i32_e32 v6, 31, v5
	v_lshlrev_b64 v[7:8], 2, v[5:6]
	v_add_co_u32 v7, vcc_lo, s16, v7
	v_add_co_ci_u32_e64 v8, null, s17, v8, vcc_lo
	global_load_dword v7, v[7:8], off
	s_waitcnt vmcnt(0)
	v_subrev_nc_u32_e32 v7, s63, v7
	v_cmpx_ne_u32_e64 v7, v19
	s_cbranch_execz .LBB53_103
; %bb.105:                              ;   in Loop: Header=BB53_104 Depth=4
	v_add_nc_u32_e32 v30, 1, v30
	s_andn2_b32 s76, s76, exec_lo
	s_andn2_b32 s75, s75, exec_lo
	v_cmp_ge_i32_e32 vcc_lo, v30, v52
	s_and_b32 s78, vcc_lo, exec_lo
	s_or_b32 s76, s76, s78
	s_branch .LBB53_103
.LBB53_106:                             ;   in Loop: Header=BB53_14 Depth=3
	s_inst_prefetch 0x2
	s_or_b32 exec_lo, exec_lo, s74
	s_and_saveexec_b32 s74, s73
	s_xor_b32 s73, exec_lo, s74
	s_cbranch_execz .LBB53_108
; %bb.107:                              ;   in Loop: Header=BB53_14 Depth=3
	v_lshlrev_b64 v[5:6], 4, v[5:6]
	v_add_co_u32 v5, vcc_lo, s18, v5
	v_add_co_ci_u32_e64 v6, null, s19, v6, vcc_lo
	global_load_dwordx4 v[5:8], v[5:6], off
	s_waitcnt vmcnt(0)
	v_add_f64 v[25:26], v[25:26], v[5:6]
	v_add_f64 v[27:28], v[27:28], v[7:8]
.LBB53_108:                             ;   in Loop: Header=BB53_14 Depth=3
	s_or_b32 exec_lo, exec_lo, s73
	s_or_b32 exec_lo, exec_lo, s72
	s_mov_b32 s72, exec_lo
	v_cmpx_eq_u32_e64 v19, v23
	s_cbranch_execnz .LBB53_84
	s_branch .LBB53_85
.LBB53_109:                             ;   in Loop: Header=BB53_14 Depth=3
	v_mov_b32_e32 v9, 0
	v_mov_b32_e32 v10, 0
	s_mov_b32 s76, exec_lo
	v_cmpx_neq_f64_e32 0, v[11:12]
	s_cbranch_execz .LBB53_111
; %bb.110:                              ;   in Loop: Header=BB53_14 Depth=3
	v_div_scale_f64 v[9:10], null, v[7:8], v[7:8], v[5:6]
	v_div_scale_f64 v[33:34], vcc_lo, v[5:6], v[7:8], v[5:6]
	v_rcp_f64_e32 v[11:12], v[9:10]
	v_fma_f64 v[31:32], -v[9:10], v[11:12], 1.0
	v_fma_f64 v[11:12], v[11:12], v[31:32], v[11:12]
	v_fma_f64 v[31:32], -v[9:10], v[11:12], 1.0
	v_fma_f64 v[11:12], v[11:12], v[31:32], v[11:12]
	v_mul_f64 v[31:32], v[33:34], v[11:12]
	v_fma_f64 v[9:10], -v[9:10], v[31:32], v[33:34]
	v_div_fmas_f64 v[9:10], v[9:10], v[11:12], v[31:32]
	v_div_fixup_f64 v[5:6], v[9:10], v[7:8], v[5:6]
	v_fma_f64 v[5:6], v[5:6], v[5:6], 1.0
	v_cmp_gt_f64_e32 vcc_lo, 0x10000000, v[5:6]
	v_cndmask_b32_e64 v9, 0, 0x100, vcc_lo
	v_ldexp_f64 v[5:6], v[5:6], v9
	v_rsq_f64_e32 v[9:10], v[5:6]
	v_mul_f64 v[11:12], v[5:6], v[9:10]
	v_mul_f64 v[9:10], v[9:10], 0.5
	v_fma_f64 v[31:32], -v[9:10], v[11:12], 0.5
	v_fma_f64 v[11:12], v[11:12], v[31:32], v[11:12]
	v_fma_f64 v[9:10], v[9:10], v[31:32], v[9:10]
	v_fma_f64 v[31:32], -v[11:12], v[11:12], v[5:6]
	v_fma_f64 v[11:12], v[31:32], v[9:10], v[11:12]
	v_fma_f64 v[31:32], -v[11:12], v[11:12], v[5:6]
	v_fma_f64 v[9:10], v[31:32], v[9:10], v[11:12]
	v_cndmask_b32_e64 v11, 0, 0xffffff80, vcc_lo
	v_cmp_class_f64_e64 vcc_lo, v[5:6], 0x260
	v_ldexp_f64 v[9:10], v[9:10], v11
	v_cndmask_b32_e32 v6, v10, v6, vcc_lo
	v_cndmask_b32_e32 v5, v9, v5, vcc_lo
	v_mul_f64 v[9:10], v[7:8], v[5:6]
.LBB53_111:                             ;   in Loop: Header=BB53_14 Depth=3
	s_or_b32 exec_lo, exec_lo, s76
                                        ; implicit-def: $vgpr5_vgpr6
                                        ; implicit-def: $vgpr7_vgpr8
	s_andn2_saveexec_b32 s75, s75
	s_cbranch_execz .LBB53_45
.LBB53_112:                             ;   in Loop: Header=BB53_14 Depth=3
	v_div_scale_f64 v[9:10], null, v[5:6], v[5:6], v[7:8]
	v_div_scale_f64 v[33:34], vcc_lo, v[7:8], v[5:6], v[7:8]
	v_rcp_f64_e32 v[11:12], v[9:10]
	v_fma_f64 v[31:32], -v[9:10], v[11:12], 1.0
	v_fma_f64 v[11:12], v[11:12], v[31:32], v[11:12]
	v_fma_f64 v[31:32], -v[9:10], v[11:12], 1.0
	v_fma_f64 v[11:12], v[11:12], v[31:32], v[11:12]
	v_mul_f64 v[31:32], v[33:34], v[11:12]
	v_fma_f64 v[9:10], -v[9:10], v[31:32], v[33:34]
	v_div_fmas_f64 v[9:10], v[9:10], v[11:12], v[31:32]
	v_div_fixup_f64 v[7:8], v[9:10], v[5:6], v[7:8]
	v_fma_f64 v[7:8], v[7:8], v[7:8], 1.0
	v_cmp_gt_f64_e32 vcc_lo, 0x10000000, v[7:8]
	v_cndmask_b32_e64 v9, 0, 0x100, vcc_lo
	v_ldexp_f64 v[7:8], v[7:8], v9
	v_rsq_f64_e32 v[9:10], v[7:8]
	v_mul_f64 v[11:12], v[7:8], v[9:10]
	v_mul_f64 v[9:10], v[9:10], 0.5
	v_fma_f64 v[31:32], -v[9:10], v[11:12], 0.5
	v_fma_f64 v[11:12], v[11:12], v[31:32], v[11:12]
	v_fma_f64 v[9:10], v[9:10], v[31:32], v[9:10]
	v_fma_f64 v[31:32], -v[11:12], v[11:12], v[7:8]
	v_fma_f64 v[11:12], v[31:32], v[9:10], v[11:12]
	v_fma_f64 v[31:32], -v[11:12], v[11:12], v[7:8]
	v_fma_f64 v[9:10], v[31:32], v[9:10], v[11:12]
	v_cndmask_b32_e64 v11, 0, 0xffffff80, vcc_lo
	v_cmp_class_f64_e64 vcc_lo, v[7:8], 0x260
	v_ldexp_f64 v[9:10], v[9:10], v11
	v_cndmask_b32_e32 v8, v10, v8, vcc_lo
	v_cndmask_b32_e32 v7, v9, v7, vcc_lo
	v_mul_f64 v[9:10], v[5:6], v[7:8]
	s_or_b32 exec_lo, exec_lo, s75
	v_cmp_class_f64_e64 s76, v[9:10], 0x1f8
	s_and_saveexec_b32 s75, s76
	s_cbranch_execnz .LBB53_46
	s_branch .LBB53_47
.LBB53_113:                             ;   in Loop: Header=BB53_14 Depth=3
	v_mov_b32_e32 v9, 0
	v_mov_b32_e32 v10, 0
	s_mov_b32 s77, exec_lo
	v_cmpx_neq_f64_e32 0, v[11:12]
	s_cbranch_execz .LBB53_115
; %bb.114:                              ;   in Loop: Header=BB53_14 Depth=3
	v_div_scale_f64 v[9:10], null, v[7:8], v[7:8], v[5:6]
	v_div_scale_f64 v[33:34], vcc_lo, v[5:6], v[7:8], v[5:6]
	v_rcp_f64_e32 v[11:12], v[9:10]
	v_fma_f64 v[31:32], -v[9:10], v[11:12], 1.0
	v_fma_f64 v[11:12], v[11:12], v[31:32], v[11:12]
	v_fma_f64 v[31:32], -v[9:10], v[11:12], 1.0
	v_fma_f64 v[11:12], v[11:12], v[31:32], v[11:12]
	v_mul_f64 v[31:32], v[33:34], v[11:12]
	v_fma_f64 v[9:10], -v[9:10], v[31:32], v[33:34]
	v_div_fmas_f64 v[9:10], v[9:10], v[11:12], v[31:32]
	v_div_fixup_f64 v[5:6], v[9:10], v[7:8], v[5:6]
	v_fma_f64 v[5:6], v[5:6], v[5:6], 1.0
	v_cmp_gt_f64_e32 vcc_lo, 0x10000000, v[5:6]
	v_cndmask_b32_e64 v9, 0, 0x100, vcc_lo
	v_ldexp_f64 v[5:6], v[5:6], v9
	v_rsq_f64_e32 v[9:10], v[5:6]
	v_mul_f64 v[11:12], v[5:6], v[9:10]
	v_mul_f64 v[9:10], v[9:10], 0.5
	v_fma_f64 v[31:32], -v[9:10], v[11:12], 0.5
	v_fma_f64 v[11:12], v[11:12], v[31:32], v[11:12]
	v_fma_f64 v[9:10], v[9:10], v[31:32], v[9:10]
	v_fma_f64 v[31:32], -v[11:12], v[11:12], v[5:6]
	v_fma_f64 v[11:12], v[31:32], v[9:10], v[11:12]
	v_fma_f64 v[31:32], -v[11:12], v[11:12], v[5:6]
	v_fma_f64 v[9:10], v[31:32], v[9:10], v[11:12]
	v_cndmask_b32_e64 v11, 0, 0xffffff80, vcc_lo
	v_cmp_class_f64_e64 vcc_lo, v[5:6], 0x260
	v_ldexp_f64 v[9:10], v[9:10], v11
	v_cndmask_b32_e32 v6, v10, v6, vcc_lo
	v_cndmask_b32_e32 v5, v9, v5, vcc_lo
	v_mul_f64 v[9:10], v[7:8], v[5:6]
.LBB53_115:                             ;   in Loop: Header=BB53_14 Depth=3
	s_or_b32 exec_lo, exec_lo, s77
                                        ; implicit-def: $vgpr5_vgpr6
                                        ; implicit-def: $vgpr7_vgpr8
	s_andn2_saveexec_b32 s76, s76
	s_cbranch_execz .LBB53_75
.LBB53_116:                             ;   in Loop: Header=BB53_14 Depth=3
	v_div_scale_f64 v[9:10], null, v[5:6], v[5:6], v[7:8]
	v_div_scale_f64 v[33:34], vcc_lo, v[7:8], v[5:6], v[7:8]
	v_rcp_f64_e32 v[11:12], v[9:10]
	v_fma_f64 v[31:32], -v[9:10], v[11:12], 1.0
	v_fma_f64 v[11:12], v[11:12], v[31:32], v[11:12]
	v_fma_f64 v[31:32], -v[9:10], v[11:12], 1.0
	v_fma_f64 v[11:12], v[11:12], v[31:32], v[11:12]
	v_mul_f64 v[31:32], v[33:34], v[11:12]
	v_fma_f64 v[9:10], -v[9:10], v[31:32], v[33:34]
	v_div_fmas_f64 v[9:10], v[9:10], v[11:12], v[31:32]
	v_div_fixup_f64 v[7:8], v[9:10], v[5:6], v[7:8]
	v_fma_f64 v[7:8], v[7:8], v[7:8], 1.0
	v_cmp_gt_f64_e32 vcc_lo, 0x10000000, v[7:8]
	v_cndmask_b32_e64 v9, 0, 0x100, vcc_lo
	v_ldexp_f64 v[7:8], v[7:8], v9
	v_rsq_f64_e32 v[9:10], v[7:8]
	v_mul_f64 v[11:12], v[7:8], v[9:10]
	v_mul_f64 v[9:10], v[9:10], 0.5
	v_fma_f64 v[31:32], -v[9:10], v[11:12], 0.5
	v_fma_f64 v[11:12], v[11:12], v[31:32], v[11:12]
	v_fma_f64 v[9:10], v[9:10], v[31:32], v[9:10]
	v_fma_f64 v[31:32], -v[11:12], v[11:12], v[7:8]
	v_fma_f64 v[11:12], v[31:32], v[9:10], v[11:12]
	v_fma_f64 v[31:32], -v[11:12], v[11:12], v[7:8]
	v_fma_f64 v[9:10], v[31:32], v[9:10], v[11:12]
	v_cndmask_b32_e64 v11, 0, 0xffffff80, vcc_lo
	v_cmp_class_f64_e64 vcc_lo, v[7:8], 0x260
	v_ldexp_f64 v[9:10], v[9:10], v11
	v_cndmask_b32_e32 v8, v10, v8, vcc_lo
	v_cndmask_b32_e32 v7, v9, v7, vcc_lo
	v_mul_f64 v[9:10], v[5:6], v[7:8]
	s_or_b32 exec_lo, exec_lo, s76
	v_cmp_class_f64_e64 s77, v[9:10], 0x1f8
	s_and_saveexec_b32 s76, s77
	s_cbranch_execnz .LBB53_76
	s_branch .LBB53_77
.LBB53_117:                             ;   in Loop: Header=BB53_14 Depth=3
	v_mov_b32_e32 v9, 0
	v_mov_b32_e32 v10, 0
	s_mov_b32 s78, exec_lo
	v_cmpx_neq_f64_e32 0, v[11:12]
	s_cbranch_execz .LBB53_119
; %bb.118:                              ;   in Loop: Header=BB53_14 Depth=3
	v_div_scale_f64 v[9:10], null, v[7:8], v[7:8], v[5:6]
	v_div_scale_f64 v[33:34], vcc_lo, v[5:6], v[7:8], v[5:6]
	v_rcp_f64_e32 v[11:12], v[9:10]
	v_fma_f64 v[31:32], -v[9:10], v[11:12], 1.0
	v_fma_f64 v[11:12], v[11:12], v[31:32], v[11:12]
	v_fma_f64 v[31:32], -v[9:10], v[11:12], 1.0
	v_fma_f64 v[11:12], v[11:12], v[31:32], v[11:12]
	v_mul_f64 v[31:32], v[33:34], v[11:12]
	v_fma_f64 v[9:10], -v[9:10], v[31:32], v[33:34]
	v_div_fmas_f64 v[9:10], v[9:10], v[11:12], v[31:32]
	v_div_fixup_f64 v[5:6], v[9:10], v[7:8], v[5:6]
	v_fma_f64 v[5:6], v[5:6], v[5:6], 1.0
	v_cmp_gt_f64_e32 vcc_lo, 0x10000000, v[5:6]
	v_cndmask_b32_e64 v9, 0, 0x100, vcc_lo
	v_ldexp_f64 v[5:6], v[5:6], v9
	v_rsq_f64_e32 v[9:10], v[5:6]
	v_mul_f64 v[11:12], v[5:6], v[9:10]
	v_mul_f64 v[9:10], v[9:10], 0.5
	v_fma_f64 v[31:32], -v[9:10], v[11:12], 0.5
	v_fma_f64 v[11:12], v[11:12], v[31:32], v[11:12]
	v_fma_f64 v[9:10], v[9:10], v[31:32], v[9:10]
	v_fma_f64 v[31:32], -v[11:12], v[11:12], v[5:6]
	v_fma_f64 v[11:12], v[31:32], v[9:10], v[11:12]
	v_fma_f64 v[31:32], -v[11:12], v[11:12], v[5:6]
	v_fma_f64 v[9:10], v[31:32], v[9:10], v[11:12]
	v_cndmask_b32_e64 v11, 0, 0xffffff80, vcc_lo
	v_cmp_class_f64_e64 vcc_lo, v[5:6], 0x260
	v_ldexp_f64 v[9:10], v[9:10], v11
	v_cndmask_b32_e32 v6, v10, v6, vcc_lo
	v_cndmask_b32_e32 v5, v9, v5, vcc_lo
	v_mul_f64 v[9:10], v[7:8], v[5:6]
.LBB53_119:                             ;   in Loop: Header=BB53_14 Depth=3
	s_or_b32 exec_lo, exec_lo, s78
                                        ; implicit-def: $vgpr5_vgpr6
                                        ; implicit-def: $vgpr7_vgpr8
	s_andn2_saveexec_b32 s77, s77
	s_cbranch_execz .LBB53_59
.LBB53_120:                             ;   in Loop: Header=BB53_14 Depth=3
	v_div_scale_f64 v[9:10], null, v[5:6], v[5:6], v[7:8]
	v_div_scale_f64 v[33:34], vcc_lo, v[7:8], v[5:6], v[7:8]
	v_rcp_f64_e32 v[11:12], v[9:10]
	v_fma_f64 v[31:32], -v[9:10], v[11:12], 1.0
	v_fma_f64 v[11:12], v[11:12], v[31:32], v[11:12]
	v_fma_f64 v[31:32], -v[9:10], v[11:12], 1.0
	v_fma_f64 v[11:12], v[11:12], v[31:32], v[11:12]
	v_mul_f64 v[31:32], v[33:34], v[11:12]
	v_fma_f64 v[9:10], -v[9:10], v[31:32], v[33:34]
	v_div_fmas_f64 v[9:10], v[9:10], v[11:12], v[31:32]
	v_div_fixup_f64 v[7:8], v[9:10], v[5:6], v[7:8]
	v_fma_f64 v[7:8], v[7:8], v[7:8], 1.0
	v_cmp_gt_f64_e32 vcc_lo, 0x10000000, v[7:8]
	v_cndmask_b32_e64 v9, 0, 0x100, vcc_lo
	v_ldexp_f64 v[7:8], v[7:8], v9
	v_rsq_f64_e32 v[9:10], v[7:8]
	v_mul_f64 v[11:12], v[7:8], v[9:10]
	v_mul_f64 v[9:10], v[9:10], 0.5
	v_fma_f64 v[31:32], -v[9:10], v[11:12], 0.5
	v_fma_f64 v[11:12], v[11:12], v[31:32], v[11:12]
	v_fma_f64 v[9:10], v[9:10], v[31:32], v[9:10]
	v_fma_f64 v[31:32], -v[11:12], v[11:12], v[7:8]
	v_fma_f64 v[11:12], v[31:32], v[9:10], v[11:12]
	v_fma_f64 v[31:32], -v[11:12], v[11:12], v[7:8]
	v_fma_f64 v[9:10], v[31:32], v[9:10], v[11:12]
	v_cndmask_b32_e64 v11, 0, 0xffffff80, vcc_lo
	v_cmp_class_f64_e64 vcc_lo, v[7:8], 0x260
	v_ldexp_f64 v[9:10], v[9:10], v11
	v_cndmask_b32_e32 v8, v10, v8, vcc_lo
	v_cndmask_b32_e32 v7, v9, v7, vcc_lo
	v_mul_f64 v[9:10], v[5:6], v[7:8]
	s_or_b32 exec_lo, exec_lo, s77
	v_cmp_class_f64_e64 s78, v[9:10], 0x1f8
	s_and_saveexec_b32 s77, s78
	s_cbranch_execnz .LBB53_60
	s_branch .LBB53_61
.LBB53_121:                             ;   in Loop: Header=BB53_5 Depth=1
	v_xor_b32_e32 v8, 8, v39
	v_xor_b32_e32 v7, 4, v39
	;; [unrolled: 1-line block ×4, first 2 shown]
	s_and_b32 vcc_lo, exec_lo, s56
	s_cbranch_vccnz .LBB53_124
; %bb.122:                              ;   in Loop: Header=BB53_5 Depth=1
	s_andn2_b32 vcc_lo, exec_lo, s33
	s_cbranch_vccz .LBB53_139
.LBB53_123:                             ;   in Loop: Header=BB53_5 Depth=1
	s_and_saveexec_b32 s10, s7
	s_cbranch_execnz .LBB53_154
	s_branch .LBB53_165
.LBB53_124:                             ;   in Loop: Header=BB53_5 Depth=1
	v_cmp_gt_i32_e32 vcc_lo, 32, v8
	v_cmp_gt_i32_e64 s9, 32, v7
	v_cndmask_b32_e32 v1, v39, v8, vcc_lo
	v_cndmask_b32_e64 v3, v39, v7, s9
	v_cmp_gt_i32_e64 s9, 32, v6
	v_lshlrev_b32_e32 v2, 2, v1
	v_lshlrev_b32_e32 v3, 2, v3
	v_cndmask_b32_e64 v9, v39, v6, s9
	v_cmp_gt_i32_e64 s9, 32, v5
	ds_bpermute_b32 v1, v2, v15
	ds_bpermute_b32 v2, v2, v16
	v_lshlrev_b32_e32 v9, 2, v9
	s_waitcnt lgkmcnt(0)
	v_cmp_lt_f64_e32 vcc_lo, v[15:16], v[1:2]
	v_cndmask_b32_e32 v2, v16, v2, vcc_lo
	v_cndmask_b32_e32 v1, v15, v1, vcc_lo
	ds_bpermute_b32 v4, v3, v2
	ds_bpermute_b32 v3, v3, v1
	s_waitcnt lgkmcnt(0)
	v_cmp_lt_f64_e32 vcc_lo, v[1:2], v[3:4]
	v_cndmask_b32_e32 v2, v2, v4, vcc_lo
	v_cndmask_b32_e32 v1, v1, v3, vcc_lo
	ds_bpermute_b32 v4, v9, v2
	ds_bpermute_b32 v3, v9, v1
	v_cndmask_b32_e64 v9, v39, v5, s9
	v_lshlrev_b32_e32 v9, 2, v9
	s_waitcnt lgkmcnt(0)
	v_cmp_lt_f64_e32 vcc_lo, v[1:2], v[3:4]
	v_cndmask_b32_e32 v2, v2, v4, vcc_lo
	v_cndmask_b32_e32 v1, v1, v3, vcc_lo
	ds_bpermute_b32 v3, v9, v1
	ds_bpermute_b32 v9, v9, v2
	s_and_saveexec_b32 s9, s0
	s_cbranch_execz .LBB53_126
; %bb.125:                              ;   in Loop: Header=BB53_5 Depth=1
	s_waitcnt lgkmcnt(0)
	v_mov_b32_e32 v4, v9
	v_cmp_lt_f64_e32 vcc_lo, v[1:2], v[3:4]
	v_cndmask_b32_e32 v2, v2, v9, vcc_lo
	v_cndmask_b32_e32 v1, v1, v3, vcc_lo
	ds_write_b64 v42, v[1:2]
.LBB53_126:                             ;   in Loop: Header=BB53_5 Depth=1
	s_or_b32 exec_lo, exec_lo, s9
	s_waitcnt lgkmcnt(0)
	s_waitcnt_vscnt null, 0x0
	s_barrier
	buffer_gl0_inv
	s_and_saveexec_b32 s9, s1
	s_cbranch_execz .LBB53_128
; %bb.127:                              ;   in Loop: Header=BB53_5 Depth=1
	ds_read2_b64 v[1:4], v40 offset1:32
	s_waitcnt lgkmcnt(0)
	v_cmp_lt_f64_e32 vcc_lo, v[1:2], v[3:4]
	v_cndmask_b32_e32 v2, v2, v4, vcc_lo
	v_cndmask_b32_e32 v1, v1, v3, vcc_lo
	ds_write_b64 v40, v[1:2]
.LBB53_128:                             ;   in Loop: Header=BB53_5 Depth=1
	s_or_b32 exec_lo, exec_lo, s9
	s_waitcnt lgkmcnt(0)
	s_barrier
	buffer_gl0_inv
	s_and_saveexec_b32 s9, s2
	s_cbranch_execz .LBB53_130
; %bb.129:                              ;   in Loop: Header=BB53_5 Depth=1
	ds_read2_b64 v[1:4], v40 offset1:16
	s_waitcnt lgkmcnt(0)
	v_cmp_lt_f64_e32 vcc_lo, v[1:2], v[3:4]
	v_cndmask_b32_e32 v2, v2, v4, vcc_lo
	v_cndmask_b32_e32 v1, v1, v3, vcc_lo
	ds_write_b64 v40, v[1:2]
.LBB53_130:                             ;   in Loop: Header=BB53_5 Depth=1
	s_or_b32 exec_lo, exec_lo, s9
	s_waitcnt lgkmcnt(0)
	;; [unrolled: 14-line block ×5, first 2 shown]
	s_barrier
	buffer_gl0_inv
	s_and_saveexec_b32 s9, s6
	s_cbranch_execz .LBB53_138
; %bb.137:                              ;   in Loop: Header=BB53_5 Depth=1
	ds_read_b128 v[1:4], v18
	s_waitcnt lgkmcnt(0)
	v_cmp_lt_f64_e32 vcc_lo, v[1:2], v[3:4]
	v_cndmask_b32_e32 v2, v2, v4, vcc_lo
	v_cndmask_b32_e32 v1, v1, v3, vcc_lo
	ds_write_b64 v18, v[1:2]
.LBB53_138:                             ;   in Loop: Header=BB53_5 Depth=1
	s_or_b32 exec_lo, exec_lo, s9
	s_waitcnt lgkmcnt(0)
	s_barrier
	buffer_gl0_inv
	ds_read_b64 v[1:2], v18
	s_load_dwordx2 s[68:69], s[54:55], 0x0
	s_waitcnt lgkmcnt(0)
	v_div_scale_f64 v[3:4], null, s[68:69], s[68:69], v[1:2]
	v_rcp_f64_e32 v[9:10], v[3:4]
	v_fma_f64 v[11:12], -v[3:4], v[9:10], 1.0
	v_fma_f64 v[9:10], v[9:10], v[11:12], v[9:10]
	v_fma_f64 v[11:12], -v[3:4], v[9:10], 1.0
	v_fma_f64 v[9:10], v[9:10], v[11:12], v[9:10]
	v_div_scale_f64 v[11:12], vcc_lo, v[1:2], s[68:69], v[1:2]
	v_mul_f64 v[15:16], v[11:12], v[9:10]
	v_fma_f64 v[3:4], -v[3:4], v[15:16], v[11:12]
	v_div_fmas_f64 v[3:4], v[3:4], v[9:10], v[15:16]
	v_div_fixup_f64 v[15:16], v[3:4], s[68:69], v[1:2]
	s_andn2_b32 vcc_lo, exec_lo, s33
	s_cbranch_vccnz .LBB53_123
.LBB53_139:                             ;   in Loop: Header=BB53_5 Depth=1
	v_cmp_gt_i32_e32 vcc_lo, 32, v8
	v_cmp_gt_i32_e64 s9, 32, v7
	v_cndmask_b32_e32 v1, v39, v8, vcc_lo
	v_cndmask_b32_e64 v3, v39, v7, s9
	v_cmp_gt_i32_e64 s9, 32, v6
	v_lshlrev_b32_e32 v2, 2, v1
	v_lshlrev_b32_e32 v3, 2, v3
	v_cndmask_b32_e64 v6, v39, v6, s9
	v_cmp_gt_i32_e64 s9, 32, v5
	ds_bpermute_b32 v1, v2, v13
	ds_bpermute_b32 v2, v2, v14
	v_lshlrev_b32_e32 v6, 2, v6
	v_cndmask_b32_e64 v5, v39, v5, s9
	v_lshlrev_b32_e32 v5, 2, v5
	s_waitcnt lgkmcnt(0)
	v_cmp_lt_f64_e32 vcc_lo, v[13:14], v[1:2]
	v_cndmask_b32_e32 v2, v14, v2, vcc_lo
	v_cndmask_b32_e32 v1, v13, v1, vcc_lo
	ds_bpermute_b32 v4, v3, v2
	ds_bpermute_b32 v3, v3, v1
	s_waitcnt lgkmcnt(0)
	v_cmp_lt_f64_e32 vcc_lo, v[1:2], v[3:4]
	v_cndmask_b32_e32 v2, v2, v4, vcc_lo
	v_cndmask_b32_e32 v1, v1, v3, vcc_lo
	ds_bpermute_b32 v4, v6, v2
	ds_bpermute_b32 v3, v6, v1
	s_waitcnt lgkmcnt(0)
	v_cmp_lt_f64_e32 vcc_lo, v[1:2], v[3:4]
	v_cndmask_b32_e32 v2, v2, v4, vcc_lo
	v_cndmask_b32_e32 v1, v1, v3, vcc_lo
	ds_bpermute_b32 v3, v5, v1
	ds_bpermute_b32 v5, v5, v2
	s_and_saveexec_b32 s9, s0
	s_cbranch_execz .LBB53_141
; %bb.140:                              ;   in Loop: Header=BB53_5 Depth=1
	s_waitcnt lgkmcnt(0)
	v_mov_b32_e32 v4, v5
	v_cmp_lt_f64_e32 vcc_lo, v[1:2], v[3:4]
	v_cndmask_b32_e32 v2, v2, v5, vcc_lo
	v_cndmask_b32_e32 v1, v1, v3, vcc_lo
	ds_write_b64 v42, v[1:2]
.LBB53_141:                             ;   in Loop: Header=BB53_5 Depth=1
	s_or_b32 exec_lo, exec_lo, s9
	s_waitcnt lgkmcnt(0)
	s_waitcnt_vscnt null, 0x0
	s_barrier
	buffer_gl0_inv
	s_and_saveexec_b32 s9, s1
	s_cbranch_execz .LBB53_143
; %bb.142:                              ;   in Loop: Header=BB53_5 Depth=1
	ds_read2_b64 v[1:4], v40 offset1:32
	s_waitcnt lgkmcnt(0)
	v_cmp_lt_f64_e32 vcc_lo, v[1:2], v[3:4]
	v_cndmask_b32_e32 v2, v2, v4, vcc_lo
	v_cndmask_b32_e32 v1, v1, v3, vcc_lo
	ds_write_b64 v40, v[1:2]
.LBB53_143:                             ;   in Loop: Header=BB53_5 Depth=1
	s_or_b32 exec_lo, exec_lo, s9
	s_waitcnt lgkmcnt(0)
	s_barrier
	buffer_gl0_inv
	s_and_saveexec_b32 s9, s2
	s_cbranch_execz .LBB53_145
; %bb.144:                              ;   in Loop: Header=BB53_5 Depth=1
	ds_read2_b64 v[1:4], v40 offset1:16
	s_waitcnt lgkmcnt(0)
	v_cmp_lt_f64_e32 vcc_lo, v[1:2], v[3:4]
	v_cndmask_b32_e32 v2, v2, v4, vcc_lo
	v_cndmask_b32_e32 v1, v1, v3, vcc_lo
	ds_write_b64 v40, v[1:2]
.LBB53_145:                             ;   in Loop: Header=BB53_5 Depth=1
	s_or_b32 exec_lo, exec_lo, s9
	s_waitcnt lgkmcnt(0)
	;; [unrolled: 14-line block ×5, first 2 shown]
	s_barrier
	buffer_gl0_inv
	s_and_saveexec_b32 s9, s6
	s_cbranch_execz .LBB53_153
; %bb.152:                              ;   in Loop: Header=BB53_5 Depth=1
	ds_read_b128 v[1:4], v18
	s_waitcnt lgkmcnt(0)
	v_cmp_lt_f64_e32 vcc_lo, v[1:2], v[3:4]
	v_cndmask_b32_e32 v2, v2, v4, vcc_lo
	v_cndmask_b32_e32 v1, v1, v3, vcc_lo
	ds_write_b64 v18, v[1:2]
.LBB53_153:                             ;   in Loop: Header=BB53_5 Depth=1
	s_or_b32 exec_lo, exec_lo, s9
	s_waitcnt lgkmcnt(0)
	s_barrier
	buffer_gl0_inv
	ds_read_b64 v[1:2], v18
	s_load_dwordx2 s[68:69], s[54:55], 0x0
	s_waitcnt lgkmcnt(0)
	v_div_scale_f64 v[3:4], null, s[68:69], s[68:69], v[1:2]
	v_rcp_f64_e32 v[5:6], v[3:4]
	v_fma_f64 v[7:8], -v[3:4], v[5:6], 1.0
	v_fma_f64 v[5:6], v[5:6], v[7:8], v[5:6]
	v_fma_f64 v[7:8], -v[3:4], v[5:6], 1.0
	v_fma_f64 v[5:6], v[5:6], v[7:8], v[5:6]
	v_div_scale_f64 v[7:8], vcc_lo, v[1:2], s[68:69], v[1:2]
	v_mul_f64 v[9:10], v[7:8], v[5:6]
	v_fma_f64 v[3:4], -v[3:4], v[9:10], v[7:8]
	v_div_fmas_f64 v[3:4], v[3:4], v[5:6], v[9:10]
	v_div_fixup_f64 v[13:14], v[3:4], s[68:69], v[1:2]
	s_and_saveexec_b32 s10, s7
	s_cbranch_execz .LBB53_165
.LBB53_154:                             ;   in Loop: Header=BB53_5 Depth=1
	v_mov_b32_e32 v1, v41
	s_mov_b32 s68, 0
	s_branch .LBB53_156
.LBB53_155:                             ;   in Loop: Header=BB53_156 Depth=2
	s_or_b32 exec_lo, exec_lo, s69
	v_add_nc_u32_e32 v1, 64, v1
	v_cmp_le_u32_e32 vcc_lo, s64, v1
	s_or_b32 s68, vcc_lo, s68
	s_andn2_b32 exec_lo, exec_lo, s68
	s_cbranch_execz .LBB53_165
.LBB53_156:                             ;   Parent Loop BB53_5 Depth=1
                                        ; =>  This Loop Header: Depth=2
                                        ;       Child Loop BB53_159 Depth 3
                                        ;       Child Loop BB53_162 Depth 3
	s_mov_b32 s69, exec_lo
	v_cmpx_gt_i32_e64 s57, v1
	s_cbranch_execz .LBB53_155
; %bb.157:                              ;   in Loop: Header=BB53_156 Depth=2
	v_ashrrev_i32_e32 v2, 31, v1
	s_mov_b32 s70, exec_lo
	v_lshlrev_b64 v[3:4], 2, v[1:2]
	v_add_co_u32 v5, vcc_lo, s20, v3
	v_add_co_ci_u32_e64 v6, null, s21, v4, vcc_lo
	v_add_co_u32 v7, vcc_lo, s22, v3
	v_add_co_ci_u32_e64 v8, null, s23, v4, vcc_lo
	global_load_dword v5, v[5:6], off
	global_load_dword v6, v[7:8], off
	s_waitcnt vmcnt(1)
	v_add_nc_u32_e32 v5, v44, v5
	s_waitcnt vmcnt(0)
	v_subrev_nc_u32_e32 v10, s62, v6
	v_cmpx_lt_i32_e64 v5, v10
	s_cbranch_execz .LBB53_160
; %bb.158:                              ;   in Loop: Header=BB53_156 Depth=2
	v_ashrrev_i32_e32 v6, 31, v5
	s_mov_b32 s71, 0
	v_lshlrev_b64 v[8:9], 4, v[5:6]
	v_add_co_u32 v6, vcc_lo, s26, v8
	v_add_co_ci_u32_e64 v7, null, s27, v9, vcc_lo
	v_add_co_u32 v8, vcc_lo, s52, v8
	v_add_co_ci_u32_e64 v9, null, s53, v9, vcc_lo
	.p2align	6
.LBB53_159:                             ;   Parent Loop BB53_5 Depth=1
                                        ;     Parent Loop BB53_156 Depth=2
                                        ; =>    This Inner Loop Header: Depth=3
	global_load_dwordx4 v[19:22], v[8:9], off
	v_add_nc_u32_e32 v5, 16, v5
	v_add_co_u32 v8, vcc_lo, 0x100, v8
	v_add_co_ci_u32_e64 v9, null, 0, v9, vcc_lo
	v_cmp_ge_i32_e32 vcc_lo, v5, v10
	s_or_b32 s71, vcc_lo, s71
	s_waitcnt vmcnt(0)
	global_store_dwordx4 v[6:7], v[19:22], off
	v_add_co_u32 v6, s9, 0x100, v6
	v_add_co_ci_u32_e64 v7, null, 0, v7, s9
	s_andn2_b32 exec_lo, exec_lo, s71
	s_cbranch_execnz .LBB53_159
.LBB53_160:                             ;   in Loop: Header=BB53_156 Depth=2
	s_or_b32 exec_lo, exec_lo, s70
	v_add_co_u32 v5, vcc_lo, s12, v3
	v_add_co_ci_u32_e64 v6, null, s13, v4, vcc_lo
	v_add_co_u32 v3, vcc_lo, s14, v3
	v_add_co_ci_u32_e64 v4, null, s15, v4, vcc_lo
	global_load_dword v5, v[5:6], off
	global_load_dword v4, v[3:4], off
	s_mov_b32 s70, exec_lo
	s_waitcnt vmcnt(1)
	v_add_nc_u32_e32 v3, v45, v5
	s_waitcnt vmcnt(0)
	v_subrev_nc_u32_e32 v8, s63, v4
	v_cmpx_lt_i32_e64 v3, v8
	s_cbranch_execz .LBB53_163
; %bb.161:                              ;   in Loop: Header=BB53_156 Depth=2
	v_ashrrev_i32_e32 v4, 31, v3
	s_mov_b32 s71, 0
	v_lshlrev_b64 v[6:7], 4, v[3:4]
	v_add_co_u32 v4, vcc_lo, s18, v6
	v_add_co_ci_u32_e64 v5, null, s19, v7, vcc_lo
	v_add_co_u32 v6, vcc_lo, s34, v6
	v_add_co_ci_u32_e64 v7, null, s35, v7, vcc_lo
	.p2align	6
.LBB53_162:                             ;   Parent Loop BB53_5 Depth=1
                                        ;     Parent Loop BB53_156 Depth=2
                                        ; =>    This Inner Loop Header: Depth=3
	global_load_dwordx4 v[9:12], v[6:7], off
	v_add_nc_u32_e32 v3, 16, v3
	v_add_co_u32 v6, vcc_lo, 0x100, v6
	v_add_co_ci_u32_e64 v7, null, 0, v7, vcc_lo
	v_cmp_ge_i32_e32 vcc_lo, v3, v8
	s_or_b32 s71, vcc_lo, s71
	s_waitcnt vmcnt(0)
	global_store_dwordx4 v[4:5], v[9:12], off
	v_add_co_u32 v4, s9, 0x100, v4
	v_add_co_ci_u32_e64 v5, null, 0, v5, s9
	s_andn2_b32 exec_lo, exec_lo, s71
	s_cbranch_execnz .LBB53_162
.LBB53_163:                             ;   in Loop: Header=BB53_156 Depth=2
	s_or_b32 exec_lo, exec_lo, s70
	s_and_b32 exec_lo, exec_lo, s8
	s_cbranch_execz .LBB53_155
; %bb.164:                              ;   in Loop: Header=BB53_156 Depth=2
	v_lshlrev_b64 v[6:7], 4, v[1:2]
	v_add_co_u32 v2, vcc_lo, s50, v6
	v_add_co_ci_u32_e64 v3, null, s51, v7, vcc_lo
	v_add_co_u32 v6, vcc_lo, s48, v6
	v_add_co_ci_u32_e64 v7, null, s49, v7, vcc_lo
	global_load_dwordx4 v[2:5], v[2:3], off
	s_waitcnt vmcnt(0)
	global_store_dwordx4 v[6:7], v[2:5], off
	s_branch .LBB53_155
.LBB53_165:                             ;   in Loop: Header=BB53_5 Depth=1
	s_or_b32 exec_lo, exec_lo, s10
	s_mov_b32 s10, -1
	s_and_b32 vcc_lo, exec_lo, s58
	s_mov_b32 s68, -1
	s_cbranch_vccz .LBB53_175
; %bb.166:                              ;   in Loop: Header=BB53_5 Depth=1
	s_and_b32 vcc_lo, exec_lo, s66
	s_mov_b32 s9, -1
                                        ; implicit-def: $sgpr68
	s_cbranch_vccz .LBB53_172
; %bb.167:                              ;   in Loop: Header=BB53_5 Depth=1
	s_and_b32 vcc_lo, exec_lo, s65
                                        ; implicit-def: $sgpr68
	s_cbranch_vccz .LBB53_169
; %bb.168:                              ;   in Loop: Header=BB53_5 Depth=1
	v_cmp_ge_f64_e64 s68, s[46:47], v[13:14]
	s_mov_b32 s9, 0
.LBB53_169:                             ;   in Loop: Header=BB53_5 Depth=1
	s_andn2_b32 vcc_lo, exec_lo, s9
	s_cbranch_vccnz .LBB53_171
; %bb.170:                              ;   in Loop: Header=BB53_5 Depth=1
	v_cmp_ge_f64_e32 vcc_lo, s[46:47], v[15:16]
	s_andn2_b32 s9, s68, exec_lo
	s_and_b32 s68, vcc_lo, exec_lo
	s_or_b32 s68, s9, s68
.LBB53_171:                             ;   in Loop: Header=BB53_5 Depth=1
	s_mov_b32 s9, 0
.LBB53_172:                             ;   in Loop: Header=BB53_5 Depth=1
	s_andn2_b32 vcc_lo, exec_lo, s9
	s_cbranch_vccnz .LBB53_174
; %bb.173:                              ;   in Loop: Header=BB53_5 Depth=1
	v_cmp_ge_f64_e32 vcc_lo, s[46:47], v[15:16]
	v_cmp_ge_f64_e64 s9, s[46:47], v[13:14]
	s_andn2_b32 s68, s68, exec_lo
	s_and_b32 s9, vcc_lo, s9
	s_and_b32 s9, s9, exec_lo
	s_or_b32 s68, s68, s9
.LBB53_174:                             ;   in Loop: Header=BB53_5 Depth=1
	s_xor_b32 s68, s68, -1
.LBB53_175:                             ;   in Loop: Header=BB53_5 Depth=1
	v_mov_b32_e32 v1, s67
	s_and_saveexec_b32 s9, s68
	s_cbranch_execz .LBB53_4
; %bb.176:                              ;   in Loop: Header=BB53_5 Depth=1
	s_add_i32 s67, s67, 1
	v_mov_b32_e32 v1, s11
	s_cmp_eq_u32 s67, s11
	s_cselect_b32 s10, -1, 0
	s_orn2_b32 s10, s10, exec_lo
	s_branch .LBB53_4
.LBB53_177:
	s_or_b32 exec_lo, exec_lo, s59
	s_or_b32 exec_lo, exec_lo, s60
	s_andn2_b32 vcc_lo, exec_lo, s58
	s_cbranch_vccnz .LBB53_2
.LBB53_178:
	v_xor_b32_e32 v2, 8, v39
	v_xor_b32_e32 v3, 4, v39
	s_mov_b32 s0, exec_lo
	v_cmp_gt_i32_e32 vcc_lo, 32, v2
	v_cndmask_b32_e32 v2, v39, v2, vcc_lo
	v_cmp_gt_i32_e32 vcc_lo, 32, v3
	v_lshlrev_b32_e32 v2, 2, v2
	v_cndmask_b32_e32 v3, v39, v3, vcc_lo
	ds_bpermute_b32 v2, v2, v1
	v_lshlrev_b32_e32 v3, 2, v3
	s_waitcnt lgkmcnt(0)
	v_max_i32_e32 v1, v1, v2
	ds_bpermute_b32 v2, v3, v1
	v_xor_b32_e32 v3, 2, v39
	v_cmp_gt_i32_e32 vcc_lo, 32, v3
	v_cndmask_b32_e32 v3, v39, v3, vcc_lo
	v_lshlrev_b32_e32 v3, 2, v3
	s_waitcnt lgkmcnt(0)
	v_max_i32_e32 v1, v1, v2
	ds_bpermute_b32 v2, v3, v1
	v_xor_b32_e32 v3, 1, v39
	v_cmp_gt_i32_e32 vcc_lo, 32, v3
	v_cndmask_b32_e32 v3, v39, v3, vcc_lo
	s_waitcnt lgkmcnt(0)
	v_max_i32_e32 v1, v1, v2
	v_lshlrev_b32_e32 v2, 2, v3
	ds_bpermute_b32 v2, v2, v1
	v_cmpx_eq_u32_e32 15, v38
	s_cbranch_execz .LBB53_180
; %bb.179:
	v_lshlrev_b32_e32 v3, 2, v37
	s_waitcnt lgkmcnt(0)
	v_max_i32_e32 v1, v1, v2
	ds_write_b32 v3, v1 offset:512
.LBB53_180:
	s_or_b32 exec_lo, exec_lo, s0
	v_lshlrev_b32_e32 v1, 2, v0
	s_mov_b32 s0, exec_lo
	s_waitcnt lgkmcnt(0)
	s_waitcnt_vscnt null, 0x0
	s_barrier
	buffer_gl0_inv
	v_cmpx_gt_u32_e32 32, v0
	s_cbranch_execz .LBB53_182
; %bb.181:
	ds_read2_b32 v[2:3], v1 offset0:128 offset1:160
	s_waitcnt lgkmcnt(0)
	v_max_i32_e32 v2, v2, v3
	ds_write_b32 v1, v2 offset:512
.LBB53_182:
	s_or_b32 exec_lo, exec_lo, s0
	s_mov_b32 s0, exec_lo
	s_waitcnt lgkmcnt(0)
	s_barrier
	buffer_gl0_inv
	v_cmpx_gt_u32_e32 16, v0
	s_cbranch_execz .LBB53_184
; %bb.183:
	ds_read2_b32 v[2:3], v1 offset0:128 offset1:144
	s_waitcnt lgkmcnt(0)
	v_max_i32_e32 v2, v2, v3
	ds_write_b32 v1, v2 offset:512
.LBB53_184:
	s_or_b32 exec_lo, exec_lo, s0
	s_mov_b32 s0, exec_lo
	s_waitcnt lgkmcnt(0)
	;; [unrolled: 13-line block ×4, first 2 shown]
	s_barrier
	buffer_gl0_inv
	v_cmpx_gt_u32_e32 2, v0
	s_cbranch_execz .LBB53_190
; %bb.189:
	ds_read2_b32 v[2:3], v1 offset0:128 offset1:130
	s_waitcnt lgkmcnt(0)
	v_max_i32_e32 v2, v2, v3
	ds_write_b32 v1, v2 offset:512
.LBB53_190:
	s_or_b32 exec_lo, exec_lo, s0
	v_cmp_eq_u32_e32 vcc_lo, 0, v0
	s_waitcnt lgkmcnt(0)
	s_barrier
	buffer_gl0_inv
	s_and_saveexec_b32 s0, vcc_lo
	s_cbranch_execz .LBB53_192
; %bb.191:
	v_mov_b32_e32 v3, 0
	ds_read_b64 v[1:2], v3 offset:512
	s_waitcnt lgkmcnt(0)
	v_max_i32_e32 v1, v1, v2
	ds_write_b32 v3, v1 offset:512
.LBB53_192:
	s_or_b32 exec_lo, exec_lo, s0
	s_waitcnt lgkmcnt(0)
	s_barrier
	buffer_gl0_inv
	s_and_saveexec_b32 s0, vcc_lo
	s_cbranch_execz .LBB53_195
; %bb.193:
	v_mbcnt_lo_u32_b32 v1, exec_lo, 0
	v_cmp_eq_u32_e32 vcc_lo, 0, v1
	s_and_b32 exec_lo, exec_lo, vcc_lo
	s_cbranch_execz .LBB53_195
; %bb.194:
	v_mov_b32_e32 v1, 0
	ds_read_b32 v2, v1 offset:512
	s_waitcnt lgkmcnt(0)
	v_add_nc_u32_e32 v2, 1, v2
	global_atomic_smax v1, v2, s[44:45]
.LBB53_195:
	s_or_b32 exec_lo, exec_lo, s0
	v_cmp_eq_u32_e32 vcc_lo, 0, v0
	s_and_b32 s0, vcc_lo, s56
	s_and_saveexec_b32 s1, s0
	s_cbranch_execz .LBB53_202
.LBB53_196:
	v_mov_b32_e32 v0, 0
	v_mov_b32_e32 v1, 0x7ff80000
	s_mov_b32 s0, exec_lo
.LBB53_197:                             ; =>This Inner Loop Header: Depth=1
	s_ff1_i32_b32 s4, s0
	v_max_f64 v[0:1], v[0:1], v[0:1]
	v_readlane_b32 s3, v16, s4
	v_readlane_b32 s2, v15, s4
	v_max_f64 v[2:3], s[2:3], s[2:3]
	s_lshl_b32 s2, 1, s4
	s_andn2_b32 s0, s0, s2
	s_cmp_lg_u32 s0, 0
	v_max_f64 v[0:1], v[0:1], v[2:3]
	s_cbranch_scc1 .LBB53_197
; %bb.198:
	v_mbcnt_lo_u32_b32 v2, exec_lo, 0
	s_mov_b32 s2, 0
	s_mov_b32 s3, exec_lo
	v_cmpx_eq_u32_e32 0, v2
	s_xor_b32 s3, exec_lo, s3
	s_cbranch_execz .LBB53_202
; %bb.199:
	v_mov_b32_e32 v6, 0
	v_max_f64 v[4:5], v[0:1], v[0:1]
	global_load_dwordx2 v[2:3], v6, s[28:29]
.LBB53_200:                             ; =>This Inner Loop Header: Depth=1
	s_waitcnt vmcnt(0)
	v_max_f64 v[0:1], v[2:3], v[2:3]
	v_max_f64 v[0:1], v[0:1], v[4:5]
	global_atomic_cmpswap_x2 v[0:1], v6, v[0:3], s[28:29] glc
	s_waitcnt vmcnt(0)
	v_cmp_eq_u64_e64 s0, v[0:1], v[2:3]
	v_mov_b32_e32 v3, v1
	v_mov_b32_e32 v2, v0
	s_or_b32 s2, s0, s2
	s_andn2_b32 exec_lo, exec_lo, s2
	s_cbranch_execnz .LBB53_200
; %bb.201:
	s_or_b32 exec_lo, exec_lo, s2
.LBB53_202:
	s_or_b32 exec_lo, exec_lo, s1
	s_and_b32 s0, vcc_lo, s33
	s_and_saveexec_b32 s1, s0
	s_cbranch_execz .LBB53_208
; %bb.203:
	v_mov_b32_e32 v0, 0
	v_mov_b32_e32 v1, 0x7ff80000
	s_mov_b32 s0, exec_lo
.LBB53_204:                             ; =>This Inner Loop Header: Depth=1
	s_ff1_i32_b32 s1, s0
	v_max_f64 v[0:1], v[0:1], v[0:1]
	v_readlane_b32 s3, v14, s1
	v_readlane_b32 s2, v13, s1
	s_lshl_b32 s1, 1, s1
	s_andn2_b32 s0, s0, s1
	v_max_f64 v[2:3], s[2:3], s[2:3]
	s_cmp_lg_u32 s0, 0
	v_max_f64 v[0:1], v[0:1], v[2:3]
	s_cbranch_scc1 .LBB53_204
; %bb.205:
	v_mbcnt_lo_u32_b32 v2, exec_lo, 0
	s_mov_b32 s0, 0
	s_mov_b32 s1, exec_lo
	v_cmpx_eq_u32_e32 0, v2
	s_xor_b32 s1, exec_lo, s1
	s_cbranch_execz .LBB53_208
; %bb.206:
	v_mov_b32_e32 v6, 0
	v_max_f64 v[4:5], v[0:1], v[0:1]
	global_load_dwordx2 v[2:3], v6, s[30:31]
.LBB53_207:                             ; =>This Inner Loop Header: Depth=1
	s_waitcnt vmcnt(0)
	v_max_f64 v[0:1], v[2:3], v[2:3]
	v_max_f64 v[0:1], v[0:1], v[4:5]
	global_atomic_cmpswap_x2 v[0:1], v6, v[0:3], s[30:31] glc
	s_waitcnt vmcnt(0)
	v_cmp_eq_u64_e32 vcc_lo, v[0:1], v[2:3]
	v_mov_b32_e32 v3, v1
	v_mov_b32_e32 v2, v0
	s_or_b32 s0, vcc_lo, s0
	s_andn2_b32 exec_lo, exec_lo, s0
	s_cbranch_execnz .LBB53_207
.LBB53_208:
	s_endpgm
	.section	.rodata,"a",@progbits
	.p2align	6, 0x0
	.amdhsa_kernel _ZN9rocsparseL6kernelILi1024ELi16E21rocsparse_complex_numIdEiiEEvbbbT3_PS3_NS_15floating_traitsIT1_E6data_tES3_T2_PKS9_SB_PKS3_PKS6_21rocsparse_index_base_SB_SB_SD_PS6_SH_SG_SB_SB_SD_SH_SH_SG_SH_SH_PS8_SI_PKS8_
		.amdhsa_group_segment_fixed_size 768
		.amdhsa_private_segment_fixed_size 0
		.amdhsa_kernarg_size 208
		.amdhsa_user_sgpr_count 6
		.amdhsa_user_sgpr_private_segment_buffer 1
		.amdhsa_user_sgpr_dispatch_ptr 0
		.amdhsa_user_sgpr_queue_ptr 0
		.amdhsa_user_sgpr_kernarg_segment_ptr 1
		.amdhsa_user_sgpr_dispatch_id 0
		.amdhsa_user_sgpr_flat_scratch_init 0
		.amdhsa_user_sgpr_private_segment_size 0
		.amdhsa_wavefront_size32 1
		.amdhsa_uses_dynamic_stack 0
		.amdhsa_system_sgpr_private_segment_wavefront_offset 0
		.amdhsa_system_sgpr_workgroup_id_x 1
		.amdhsa_system_sgpr_workgroup_id_y 0
		.amdhsa_system_sgpr_workgroup_id_z 0
		.amdhsa_system_sgpr_workgroup_info 0
		.amdhsa_system_vgpr_workitem_id 0
		.amdhsa_next_free_vgpr 59
		.amdhsa_next_free_sgpr 82
		.amdhsa_reserve_vcc 1
		.amdhsa_reserve_flat_scratch 0
		.amdhsa_float_round_mode_32 0
		.amdhsa_float_round_mode_16_64 0
		.amdhsa_float_denorm_mode_32 3
		.amdhsa_float_denorm_mode_16_64 3
		.amdhsa_dx10_clamp 1
		.amdhsa_ieee_mode 1
		.amdhsa_fp16_overflow 0
		.amdhsa_workgroup_processor_mode 1
		.amdhsa_memory_ordered 1
		.amdhsa_forward_progress 1
		.amdhsa_shared_vgpr_count 0
		.amdhsa_exception_fp_ieee_invalid_op 0
		.amdhsa_exception_fp_denorm_src 0
		.amdhsa_exception_fp_ieee_div_zero 0
		.amdhsa_exception_fp_ieee_overflow 0
		.amdhsa_exception_fp_ieee_underflow 0
		.amdhsa_exception_fp_ieee_inexact 0
		.amdhsa_exception_int_div_zero 0
	.end_amdhsa_kernel
	.section	.text._ZN9rocsparseL6kernelILi1024ELi16E21rocsparse_complex_numIdEiiEEvbbbT3_PS3_NS_15floating_traitsIT1_E6data_tES3_T2_PKS9_SB_PKS3_PKS6_21rocsparse_index_base_SB_SB_SD_PS6_SH_SG_SB_SB_SD_SH_SH_SG_SH_SH_PS8_SI_PKS8_,"axG",@progbits,_ZN9rocsparseL6kernelILi1024ELi16E21rocsparse_complex_numIdEiiEEvbbbT3_PS3_NS_15floating_traitsIT1_E6data_tES3_T2_PKS9_SB_PKS3_PKS6_21rocsparse_index_base_SB_SB_SD_PS6_SH_SG_SB_SB_SD_SH_SH_SG_SH_SH_PS8_SI_PKS8_,comdat
.Lfunc_end53:
	.size	_ZN9rocsparseL6kernelILi1024ELi16E21rocsparse_complex_numIdEiiEEvbbbT3_PS3_NS_15floating_traitsIT1_E6data_tES3_T2_PKS9_SB_PKS3_PKS6_21rocsparse_index_base_SB_SB_SD_PS6_SH_SG_SB_SB_SD_SH_SH_SG_SH_SH_PS8_SI_PKS8_, .Lfunc_end53-_ZN9rocsparseL6kernelILi1024ELi16E21rocsparse_complex_numIdEiiEEvbbbT3_PS3_NS_15floating_traitsIT1_E6data_tES3_T2_PKS9_SB_PKS3_PKS6_21rocsparse_index_base_SB_SB_SD_PS6_SH_SG_SB_SB_SD_SH_SH_SG_SH_SH_PS8_SI_PKS8_
                                        ; -- End function
	.set _ZN9rocsparseL6kernelILi1024ELi16E21rocsparse_complex_numIdEiiEEvbbbT3_PS3_NS_15floating_traitsIT1_E6data_tES3_T2_PKS9_SB_PKS3_PKS6_21rocsparse_index_base_SB_SB_SD_PS6_SH_SG_SB_SB_SD_SH_SH_SG_SH_SH_PS8_SI_PKS8_.num_vgpr, 59
	.set _ZN9rocsparseL6kernelILi1024ELi16E21rocsparse_complex_numIdEiiEEvbbbT3_PS3_NS_15floating_traitsIT1_E6data_tES3_T2_PKS9_SB_PKS3_PKS6_21rocsparse_index_base_SB_SB_SD_PS6_SH_SG_SB_SB_SD_SH_SH_SG_SH_SH_PS8_SI_PKS8_.num_agpr, 0
	.set _ZN9rocsparseL6kernelILi1024ELi16E21rocsparse_complex_numIdEiiEEvbbbT3_PS3_NS_15floating_traitsIT1_E6data_tES3_T2_PKS9_SB_PKS3_PKS6_21rocsparse_index_base_SB_SB_SD_PS6_SH_SG_SB_SB_SD_SH_SH_SG_SH_SH_PS8_SI_PKS8_.numbered_sgpr, 82
	.set _ZN9rocsparseL6kernelILi1024ELi16E21rocsparse_complex_numIdEiiEEvbbbT3_PS3_NS_15floating_traitsIT1_E6data_tES3_T2_PKS9_SB_PKS3_PKS6_21rocsparse_index_base_SB_SB_SD_PS6_SH_SG_SB_SB_SD_SH_SH_SG_SH_SH_PS8_SI_PKS8_.num_named_barrier, 0
	.set _ZN9rocsparseL6kernelILi1024ELi16E21rocsparse_complex_numIdEiiEEvbbbT3_PS3_NS_15floating_traitsIT1_E6data_tES3_T2_PKS9_SB_PKS3_PKS6_21rocsparse_index_base_SB_SB_SD_PS6_SH_SG_SB_SB_SD_SH_SH_SG_SH_SH_PS8_SI_PKS8_.private_seg_size, 0
	.set _ZN9rocsparseL6kernelILi1024ELi16E21rocsparse_complex_numIdEiiEEvbbbT3_PS3_NS_15floating_traitsIT1_E6data_tES3_T2_PKS9_SB_PKS3_PKS6_21rocsparse_index_base_SB_SB_SD_PS6_SH_SG_SB_SB_SD_SH_SH_SG_SH_SH_PS8_SI_PKS8_.uses_vcc, 1
	.set _ZN9rocsparseL6kernelILi1024ELi16E21rocsparse_complex_numIdEiiEEvbbbT3_PS3_NS_15floating_traitsIT1_E6data_tES3_T2_PKS9_SB_PKS3_PKS6_21rocsparse_index_base_SB_SB_SD_PS6_SH_SG_SB_SB_SD_SH_SH_SG_SH_SH_PS8_SI_PKS8_.uses_flat_scratch, 0
	.set _ZN9rocsparseL6kernelILi1024ELi16E21rocsparse_complex_numIdEiiEEvbbbT3_PS3_NS_15floating_traitsIT1_E6data_tES3_T2_PKS9_SB_PKS3_PKS6_21rocsparse_index_base_SB_SB_SD_PS6_SH_SG_SB_SB_SD_SH_SH_SG_SH_SH_PS8_SI_PKS8_.has_dyn_sized_stack, 0
	.set _ZN9rocsparseL6kernelILi1024ELi16E21rocsparse_complex_numIdEiiEEvbbbT3_PS3_NS_15floating_traitsIT1_E6data_tES3_T2_PKS9_SB_PKS3_PKS6_21rocsparse_index_base_SB_SB_SD_PS6_SH_SG_SB_SB_SD_SH_SH_SG_SH_SH_PS8_SI_PKS8_.has_recursion, 0
	.set _ZN9rocsparseL6kernelILi1024ELi16E21rocsparse_complex_numIdEiiEEvbbbT3_PS3_NS_15floating_traitsIT1_E6data_tES3_T2_PKS9_SB_PKS3_PKS6_21rocsparse_index_base_SB_SB_SD_PS6_SH_SG_SB_SB_SD_SH_SH_SG_SH_SH_PS8_SI_PKS8_.has_indirect_call, 0
	.section	.AMDGPU.csdata,"",@progbits
; Kernel info:
; codeLenInByte = 10208
; TotalNumSgprs: 84
; NumVgprs: 59
; ScratchSize: 0
; MemoryBound: 1
; FloatMode: 240
; IeeeMode: 1
; LDSByteSize: 768 bytes/workgroup (compile time only)
; SGPRBlocks: 0
; VGPRBlocks: 7
; NumSGPRsForWavesPerEU: 84
; NumVGPRsForWavesPerEU: 59
; Occupancy: 16
; WaveLimiterHint : 1
; COMPUTE_PGM_RSRC2:SCRATCH_EN: 0
; COMPUTE_PGM_RSRC2:USER_SGPR: 6
; COMPUTE_PGM_RSRC2:TRAP_HANDLER: 0
; COMPUTE_PGM_RSRC2:TGID_X_EN: 1
; COMPUTE_PGM_RSRC2:TGID_Y_EN: 0
; COMPUTE_PGM_RSRC2:TGID_Z_EN: 0
; COMPUTE_PGM_RSRC2:TIDIG_COMP_CNT: 0
	.section	.text._ZN9rocsparseL6kernelILi1024ELi32E21rocsparse_complex_numIdEiiEEvbbbT3_PS3_NS_15floating_traitsIT1_E6data_tES3_T2_PKS9_SB_PKS3_PKS6_21rocsparse_index_base_SB_SB_SD_PS6_SH_SG_SB_SB_SD_SH_SH_SG_SH_SH_PS8_SI_PKS8_,"axG",@progbits,_ZN9rocsparseL6kernelILi1024ELi32E21rocsparse_complex_numIdEiiEEvbbbT3_PS3_NS_15floating_traitsIT1_E6data_tES3_T2_PKS9_SB_PKS3_PKS6_21rocsparse_index_base_SB_SB_SD_PS6_SH_SG_SB_SB_SD_SH_SH_SG_SH_SH_PS8_SI_PKS8_,comdat
	.globl	_ZN9rocsparseL6kernelILi1024ELi32E21rocsparse_complex_numIdEiiEEvbbbT3_PS3_NS_15floating_traitsIT1_E6data_tES3_T2_PKS9_SB_PKS3_PKS6_21rocsparse_index_base_SB_SB_SD_PS6_SH_SG_SB_SB_SD_SH_SH_SG_SH_SH_PS8_SI_PKS8_ ; -- Begin function _ZN9rocsparseL6kernelILi1024ELi32E21rocsparse_complex_numIdEiiEEvbbbT3_PS3_NS_15floating_traitsIT1_E6data_tES3_T2_PKS9_SB_PKS3_PKS6_21rocsparse_index_base_SB_SB_SD_PS6_SH_SG_SB_SB_SD_SH_SH_SG_SH_SH_PS8_SI_PKS8_
	.p2align	8
	.type	_ZN9rocsparseL6kernelILi1024ELi32E21rocsparse_complex_numIdEiiEEvbbbT3_PS3_NS_15floating_traitsIT1_E6data_tES3_T2_PKS9_SB_PKS3_PKS6_21rocsparse_index_base_SB_SB_SD_PS6_SH_SG_SB_SB_SD_SH_SH_SG_SH_SH_PS8_SI_PKS8_,@function
_ZN9rocsparseL6kernelILi1024ELi32E21rocsparse_complex_numIdEiiEEvbbbT3_PS3_NS_15floating_traitsIT1_E6data_tES3_T2_PKS9_SB_PKS3_PKS6_21rocsparse_index_base_SB_SB_SD_PS6_SH_SG_SB_SB_SD_SH_SH_SG_SH_SH_PS8_SI_PKS8_: ; @_ZN9rocsparseL6kernelILi1024ELi32E21rocsparse_complex_numIdEiiEEvbbbT3_PS3_NS_15floating_traitsIT1_E6data_tES3_T2_PKS9_SB_PKS3_PKS6_21rocsparse_index_base_SB_SB_SD_PS6_SH_SG_SB_SB_SD_SH_SH_SG_SH_SH_PS8_SI_PKS8_
; %bb.0:
	s_clause 0x4
	s_load_dword s0, s[4:5], 0x0
	s_load_dwordx2 s[10:11], s[4:5], 0x0
	s_load_dword s56, s[4:5], 0x18
	s_load_dwordx4 s[44:47], s[4:5], 0x8
	s_load_dwordx4 s[28:31], s[4:5], 0xb8
	v_lshrrev_b32_e32 v37, 5, v0
	v_mov_b32_e32 v1, 0
	v_mov_b32_e32 v15, 0
	;; [unrolled: 1-line block ×3, first 2 shown]
	v_lshlrev_b32_e32 v40, 3, v0
	v_and_b32_e32 v38, 31, v0
	v_mov_b32_e32 v2, v1
	v_mov_b32_e32 v16, 0
	;; [unrolled: 1-line block ×3, first 2 shown]
	v_mbcnt_lo_u32_b32 v39, -1, 0
	s_mov_b32 s58, 0
	ds_write_b64 v40, v[1:2]
	s_waitcnt lgkmcnt(0)
	s_barrier
	buffer_gl0_inv
	s_bitcmp1_b32 s0, 0
	s_cselect_b32 s57, -1, 0
	s_bitcmp1_b32 s0, 8
	s_cselect_b32 s33, -1, 0
	s_bitcmp1_b32 s10, 16
	s_cselect_b32 s10, -1, 0
	s_lshl_b32 s63, s6, 10
	s_cmp_gt_i32 s11, 0
	v_or_b32_e32 v41, s63, v37
	s_cselect_b32 s0, -1, 0
	v_cmp_gt_i32_e32 vcc_lo, s56, v41
	s_and_b32 s0, s0, vcc_lo
	s_and_saveexec_b32 s59, s0
	s_cbranch_execnz .LBB54_3
; %bb.1:
	s_or_b32 exec_lo, exec_lo, s59
	s_andn2_b32 vcc_lo, exec_lo, s57
	s_cbranch_vccz .LBB54_174
.LBB54_2:
	v_cmp_eq_u32_e32 vcc_lo, 0, v0
	s_and_b32 s0, vcc_lo, s33
	s_and_saveexec_b32 s1, s0
	s_cbranch_execnz .LBB54_190
	s_branch .LBB54_196
.LBB54_3:
	s_clause 0x9
	s_load_dword s60, s[4:5], 0x40
	s_load_dword s61, s[4:5], 0x70
	;; [unrolled: 1-line block ×3, first 2 shown]
	s_load_dwordx2 s[34:35], s[4:5], 0x98
	s_load_dwordx2 s[52:53], s[4:5], 0x68
	;; [unrolled: 1-line block ×3, first 2 shown]
	s_load_dwordx4 s[48:51], s[4:5], 0xa8
	s_load_dwordx8 s[12:19], s[4:5], 0x78
	s_load_dwordx8 s[20:27], s[4:5], 0x48
	;; [unrolled: 1-line block ×3, first 2 shown]
	s_addk_i32 s63, 0x400
	v_mov_b32_e32 v13, 0
	v_mov_b32_e32 v15, 0
	v_cmp_eq_u32_e64 s0, 31, v38
	v_lshlrev_b32_e32 v42, 3, v37
	v_cmp_gt_u32_e64 s1, 16, v0
	v_cmp_gt_u32_e64 s2, 8, v0
	;; [unrolled: 1-line block ×4, first 2 shown]
	v_cmp_eq_u32_e64 s5, 0, v0
	v_cmp_gt_u32_e64 s6, s63, v41
	s_waitcnt lgkmcnt(0)
	v_subrev_nc_u32_e32 v43, s60, v38
	v_subrev_nc_u32_e32 v44, s61, v38
	;; [unrolled: 1-line block ×3, first 2 shown]
	v_cmp_eq_u32_e64 s7, 0, v38
	v_mov_b32_e32 v14, 0
	v_mov_b32_e32 v16, 0
	v_mov_b32_e32 v18, 0
	s_and_b32 s8, s33, s10
	s_xor_b32 s64, s33, -1
	s_xor_b32 s65, s8, -1
	s_mov_b32 s66, 0
	s_branch .LBB54_5
.LBB54_4:                               ;   in Loop: Header=BB54_5 Depth=1
	s_or_b32 exec_lo, exec_lo, s8
	s_and_b32 s8, exec_lo, s9
	s_or_b32 s58, s8, s58
	s_andn2_b32 exec_lo, exec_lo, s58
	s_cbranch_execz .LBB54_173
.LBB54_5:                               ; =>This Loop Header: Depth=1
                                        ;     Child Loop BB54_9 Depth 2
                                        ;       Child Loop BB54_14 Depth 3
                                        ;         Child Loop BB54_18 Depth 4
                                        ;         Child Loop BB54_53 Depth 4
	;; [unrolled: 1-line block ×5, first 2 shown]
                                        ;     Child Loop BB54_152 Depth 2
                                        ;       Child Loop BB54_155 Depth 3
                                        ;       Child Loop BB54_158 Depth 3
	v_cndmask_b32_e64 v16, v16, 0, s33
	v_cndmask_b32_e64 v15, v15, 0, s33
	;; [unrolled: 1-line block ×4, first 2 shown]
	s_mov_b32 s67, 0
	s_branch .LBB54_9
.LBB54_6:                               ;   in Loop: Header=BB54_9 Depth=2
	s_or_b32 exec_lo, exec_lo, s70
.LBB54_7:                               ;   in Loop: Header=BB54_9 Depth=2
	s_or_b32 exec_lo, exec_lo, s69
.LBB54_8:                               ;   in Loop: Header=BB54_9 Depth=2
	s_or_b32 exec_lo, exec_lo, s68
	s_add_i32 s67, s67, 1
	s_cmp_eq_u32 s67, 32
	s_cbranch_scc1 .LBB54_121
.LBB54_9:                               ;   Parent Loop BB54_5 Depth=1
                                        ; =>  This Loop Header: Depth=2
                                        ;       Child Loop BB54_14 Depth 3
                                        ;         Child Loop BB54_18 Depth 4
                                        ;         Child Loop BB54_53 Depth 4
	;; [unrolled: 1-line block ×5, first 2 shown]
	v_lshl_add_u32 v19, s67, 5, v41
	s_mov_b32 s68, exec_lo
	v_cmpx_gt_i32_e64 s56, v19
	s_cbranch_execz .LBB54_8
; %bb.10:                               ;   in Loop: Header=BB54_9 Depth=2
	v_ashrrev_i32_e32 v20, 31, v19
	s_mov_b32 s69, exec_lo
	v_lshlrev_b64 v[1:2], 2, v[19:20]
	v_add_co_u32 v3, vcc_lo, s36, v1
	v_add_co_ci_u32_e64 v4, null, s37, v2, vcc_lo
	v_add_co_u32 v5, vcc_lo, s38, v1
	v_add_co_ci_u32_e64 v6, null, s39, v2, vcc_lo
	global_load_dword v3, v[3:4], off
	global_load_dword v4, v[5:6], off
	s_waitcnt vmcnt(1)
	v_add_nc_u32_e32 v20, v43, v3
	s_waitcnt vmcnt(0)
	v_subrev_nc_u32_e32 v46, s60, v4
	v_cmpx_lt_i32_e64 v20, v46
	s_cbranch_execz .LBB54_7
; %bb.11:                               ;   in Loop: Header=BB54_9 Depth=2
	v_add_co_u32 v3, vcc_lo, s20, v1
	v_add_co_ci_u32_e64 v4, null, s21, v2, vcc_lo
	v_add_co_u32 v1, vcc_lo, s22, v1
	v_add_co_ci_u32_e64 v2, null, s23, v2, vcc_lo
	global_load_dword v3, v[3:4], off
	s_mov_b32 s70, 0
	global_load_dword v4, v[1:2], off
	s_waitcnt vmcnt(1)
	v_subrev_nc_u32_e32 v22, s61, v3
	s_waitcnt vmcnt(0)
	v_sub_nc_u32_e32 v47, v4, v3
	v_ashrrev_i32_e32 v23, 31, v22
	v_cmp_lt_i32_e64 s8, 0, v47
	v_lshlrev_b64 v[1:2], 2, v[22:23]
	v_lshlrev_b64 v[3:4], 4, v[22:23]
	v_add_co_u32 v48, vcc_lo, s24, v1
	v_add_co_ci_u32_e64 v49, null, s25, v2, vcc_lo
	v_add_co_u32 v50, vcc_lo, s26, v3
	v_add_co_ci_u32_e64 v51, null, s27, v4, vcc_lo
	s_branch .LBB54_14
.LBB54_12:                              ;   in Loop: Header=BB54_14 Depth=3
	s_or_b32 exec_lo, exec_lo, s71
.LBB54_13:                              ;   in Loop: Header=BB54_14 Depth=3
	s_or_b32 exec_lo, exec_lo, s9
	v_add_nc_u32_e32 v20, 32, v20
	v_cmp_ge_i32_e32 vcc_lo, v20, v46
	s_or_b32 s70, vcc_lo, s70
	s_andn2_b32 exec_lo, exec_lo, s70
	s_cbranch_execz .LBB54_6
.LBB54_14:                              ;   Parent Loop BB54_5 Depth=1
                                        ;     Parent Loop BB54_9 Depth=2
                                        ; =>    This Loop Header: Depth=3
                                        ;         Child Loop BB54_18 Depth 4
                                        ;         Child Loop BB54_53 Depth 4
	;; [unrolled: 1-line block ×5, first 2 shown]
	v_ashrrev_i32_e32 v21, 31, v20
	v_mov_b32_e32 v17, 0
	v_mov_b32_e32 v25, 0
	;; [unrolled: 1-line block ×4, first 2 shown]
	v_lshlrev_b64 v[1:2], 2, v[20:21]
	v_mov_b32_e32 v28, 0
	v_mov_b32_e32 v30, v17
	v_add_co_u32 v1, vcc_lo, s40, v1
	v_add_co_ci_u32_e64 v2, null, s41, v2, vcc_lo
	global_load_dword v1, v[1:2], off
	s_waitcnt vmcnt(0)
	v_subrev_nc_u32_e32 v23, s60, v1
	v_ashrrev_i32_e32 v24, 31, v23
	v_lshlrev_b64 v[1:2], 2, v[23:24]
	v_add_co_u32 v3, vcc_lo, s12, v1
	v_add_co_ci_u32_e64 v4, null, s13, v2, vcc_lo
	v_add_co_u32 v1, vcc_lo, s14, v1
	v_add_co_ci_u32_e64 v2, null, s15, v2, vcc_lo
	global_load_dword v3, v[3:4], off
	global_load_dword v1, v[1:2], off
	s_waitcnt vmcnt(1)
	v_subrev_nc_u32_e32 v29, s62, v3
	s_waitcnt vmcnt(0)
	v_sub_nc_u32_e32 v52, v1, v3
	s_and_saveexec_b32 s71, s8
	s_cbranch_execz .LBB54_22
; %bb.15:                               ;   in Loop: Header=BB54_14 Depth=3
	v_ashrrev_i32_e32 v30, 31, v29
	v_mov_b32_e32 v25, 0
	v_mov_b32_e32 v27, 0
	;; [unrolled: 1-line block ×4, first 2 shown]
	v_lshlrev_b64 v[1:2], 2, v[29:30]
	v_lshlrev_b64 v[3:4], 4, v[29:30]
	v_mov_b32_e32 v30, 0
	v_mov_b32_e32 v17, 0
	s_mov_b32 s72, 0
                                        ; implicit-def: $sgpr73
	v_add_co_u32 v1, vcc_lo, s16, v1
	v_add_co_ci_u32_e64 v2, null, s17, v2, vcc_lo
	v_add_co_u32 v3, vcc_lo, s18, v3
	v_add_co_ci_u32_e64 v4, null, s19, v4, vcc_lo
	s_branch .LBB54_18
.LBB54_16:                              ;   in Loop: Header=BB54_18 Depth=4
	s_or_b32 exec_lo, exec_lo, s9
	v_cmp_le_i32_e32 vcc_lo, v5, v6
	v_cmp_ge_i32_e64 s9, v5, v6
	v_add_co_ci_u32_e64 v17, null, 0, v17, vcc_lo
	v_add_co_ci_u32_e64 v30, null, 0, v30, s9
	s_andn2_b32 s9, s73, exec_lo
	v_cmp_ge_i32_e32 vcc_lo, v17, v47
	s_and_b32 s73, vcc_lo, exec_lo
	s_or_b32 s73, s9, s73
.LBB54_17:                              ;   in Loop: Header=BB54_18 Depth=4
	s_or_b32 exec_lo, exec_lo, s74
	s_and_b32 s9, exec_lo, s73
	s_or_b32 s72, s9, s72
	s_andn2_b32 exec_lo, exec_lo, s72
	s_cbranch_execz .LBB54_21
.LBB54_18:                              ;   Parent Loop BB54_5 Depth=1
                                        ;     Parent Loop BB54_9 Depth=2
                                        ;       Parent Loop BB54_14 Depth=3
                                        ; =>      This Inner Loop Header: Depth=4
	s_or_b32 s73, s73, exec_lo
	s_mov_b32 s74, exec_lo
	v_cmpx_lt_i32_e64 v30, v52
	s_cbranch_execz .LBB54_17
; %bb.19:                               ;   in Loop: Header=BB54_18 Depth=4
	v_mov_b32_e32 v31, v18
	v_lshlrev_b64 v[5:6], 2, v[17:18]
	s_mov_b32 s9, exec_lo
	v_lshlrev_b64 v[7:8], 2, v[30:31]
	v_add_co_u32 v5, vcc_lo, v48, v5
	v_add_co_ci_u32_e64 v6, null, v49, v6, vcc_lo
	v_add_co_u32 v7, vcc_lo, v1, v7
	v_add_co_ci_u32_e64 v8, null, v2, v8, vcc_lo
	global_load_dword v5, v[5:6], off
	global_load_dword v6, v[7:8], off
	s_waitcnt vmcnt(1)
	v_subrev_nc_u32_e32 v5, s61, v5
	s_waitcnt vmcnt(0)
	v_subrev_nc_u32_e32 v6, s62, v6
	v_cmpx_eq_u32_e64 v5, v6
	s_cbranch_execz .LBB54_16
; %bb.20:                               ;   in Loop: Header=BB54_18 Depth=4
	v_lshlrev_b64 v[7:8], 4, v[17:18]
	v_lshlrev_b64 v[9:10], 4, v[30:31]
	v_add_co_u32 v7, vcc_lo, v50, v7
	v_add_co_ci_u32_e64 v8, null, v51, v8, vcc_lo
	v_add_co_u32 v11, vcc_lo, v3, v9
	v_add_co_ci_u32_e64 v12, null, v4, v10, vcc_lo
	global_load_dwordx4 v[7:10], v[7:8], off
	global_load_dwordx4 v[31:34], v[11:12], off
	s_waitcnt vmcnt(0)
	v_fma_f64 v[11:12], v[7:8], v[31:32], v[25:26]
	v_fma_f64 v[27:28], v[9:10], v[31:32], v[27:28]
	v_fma_f64 v[25:26], -v[9:10], v[33:34], v[11:12]
	v_fma_f64 v[27:28], v[7:8], v[33:34], v[27:28]
	s_branch .LBB54_16
.LBB54_21:                              ;   in Loop: Header=BB54_14 Depth=3
	s_or_b32 exec_lo, exec_lo, s72
.LBB54_22:                              ;   in Loop: Header=BB54_14 Depth=3
	s_or_b32 exec_lo, exec_lo, s71
	v_lshlrev_b64 v[1:2], 4, v[20:21]
	v_cmp_le_i32_e64 s9, v19, v23
	s_mov_b32 s71, exec_lo
	v_add_co_u32 v1, vcc_lo, s42, v1
	v_add_co_ci_u32_e64 v2, null, s43, v2, vcc_lo
	global_load_dwordx4 v[1:4], v[1:2], off
	s_waitcnt vmcnt(0)
	v_add_f64 v[5:6], v[1:2], -v[25:26]
	v_add_f64 v[7:8], v[3:4], -v[27:28]
	v_cmpx_gt_i32_e64 v19, v23
	s_cbranch_execz .LBB54_32
; %bb.23:                               ;   in Loop: Header=BB54_14 Depth=3
	v_lshlrev_b64 v[9:10], 4, v[23:24]
	s_mov_b32 s72, exec_lo
                                        ; implicit-def: $vgpr35_vgpr36
	v_add_co_u32 v9, vcc_lo, s48, v9
	v_add_co_ci_u32_e64 v10, null, s49, v10, vcc_lo
	global_load_dwordx4 v[9:12], v[9:10], off
	s_waitcnt vmcnt(0)
	v_cmp_gt_f64_e32 vcc_lo, 0, v[9:10]
	v_xor_b32_e32 v21, 0x80000000, v10
	v_xor_b32_e32 v33, 0x80000000, v12
	v_mov_b32_e32 v31, v9
	v_cndmask_b32_e32 v32, v10, v21, vcc_lo
	v_cmp_gt_f64_e32 vcc_lo, 0, v[11:12]
	v_cndmask_b32_e32 v34, v12, v33, vcc_lo
	v_mov_b32_e32 v33, v11
	v_cmpx_ngt_f64_e32 v[31:32], v[33:34]
	s_xor_b32 s72, exec_lo, s72
	s_cbranch_execz .LBB54_27
; %bb.24:                               ;   in Loop: Header=BB54_14 Depth=3
	v_mov_b32_e32 v35, 0
	v_mov_b32_e32 v36, 0
	s_mov_b32 s73, exec_lo
	v_cmpx_neq_f64_e32 0, v[11:12]
	s_cbranch_execz .LBB54_26
; %bb.25:                               ;   in Loop: Header=BB54_14 Depth=3
	v_div_scale_f64 v[35:36], null, v[33:34], v[33:34], v[31:32]
	v_div_scale_f64 v[57:58], vcc_lo, v[31:32], v[33:34], v[31:32]
	v_rcp_f64_e32 v[53:54], v[35:36]
	v_fma_f64 v[55:56], -v[35:36], v[53:54], 1.0
	v_fma_f64 v[53:54], v[53:54], v[55:56], v[53:54]
	v_fma_f64 v[55:56], -v[35:36], v[53:54], 1.0
	v_fma_f64 v[53:54], v[53:54], v[55:56], v[53:54]
	v_mul_f64 v[55:56], v[57:58], v[53:54]
	v_fma_f64 v[35:36], -v[35:36], v[55:56], v[57:58]
	v_div_fmas_f64 v[35:36], v[35:36], v[53:54], v[55:56]
	v_div_fixup_f64 v[31:32], v[35:36], v[33:34], v[31:32]
	v_fma_f64 v[31:32], v[31:32], v[31:32], 1.0
	v_cmp_gt_f64_e32 vcc_lo, 0x10000000, v[31:32]
	v_cndmask_b32_e64 v21, 0, 0x100, vcc_lo
	v_ldexp_f64 v[31:32], v[31:32], v21
	v_cndmask_b32_e64 v21, 0, 0xffffff80, vcc_lo
	v_rsq_f64_e32 v[35:36], v[31:32]
	v_cmp_class_f64_e64 vcc_lo, v[31:32], 0x260
	v_mul_f64 v[53:54], v[31:32], v[35:36]
	v_mul_f64 v[35:36], v[35:36], 0.5
	v_fma_f64 v[55:56], -v[35:36], v[53:54], 0.5
	v_fma_f64 v[53:54], v[53:54], v[55:56], v[53:54]
	v_fma_f64 v[35:36], v[35:36], v[55:56], v[35:36]
	v_fma_f64 v[55:56], -v[53:54], v[53:54], v[31:32]
	v_fma_f64 v[53:54], v[55:56], v[35:36], v[53:54]
	v_fma_f64 v[55:56], -v[53:54], v[53:54], v[31:32]
	v_fma_f64 v[35:36], v[55:56], v[35:36], v[53:54]
	v_ldexp_f64 v[35:36], v[35:36], v21
	v_cndmask_b32_e32 v32, v36, v32, vcc_lo
	v_cndmask_b32_e32 v31, v35, v31, vcc_lo
	v_mul_f64 v[35:36], v[33:34], v[31:32]
.LBB54_26:                              ;   in Loop: Header=BB54_14 Depth=3
	s_or_b32 exec_lo, exec_lo, s73
                                        ; implicit-def: $vgpr31_vgpr32
                                        ; implicit-def: $vgpr33_vgpr34
.LBB54_27:                              ;   in Loop: Header=BB54_14 Depth=3
	s_andn2_saveexec_b32 s72, s72
	s_cbranch_execz .LBB54_29
; %bb.28:                               ;   in Loop: Header=BB54_14 Depth=3
	v_div_scale_f64 v[35:36], null, v[31:32], v[31:32], v[33:34]
	v_div_scale_f64 v[57:58], vcc_lo, v[33:34], v[31:32], v[33:34]
	v_rcp_f64_e32 v[53:54], v[35:36]
	v_fma_f64 v[55:56], -v[35:36], v[53:54], 1.0
	v_fma_f64 v[53:54], v[53:54], v[55:56], v[53:54]
	v_fma_f64 v[55:56], -v[35:36], v[53:54], 1.0
	v_fma_f64 v[53:54], v[53:54], v[55:56], v[53:54]
	v_mul_f64 v[55:56], v[57:58], v[53:54]
	v_fma_f64 v[35:36], -v[35:36], v[55:56], v[57:58]
	v_div_fmas_f64 v[35:36], v[35:36], v[53:54], v[55:56]
	v_div_fixup_f64 v[33:34], v[35:36], v[31:32], v[33:34]
	v_fma_f64 v[33:34], v[33:34], v[33:34], 1.0
	v_cmp_gt_f64_e32 vcc_lo, 0x10000000, v[33:34]
	v_cndmask_b32_e64 v21, 0, 0x100, vcc_lo
	v_ldexp_f64 v[33:34], v[33:34], v21
	v_cndmask_b32_e64 v21, 0, 0xffffff80, vcc_lo
	v_rsq_f64_e32 v[35:36], v[33:34]
	v_cmp_class_f64_e64 vcc_lo, v[33:34], 0x260
	v_mul_f64 v[53:54], v[33:34], v[35:36]
	v_mul_f64 v[35:36], v[35:36], 0.5
	v_fma_f64 v[55:56], -v[35:36], v[53:54], 0.5
	v_fma_f64 v[53:54], v[53:54], v[55:56], v[53:54]
	v_fma_f64 v[35:36], v[35:36], v[55:56], v[35:36]
	v_fma_f64 v[55:56], -v[53:54], v[53:54], v[33:34]
	v_fma_f64 v[53:54], v[55:56], v[35:36], v[53:54]
	v_fma_f64 v[55:56], -v[53:54], v[53:54], v[33:34]
	v_fma_f64 v[35:36], v[55:56], v[35:36], v[53:54]
	v_ldexp_f64 v[35:36], v[35:36], v21
	v_cndmask_b32_e32 v34, v36, v34, vcc_lo
	v_cndmask_b32_e32 v33, v35, v33, vcc_lo
	v_mul_f64 v[35:36], v[31:32], v[33:34]
.LBB54_29:                              ;   in Loop: Header=BB54_14 Depth=3
	s_or_b32 exec_lo, exec_lo, s72
	v_mov_b32_e32 v31, 0
	v_mov_b32_e32 v33, 0
	;; [unrolled: 1-line block ×4, first 2 shown]
	s_mov_b32 s72, exec_lo
	v_cmpx_lt_f64_e32 0, v[35:36]
	s_cbranch_execz .LBB54_31
; %bb.30:                               ;   in Loop: Header=BB54_14 Depth=3
	v_mul_f64 v[31:32], v[11:12], v[11:12]
	v_fma_f64 v[31:32], v[9:10], v[9:10], v[31:32]
	v_div_scale_f64 v[33:34], null, v[31:32], v[31:32], 1.0
	v_div_scale_f64 v[55:56], vcc_lo, 1.0, v[31:32], 1.0
	v_rcp_f64_e32 v[35:36], v[33:34]
	v_fma_f64 v[53:54], -v[33:34], v[35:36], 1.0
	v_fma_f64 v[35:36], v[35:36], v[53:54], v[35:36]
	v_fma_f64 v[53:54], -v[33:34], v[35:36], 1.0
	v_fma_f64 v[35:36], v[35:36], v[53:54], v[35:36]
	v_mul_f64 v[53:54], v[55:56], v[35:36]
	v_fma_f64 v[33:34], -v[33:34], v[53:54], v[55:56]
	v_mul_f64 v[55:56], v[7:8], v[11:12]
	v_mul_f64 v[11:12], v[11:12], -v[5:6]
	v_div_fmas_f64 v[33:34], v[33:34], v[35:36], v[53:54]
	v_fma_f64 v[5:6], v[5:6], v[9:10], v[55:56]
	v_fma_f64 v[7:8], v[7:8], v[9:10], v[11:12]
	v_div_fixup_f64 v[31:32], v[33:34], v[31:32], 1.0
	v_mul_f64 v[33:34], v[5:6], v[31:32]
	v_mul_f64 v[31:32], v[7:8], v[31:32]
.LBB54_31:                              ;   in Loop: Header=BB54_14 Depth=3
	s_or_b32 exec_lo, exec_lo, s72
	v_mov_b32_e32 v7, v31
	v_mov_b32_e32 v5, v33
	;; [unrolled: 1-line block ×4, first 2 shown]
.LBB54_32:                              ;   in Loop: Header=BB54_14 Depth=3
	s_or_b32 exec_lo, exec_lo, s71
	v_cmp_gt_f64_e32 vcc_lo, 0, v[5:6]
	v_xor_b32_e32 v10, 0x80000000, v6
	v_xor_b32_e32 v11, 0x80000000, v8
	v_mov_b32_e32 v9, v5
	s_mov_b32 s71, exec_lo
                                        ; implicit-def: $vgpr31_vgpr32
	v_cndmask_b32_e32 v10, v6, v10, vcc_lo
	v_cmp_gt_f64_e32 vcc_lo, 0, v[7:8]
	v_cndmask_b32_e32 v12, v8, v11, vcc_lo
	v_mov_b32_e32 v11, v7
	v_cmpx_ngt_f64_e32 v[9:10], v[11:12]
	s_xor_b32 s71, exec_lo, s71
	s_cbranch_execnz .LBB54_36
; %bb.33:                               ;   in Loop: Header=BB54_14 Depth=3
	s_andn2_saveexec_b32 s71, s71
	s_cbranch_execnz .LBB54_39
.LBB54_34:                              ;   in Loop: Header=BB54_14 Depth=3
	s_or_b32 exec_lo, exec_lo, s71
	v_cmp_class_f64_e64 s71, v[31:32], 0x1f8
	s_and_saveexec_b32 s72, s71
	s_cbranch_execnz .LBB54_40
.LBB54_35:                              ;   in Loop: Header=BB54_14 Depth=3
	s_or_b32 exec_lo, exec_lo, s72
	s_and_b32 s71, s10, s71
	s_and_saveexec_b32 s9, s71
	s_cbranch_execz .LBB54_13
	s_branch .LBB54_81
.LBB54_36:                              ;   in Loop: Header=BB54_14 Depth=3
	v_mov_b32_e32 v31, 0
	v_mov_b32_e32 v32, 0
	s_mov_b32 s72, exec_lo
	v_cmpx_neq_f64_e32 0, v[7:8]
	s_cbranch_execz .LBB54_38
; %bb.37:                               ;   in Loop: Header=BB54_14 Depth=3
	v_div_scale_f64 v[31:32], null, v[11:12], v[11:12], v[9:10]
	v_div_scale_f64 v[53:54], vcc_lo, v[9:10], v[11:12], v[9:10]
	v_rcp_f64_e32 v[33:34], v[31:32]
	v_fma_f64 v[35:36], -v[31:32], v[33:34], 1.0
	v_fma_f64 v[33:34], v[33:34], v[35:36], v[33:34]
	v_fma_f64 v[35:36], -v[31:32], v[33:34], 1.0
	v_fma_f64 v[33:34], v[33:34], v[35:36], v[33:34]
	v_mul_f64 v[35:36], v[53:54], v[33:34]
	v_fma_f64 v[31:32], -v[31:32], v[35:36], v[53:54]
	v_div_fmas_f64 v[31:32], v[31:32], v[33:34], v[35:36]
	v_div_fixup_f64 v[9:10], v[31:32], v[11:12], v[9:10]
	v_fma_f64 v[9:10], v[9:10], v[9:10], 1.0
	v_cmp_gt_f64_e32 vcc_lo, 0x10000000, v[9:10]
	v_cndmask_b32_e64 v21, 0, 0x100, vcc_lo
	v_ldexp_f64 v[9:10], v[9:10], v21
	v_cndmask_b32_e64 v21, 0, 0xffffff80, vcc_lo
	v_rsq_f64_e32 v[31:32], v[9:10]
	v_cmp_class_f64_e64 vcc_lo, v[9:10], 0x260
	v_mul_f64 v[33:34], v[9:10], v[31:32]
	v_mul_f64 v[31:32], v[31:32], 0.5
	v_fma_f64 v[35:36], -v[31:32], v[33:34], 0.5
	v_fma_f64 v[33:34], v[33:34], v[35:36], v[33:34]
	v_fma_f64 v[31:32], v[31:32], v[35:36], v[31:32]
	v_fma_f64 v[35:36], -v[33:34], v[33:34], v[9:10]
	v_fma_f64 v[33:34], v[35:36], v[31:32], v[33:34]
	v_fma_f64 v[35:36], -v[33:34], v[33:34], v[9:10]
	v_fma_f64 v[31:32], v[35:36], v[31:32], v[33:34]
	v_ldexp_f64 v[31:32], v[31:32], v21
	v_cndmask_b32_e32 v10, v32, v10, vcc_lo
	v_cndmask_b32_e32 v9, v31, v9, vcc_lo
	v_mul_f64 v[31:32], v[11:12], v[9:10]
.LBB54_38:                              ;   in Loop: Header=BB54_14 Depth=3
	s_or_b32 exec_lo, exec_lo, s72
                                        ; implicit-def: $vgpr9_vgpr10
                                        ; implicit-def: $vgpr11_vgpr12
	s_andn2_saveexec_b32 s71, s71
	s_cbranch_execz .LBB54_34
.LBB54_39:                              ;   in Loop: Header=BB54_14 Depth=3
	v_div_scale_f64 v[31:32], null, v[9:10], v[9:10], v[11:12]
	v_div_scale_f64 v[53:54], vcc_lo, v[11:12], v[9:10], v[11:12]
	v_rcp_f64_e32 v[33:34], v[31:32]
	v_fma_f64 v[35:36], -v[31:32], v[33:34], 1.0
	v_fma_f64 v[33:34], v[33:34], v[35:36], v[33:34]
	v_fma_f64 v[35:36], -v[31:32], v[33:34], 1.0
	v_fma_f64 v[33:34], v[33:34], v[35:36], v[33:34]
	v_mul_f64 v[35:36], v[53:54], v[33:34]
	v_fma_f64 v[31:32], -v[31:32], v[35:36], v[53:54]
	v_div_fmas_f64 v[31:32], v[31:32], v[33:34], v[35:36]
	v_div_fixup_f64 v[11:12], v[31:32], v[9:10], v[11:12]
	v_fma_f64 v[11:12], v[11:12], v[11:12], 1.0
	v_cmp_gt_f64_e32 vcc_lo, 0x10000000, v[11:12]
	v_cndmask_b32_e64 v21, 0, 0x100, vcc_lo
	v_ldexp_f64 v[11:12], v[11:12], v21
	v_cndmask_b32_e64 v21, 0, 0xffffff80, vcc_lo
	v_rsq_f64_e32 v[31:32], v[11:12]
	v_cmp_class_f64_e64 vcc_lo, v[11:12], 0x260
	v_mul_f64 v[33:34], v[11:12], v[31:32]
	v_mul_f64 v[31:32], v[31:32], 0.5
	v_fma_f64 v[35:36], -v[31:32], v[33:34], 0.5
	v_fma_f64 v[33:34], v[33:34], v[35:36], v[33:34]
	v_fma_f64 v[31:32], v[31:32], v[35:36], v[31:32]
	v_fma_f64 v[35:36], -v[33:34], v[33:34], v[11:12]
	v_fma_f64 v[33:34], v[35:36], v[31:32], v[33:34]
	v_fma_f64 v[35:36], -v[33:34], v[33:34], v[11:12]
	v_fma_f64 v[31:32], v[35:36], v[31:32], v[33:34]
	v_ldexp_f64 v[31:32], v[31:32], v21
	v_cndmask_b32_e32 v12, v32, v12, vcc_lo
	v_cndmask_b32_e32 v11, v31, v11, vcc_lo
	v_mul_f64 v[31:32], v[9:10], v[11:12]
	s_or_b32 exec_lo, exec_lo, s71
	v_cmp_class_f64_e64 s71, v[31:32], 0x1f8
	s_and_saveexec_b32 s72, s71
	s_cbranch_execz .LBB54_35
.LBB54_40:                              ;   in Loop: Header=BB54_14 Depth=3
	s_and_saveexec_b32 s73, s9
	s_xor_b32 s9, exec_lo, s73
	s_cbranch_execz .LBB54_65
; %bb.41:                               ;   in Loop: Header=BB54_14 Depth=3
	s_mov_b32 s73, exec_lo
	v_cmpx_ge_i32_e64 v19, v23
	s_xor_b32 s73, exec_lo, s73
	s_cbranch_execz .LBB54_49
; %bb.42:                               ;   in Loop: Header=BB54_14 Depth=3
	v_lshlrev_b64 v[9:10], 4, v[23:24]
	v_add_co_u32 v11, vcc_lo, s50, v9
	v_add_co_ci_u32_e64 v12, null, s51, v10, vcc_lo
	s_andn2_b32 vcc_lo, exec_lo, s33
	global_store_dwordx4 v[11:12], v[5:8], off
	s_cbranch_vccnz .LBB54_48
; %bb.43:                               ;   in Loop: Header=BB54_14 Depth=3
	v_add_co_u32 v9, vcc_lo, s48, v9
	v_add_co_ci_u32_e64 v10, null, s49, v10, vcc_lo
	s_mov_b32 s74, exec_lo
	global_load_dwordx4 v[9:12], v[9:10], off
	s_waitcnt vmcnt(0)
	v_add_f64 v[5:6], v[9:10], -v[5:6]
	v_add_f64 v[11:12], v[11:12], -v[7:8]
                                        ; implicit-def: $vgpr9_vgpr10
	v_cmp_gt_f64_e32 vcc_lo, 0, v[5:6]
	v_xor_b32_e32 v7, 0x80000000, v6
	v_xor_b32_e32 v8, 0x80000000, v12
	v_cndmask_b32_e32 v6, v6, v7, vcc_lo
	v_cmp_gt_f64_e32 vcc_lo, 0, v[11:12]
	v_mov_b32_e32 v7, v11
	v_cndmask_b32_e32 v8, v12, v8, vcc_lo
	v_cmpx_ngt_f64_e32 v[5:6], v[7:8]
	s_xor_b32 s74, exec_lo, s74
	s_cbranch_execnz .LBB54_109
; %bb.44:                               ;   in Loop: Header=BB54_14 Depth=3
	s_andn2_saveexec_b32 s74, s74
	s_cbranch_execnz .LBB54_112
.LBB54_45:                              ;   in Loop: Header=BB54_14 Depth=3
	s_or_b32 exec_lo, exec_lo, s74
	v_cmp_class_f64_e64 s75, v[9:10], 0x1f8
	s_and_saveexec_b32 s74, s75
.LBB54_46:                              ;   in Loop: Header=BB54_14 Depth=3
	v_cmp_lt_f64_e32 vcc_lo, v[15:16], v[9:10]
	v_cndmask_b32_e32 v16, v16, v10, vcc_lo
	v_cndmask_b32_e32 v15, v15, v9, vcc_lo
.LBB54_47:                              ;   in Loop: Header=BB54_14 Depth=3
	s_or_b32 exec_lo, exec_lo, s74
.LBB54_48:                              ;   in Loop: Header=BB54_14 Depth=3
                                        ; implicit-def: $vgpr5_vgpr6
.LBB54_49:                              ;   in Loop: Header=BB54_14 Depth=3
	s_andn2_saveexec_b32 s73, s73
	s_cbranch_execz .LBB54_64
; %bb.50:                               ;   in Loop: Header=BB54_14 Depth=3
	s_mov_b32 s74, exec_lo
	v_cmpx_lt_i32_e64 v30, v52
	s_cbranch_execz .LBB54_63
; %bb.51:                               ;   in Loop: Header=BB54_14 Depth=3
	v_mov_b32_e32 v11, v30
	s_mov_b32 s75, 0
                                        ; implicit-def: $sgpr76
                                        ; implicit-def: $sgpr78
                                        ; implicit-def: $sgpr77
	s_inst_prefetch 0x1
	s_branch .LBB54_53
	.p2align	6
.LBB54_52:                              ;   in Loop: Header=BB54_53 Depth=4
	s_or_b32 exec_lo, exec_lo, s79
	s_and_b32 s79, exec_lo, s78
	s_or_b32 s75, s79, s75
	s_andn2_b32 s76, s76, exec_lo
	s_and_b32 s79, s77, exec_lo
	s_or_b32 s76, s76, s79
	s_andn2_b32 exec_lo, exec_lo, s75
	s_cbranch_execz .LBB54_55
.LBB54_53:                              ;   Parent Loop BB54_5 Depth=1
                                        ;     Parent Loop BB54_9 Depth=2
                                        ;       Parent Loop BB54_14 Depth=3
                                        ; =>      This Inner Loop Header: Depth=4
	v_add_nc_u32_e32 v9, v29, v11
	s_or_b32 s77, s77, exec_lo
	s_or_b32 s78, s78, exec_lo
	s_mov_b32 s79, exec_lo
	v_ashrrev_i32_e32 v10, 31, v9
	v_lshlrev_b64 v[31:32], 2, v[9:10]
	v_add_co_u32 v31, vcc_lo, s16, v31
	v_add_co_ci_u32_e64 v32, null, s17, v32, vcc_lo
	global_load_dword v12, v[31:32], off
	s_waitcnt vmcnt(0)
	v_subrev_nc_u32_e32 v12, s62, v12
	v_cmpx_ne_u32_e64 v12, v19
	s_cbranch_execz .LBB54_52
; %bb.54:                               ;   in Loop: Header=BB54_53 Depth=4
	v_add_nc_u32_e32 v11, 1, v11
	s_andn2_b32 s78, s78, exec_lo
	s_andn2_b32 s77, s77, exec_lo
	v_cmp_ge_i32_e32 vcc_lo, v11, v52
	s_and_b32 s80, vcc_lo, exec_lo
	s_or_b32 s78, s78, s80
	s_branch .LBB54_52
.LBB54_55:                              ;   in Loop: Header=BB54_14 Depth=3
	s_inst_prefetch 0x2
	s_or_b32 exec_lo, exec_lo, s75
	s_and_saveexec_b32 s75, s76
	s_xor_b32 s75, exec_lo, s75
	s_cbranch_execz .LBB54_62
; %bb.56:                               ;   in Loop: Header=BB54_14 Depth=3
	v_lshlrev_b64 v[9:10], 4, v[9:10]
	v_add_co_u32 v11, vcc_lo, s34, v9
	v_add_co_ci_u32_e64 v12, null, s35, v10, vcc_lo
	s_andn2_b32 vcc_lo, exec_lo, s33
	global_store_dwordx4 v[11:12], v[5:8], off
	s_cbranch_vccnz .LBB54_62
; %bb.57:                               ;   in Loop: Header=BB54_14 Depth=3
	v_add_co_u32 v9, vcc_lo, s18, v9
	v_add_co_ci_u32_e64 v10, null, s19, v10, vcc_lo
	s_mov_b32 s76, exec_lo
	global_load_dwordx4 v[9:12], v[9:10], off
	s_waitcnt vmcnt(0)
	v_add_f64 v[5:6], v[9:10], -v[5:6]
	v_add_f64 v[11:12], v[11:12], -v[7:8]
                                        ; implicit-def: $vgpr9_vgpr10
	v_cmp_gt_f64_e32 vcc_lo, 0, v[5:6]
	v_xor_b32_e32 v7, 0x80000000, v6
	v_xor_b32_e32 v8, 0x80000000, v12
	v_cndmask_b32_e32 v6, v6, v7, vcc_lo
	v_cmp_gt_f64_e32 vcc_lo, 0, v[11:12]
	v_mov_b32_e32 v7, v11
	v_cndmask_b32_e32 v8, v12, v8, vcc_lo
	v_cmpx_ngt_f64_e32 v[5:6], v[7:8]
	s_xor_b32 s76, exec_lo, s76
	s_cbranch_execnz .LBB54_117
; %bb.58:                               ;   in Loop: Header=BB54_14 Depth=3
	s_andn2_saveexec_b32 s76, s76
	s_cbranch_execnz .LBB54_120
.LBB54_59:                              ;   in Loop: Header=BB54_14 Depth=3
	s_or_b32 exec_lo, exec_lo, s76
	v_cmp_class_f64_e64 s77, v[9:10], 0x1f8
	s_and_saveexec_b32 s76, s77
.LBB54_60:                              ;   in Loop: Header=BB54_14 Depth=3
	v_cmp_lt_f64_e32 vcc_lo, v[15:16], v[9:10]
	v_cndmask_b32_e32 v16, v16, v10, vcc_lo
	v_cndmask_b32_e32 v15, v15, v9, vcc_lo
.LBB54_61:                              ;   in Loop: Header=BB54_14 Depth=3
	s_or_b32 exec_lo, exec_lo, s76
.LBB54_62:                              ;   in Loop: Header=BB54_14 Depth=3
	s_or_b32 exec_lo, exec_lo, s75
.LBB54_63:                              ;   in Loop: Header=BB54_14 Depth=3
	s_or_b32 exec_lo, exec_lo, s74
.LBB54_64:                              ;   in Loop: Header=BB54_14 Depth=3
	s_or_b32 exec_lo, exec_lo, s73
                                        ; implicit-def: $vgpr5_vgpr6
.LBB54_65:                              ;   in Loop: Header=BB54_14 Depth=3
	s_andn2_saveexec_b32 s9, s9
	s_cbranch_execz .LBB54_80
; %bb.66:                               ;   in Loop: Header=BB54_14 Depth=3
	s_mov_b32 s73, exec_lo
	v_cmpx_lt_i32_e64 v17, v47
	s_cbranch_execz .LBB54_79
; %bb.67:                               ;   in Loop: Header=BB54_14 Depth=3
	v_mov_b32_e32 v11, v17
	s_mov_b32 s74, 0
                                        ; implicit-def: $sgpr75
                                        ; implicit-def: $sgpr77
                                        ; implicit-def: $sgpr76
	s_inst_prefetch 0x1
	s_branch .LBB54_69
	.p2align	6
.LBB54_68:                              ;   in Loop: Header=BB54_69 Depth=4
	s_or_b32 exec_lo, exec_lo, s78
	s_and_b32 s78, exec_lo, s77
	s_or_b32 s74, s78, s74
	s_andn2_b32 s75, s75, exec_lo
	s_and_b32 s78, s76, exec_lo
	s_or_b32 s75, s75, s78
	s_andn2_b32 exec_lo, exec_lo, s74
	s_cbranch_execz .LBB54_71
.LBB54_69:                              ;   Parent Loop BB54_5 Depth=1
                                        ;     Parent Loop BB54_9 Depth=2
                                        ;       Parent Loop BB54_14 Depth=3
                                        ; =>      This Inner Loop Header: Depth=4
	v_add_nc_u32_e32 v9, v22, v11
	s_or_b32 s76, s76, exec_lo
	s_or_b32 s77, s77, exec_lo
	s_mov_b32 s78, exec_lo
	v_ashrrev_i32_e32 v10, 31, v9
	v_lshlrev_b64 v[31:32], 2, v[9:10]
	v_add_co_u32 v31, vcc_lo, s24, v31
	v_add_co_ci_u32_e64 v32, null, s25, v32, vcc_lo
	global_load_dword v12, v[31:32], off
	s_waitcnt vmcnt(0)
	v_subrev_nc_u32_e32 v12, s61, v12
	v_cmpx_ne_u32_e64 v12, v23
	s_cbranch_execz .LBB54_68
; %bb.70:                               ;   in Loop: Header=BB54_69 Depth=4
	v_add_nc_u32_e32 v11, 1, v11
	s_andn2_b32 s77, s77, exec_lo
	s_andn2_b32 s76, s76, exec_lo
	v_cmp_ge_i32_e32 vcc_lo, v11, v47
	s_and_b32 s79, vcc_lo, exec_lo
	s_or_b32 s77, s77, s79
	s_branch .LBB54_68
.LBB54_71:                              ;   in Loop: Header=BB54_14 Depth=3
	s_inst_prefetch 0x2
	s_or_b32 exec_lo, exec_lo, s74
	s_and_saveexec_b32 s74, s75
	s_xor_b32 s74, exec_lo, s74
	s_cbranch_execz .LBB54_78
; %bb.72:                               ;   in Loop: Header=BB54_14 Depth=3
	v_lshlrev_b64 v[9:10], 4, v[9:10]
	v_add_co_u32 v11, vcc_lo, s52, v9
	v_add_co_ci_u32_e64 v12, null, s53, v10, vcc_lo
	s_andn2_b32 vcc_lo, exec_lo, s33
	global_store_dwordx4 v[11:12], v[5:8], off
	s_cbranch_vccnz .LBB54_78
; %bb.73:                               ;   in Loop: Header=BB54_14 Depth=3
	v_add_co_u32 v9, vcc_lo, s26, v9
	v_add_co_ci_u32_e64 v10, null, s27, v10, vcc_lo
	s_mov_b32 s75, exec_lo
	global_load_dwordx4 v[9:12], v[9:10], off
	s_waitcnt vmcnt(0)
	v_add_f64 v[5:6], v[9:10], -v[5:6]
	v_add_f64 v[11:12], v[11:12], -v[7:8]
                                        ; implicit-def: $vgpr9_vgpr10
	v_cmp_gt_f64_e32 vcc_lo, 0, v[5:6]
	v_xor_b32_e32 v7, 0x80000000, v6
	v_xor_b32_e32 v8, 0x80000000, v12
	v_cndmask_b32_e32 v6, v6, v7, vcc_lo
	v_cmp_gt_f64_e32 vcc_lo, 0, v[11:12]
	v_mov_b32_e32 v7, v11
	v_cndmask_b32_e32 v8, v12, v8, vcc_lo
	v_cmpx_ngt_f64_e32 v[5:6], v[7:8]
	s_xor_b32 s75, exec_lo, s75
	s_cbranch_execnz .LBB54_113
; %bb.74:                               ;   in Loop: Header=BB54_14 Depth=3
	s_andn2_saveexec_b32 s75, s75
	s_cbranch_execnz .LBB54_116
.LBB54_75:                              ;   in Loop: Header=BB54_14 Depth=3
	s_or_b32 exec_lo, exec_lo, s75
	v_cmp_class_f64_e64 s76, v[9:10], 0x1f8
	s_and_saveexec_b32 s75, s76
.LBB54_76:                              ;   in Loop: Header=BB54_14 Depth=3
	v_cmp_lt_f64_e32 vcc_lo, v[15:16], v[9:10]
	v_cndmask_b32_e32 v16, v16, v10, vcc_lo
	v_cndmask_b32_e32 v15, v15, v9, vcc_lo
.LBB54_77:                              ;   in Loop: Header=BB54_14 Depth=3
	s_or_b32 exec_lo, exec_lo, s75
.LBB54_78:                              ;   in Loop: Header=BB54_14 Depth=3
	s_or_b32 exec_lo, exec_lo, s74
.LBB54_79:                              ;   in Loop: Header=BB54_14 Depth=3
	s_or_b32 exec_lo, exec_lo, s73
.LBB54_80:                              ;   in Loop: Header=BB54_14 Depth=3
	s_or_b32 exec_lo, exec_lo, s9
	s_or_b32 exec_lo, exec_lo, s72
	s_and_b32 s71, s10, s71
	s_and_saveexec_b32 s9, s71
	s_cbranch_execz .LBB54_13
.LBB54_81:                              ;   in Loop: Header=BB54_14 Depth=3
	s_mov_b32 s71, exec_lo
	v_cmpx_ge_i32_e64 v30, v52
	s_xor_b32 s71, exec_lo, s71
	s_cbranch_execnz .LBB54_88
; %bb.82:                               ;   in Loop: Header=BB54_14 Depth=3
	s_andn2_saveexec_b32 s71, s71
	s_cbranch_execnz .LBB54_102
.LBB54_83:                              ;   in Loop: Header=BB54_14 Depth=3
	s_or_b32 exec_lo, exec_lo, s71
	s_mov_b32 s71, exec_lo
	v_cmpx_eq_u32_e64 v19, v23
	s_cbranch_execz .LBB54_85
.LBB54_84:                              ;   in Loop: Header=BB54_14 Depth=3
	v_lshlrev_b64 v[5:6], 4, v[23:24]
	v_add_co_u32 v5, vcc_lo, s48, v5
	v_add_co_ci_u32_e64 v6, null, s49, v6, vcc_lo
	global_load_dwordx4 v[5:8], v[5:6], off
	s_waitcnt vmcnt(0)
	v_add_f64 v[25:26], v[25:26], v[5:6]
	v_add_f64 v[27:28], v[27:28], v[7:8]
.LBB54_85:                              ;   in Loop: Header=BB54_14 Depth=3
	s_or_b32 exec_lo, exec_lo, s71
	v_add_f64 v[1:2], v[1:2], -v[25:26]
	v_add_f64 v[7:8], v[3:4], -v[27:28]
	s_mov_b32 s71, exec_lo
                                        ; implicit-def: $vgpr5_vgpr6
	v_cmp_gt_f64_e32 vcc_lo, 0, v[1:2]
	v_xor_b32_e32 v3, 0x80000000, v2
	v_xor_b32_e32 v4, 0x80000000, v8
	v_cndmask_b32_e32 v2, v2, v3, vcc_lo
	v_cmp_gt_f64_e32 vcc_lo, 0, v[7:8]
	v_mov_b32_e32 v3, v7
	v_cndmask_b32_e32 v4, v8, v4, vcc_lo
	v_cmpx_ngt_f64_e32 v[1:2], v[3:4]
	s_xor_b32 s71, exec_lo, s71
	s_cbranch_execnz .LBB54_93
; %bb.86:                               ;   in Loop: Header=BB54_14 Depth=3
	s_andn2_saveexec_b32 s71, s71
	s_cbranch_execnz .LBB54_96
.LBB54_87:                              ;   in Loop: Header=BB54_14 Depth=3
	s_or_b32 exec_lo, exec_lo, s71
	v_cmp_class_f64_e64 s72, v[5:6], 0x1f8
	s_and_saveexec_b32 s71, s72
	s_cbranch_execz .LBB54_12
	s_branch .LBB54_97
.LBB54_88:                              ;   in Loop: Header=BB54_14 Depth=3
	s_mov_b32 s72, exec_lo
	v_cmpx_lt_i32_e64 v17, v47
	s_cbranch_execz .LBB54_101
; %bb.89:                               ;   in Loop: Header=BB54_14 Depth=3
	s_mov_b32 s74, 0
                                        ; implicit-def: $sgpr73
                                        ; implicit-def: $sgpr76
                                        ; implicit-def: $sgpr75
	s_inst_prefetch 0x1
	s_branch .LBB54_91
	.p2align	6
.LBB54_90:                              ;   in Loop: Header=BB54_91 Depth=4
	s_or_b32 exec_lo, exec_lo, s77
	s_and_b32 s77, exec_lo, s76
	s_or_b32 s74, s77, s74
	s_andn2_b32 s73, s73, exec_lo
	s_and_b32 s77, s75, exec_lo
	s_or_b32 s73, s73, s77
	s_andn2_b32 exec_lo, exec_lo, s74
	s_cbranch_execz .LBB54_98
.LBB54_91:                              ;   Parent Loop BB54_5 Depth=1
                                        ;     Parent Loop BB54_9 Depth=2
                                        ;       Parent Loop BB54_14 Depth=3
                                        ; =>      This Inner Loop Header: Depth=4
	v_add_nc_u32_e32 v5, v22, v17
	s_or_b32 s75, s75, exec_lo
	s_or_b32 s76, s76, exec_lo
	s_mov_b32 s77, exec_lo
	v_ashrrev_i32_e32 v6, 31, v5
	v_lshlrev_b64 v[7:8], 2, v[5:6]
	v_add_co_u32 v7, vcc_lo, s24, v7
	v_add_co_ci_u32_e64 v8, null, s25, v8, vcc_lo
	global_load_dword v7, v[7:8], off
	s_waitcnt vmcnt(0)
	v_subrev_nc_u32_e32 v7, s61, v7
	v_cmpx_ne_u32_e64 v7, v23
	s_cbranch_execz .LBB54_90
; %bb.92:                               ;   in Loop: Header=BB54_91 Depth=4
	v_add_nc_u32_e32 v17, 1, v17
	s_andn2_b32 s76, s76, exec_lo
	s_andn2_b32 s75, s75, exec_lo
	v_cmp_ge_i32_e32 vcc_lo, v17, v47
	s_and_b32 s78, vcc_lo, exec_lo
	s_or_b32 s76, s76, s78
	s_branch .LBB54_90
.LBB54_93:                              ;   in Loop: Header=BB54_14 Depth=3
	v_mov_b32_e32 v5, 0
	v_mov_b32_e32 v6, 0
	s_mov_b32 s72, exec_lo
	v_cmpx_neq_f64_e32 0, v[7:8]
	s_cbranch_execz .LBB54_95
; %bb.94:                               ;   in Loop: Header=BB54_14 Depth=3
	v_div_scale_f64 v[5:6], null, v[3:4], v[3:4], v[1:2]
	v_div_scale_f64 v[11:12], vcc_lo, v[1:2], v[3:4], v[1:2]
	v_rcp_f64_e32 v[7:8], v[5:6]
	v_fma_f64 v[9:10], -v[5:6], v[7:8], 1.0
	v_fma_f64 v[7:8], v[7:8], v[9:10], v[7:8]
	v_fma_f64 v[9:10], -v[5:6], v[7:8], 1.0
	v_fma_f64 v[7:8], v[7:8], v[9:10], v[7:8]
	v_mul_f64 v[9:10], v[11:12], v[7:8]
	v_fma_f64 v[5:6], -v[5:6], v[9:10], v[11:12]
	v_div_fmas_f64 v[5:6], v[5:6], v[7:8], v[9:10]
	v_div_fixup_f64 v[1:2], v[5:6], v[3:4], v[1:2]
	v_fma_f64 v[1:2], v[1:2], v[1:2], 1.0
	v_cmp_gt_f64_e32 vcc_lo, 0x10000000, v[1:2]
	v_cndmask_b32_e64 v5, 0, 0x100, vcc_lo
	v_ldexp_f64 v[1:2], v[1:2], v5
	v_rsq_f64_e32 v[5:6], v[1:2]
	v_mul_f64 v[7:8], v[1:2], v[5:6]
	v_mul_f64 v[5:6], v[5:6], 0.5
	v_fma_f64 v[9:10], -v[5:6], v[7:8], 0.5
	v_fma_f64 v[7:8], v[7:8], v[9:10], v[7:8]
	v_fma_f64 v[5:6], v[5:6], v[9:10], v[5:6]
	v_fma_f64 v[9:10], -v[7:8], v[7:8], v[1:2]
	v_fma_f64 v[7:8], v[9:10], v[5:6], v[7:8]
	v_fma_f64 v[9:10], -v[7:8], v[7:8], v[1:2]
	v_fma_f64 v[5:6], v[9:10], v[5:6], v[7:8]
	v_cndmask_b32_e64 v7, 0, 0xffffff80, vcc_lo
	v_cmp_class_f64_e64 vcc_lo, v[1:2], 0x260
	v_ldexp_f64 v[5:6], v[5:6], v7
	v_cndmask_b32_e32 v2, v6, v2, vcc_lo
	v_cndmask_b32_e32 v1, v5, v1, vcc_lo
	v_mul_f64 v[5:6], v[3:4], v[1:2]
.LBB54_95:                              ;   in Loop: Header=BB54_14 Depth=3
	s_or_b32 exec_lo, exec_lo, s72
                                        ; implicit-def: $vgpr1_vgpr2
                                        ; implicit-def: $vgpr3_vgpr4
	s_andn2_saveexec_b32 s71, s71
	s_cbranch_execz .LBB54_87
.LBB54_96:                              ;   in Loop: Header=BB54_14 Depth=3
	v_div_scale_f64 v[5:6], null, v[1:2], v[1:2], v[3:4]
	v_div_scale_f64 v[11:12], vcc_lo, v[3:4], v[1:2], v[3:4]
	v_rcp_f64_e32 v[7:8], v[5:6]
	v_fma_f64 v[9:10], -v[5:6], v[7:8], 1.0
	v_fma_f64 v[7:8], v[7:8], v[9:10], v[7:8]
	v_fma_f64 v[9:10], -v[5:6], v[7:8], 1.0
	v_fma_f64 v[7:8], v[7:8], v[9:10], v[7:8]
	v_mul_f64 v[9:10], v[11:12], v[7:8]
	v_fma_f64 v[5:6], -v[5:6], v[9:10], v[11:12]
	v_div_fmas_f64 v[5:6], v[5:6], v[7:8], v[9:10]
	v_div_fixup_f64 v[3:4], v[5:6], v[1:2], v[3:4]
	v_fma_f64 v[3:4], v[3:4], v[3:4], 1.0
	v_cmp_gt_f64_e32 vcc_lo, 0x10000000, v[3:4]
	v_cndmask_b32_e64 v5, 0, 0x100, vcc_lo
	v_ldexp_f64 v[3:4], v[3:4], v5
	v_rsq_f64_e32 v[5:6], v[3:4]
	v_mul_f64 v[7:8], v[3:4], v[5:6]
	v_mul_f64 v[5:6], v[5:6], 0.5
	v_fma_f64 v[9:10], -v[5:6], v[7:8], 0.5
	v_fma_f64 v[7:8], v[7:8], v[9:10], v[7:8]
	v_fma_f64 v[5:6], v[5:6], v[9:10], v[5:6]
	v_fma_f64 v[9:10], -v[7:8], v[7:8], v[3:4]
	v_fma_f64 v[7:8], v[9:10], v[5:6], v[7:8]
	v_fma_f64 v[9:10], -v[7:8], v[7:8], v[3:4]
	v_fma_f64 v[5:6], v[9:10], v[5:6], v[7:8]
	v_cndmask_b32_e64 v7, 0, 0xffffff80, vcc_lo
	v_cmp_class_f64_e64 vcc_lo, v[3:4], 0x260
	v_ldexp_f64 v[5:6], v[5:6], v7
	v_cndmask_b32_e32 v4, v6, v4, vcc_lo
	v_cndmask_b32_e32 v3, v5, v3, vcc_lo
	v_mul_f64 v[5:6], v[1:2], v[3:4]
	s_or_b32 exec_lo, exec_lo, s71
	v_cmp_class_f64_e64 s72, v[5:6], 0x1f8
	s_and_saveexec_b32 s71, s72
	s_cbranch_execz .LBB54_12
.LBB54_97:                              ;   in Loop: Header=BB54_14 Depth=3
	v_cmp_lt_f64_e32 vcc_lo, v[13:14], v[5:6]
	v_cndmask_b32_e32 v14, v14, v6, vcc_lo
	v_cndmask_b32_e32 v13, v13, v5, vcc_lo
	s_branch .LBB54_12
.LBB54_98:                              ;   in Loop: Header=BB54_14 Depth=3
	s_inst_prefetch 0x2
	s_or_b32 exec_lo, exec_lo, s74
	s_and_saveexec_b32 s74, s73
	s_xor_b32 s73, exec_lo, s74
	s_cbranch_execz .LBB54_100
; %bb.99:                               ;   in Loop: Header=BB54_14 Depth=3
	v_lshlrev_b64 v[7:8], 4, v[23:24]
	v_lshlrev_b64 v[5:6], 4, v[5:6]
	v_add_co_u32 v7, vcc_lo, s48, v7
	v_add_co_ci_u32_e64 v8, null, s49, v8, vcc_lo
	v_add_co_u32 v9, vcc_lo, s26, v5
	v_add_co_ci_u32_e64 v10, null, s27, v6, vcc_lo
	global_load_dwordx4 v[5:8], v[7:8], off
	global_load_dwordx4 v[9:12], v[9:10], off
	s_waitcnt vmcnt(0)
	v_mul_f64 v[29:30], v[7:8], -v[11:12]
	v_mul_f64 v[7:8], v[7:8], v[9:10]
	v_fma_f64 v[9:10], v[9:10], v[5:6], v[29:30]
	v_fma_f64 v[5:6], v[11:12], v[5:6], v[7:8]
	v_add_f64 v[25:26], v[25:26], v[9:10]
	v_add_f64 v[27:28], v[27:28], v[5:6]
.LBB54_100:                             ;   in Loop: Header=BB54_14 Depth=3
	s_or_b32 exec_lo, exec_lo, s73
.LBB54_101:                             ;   in Loop: Header=BB54_14 Depth=3
	s_or_b32 exec_lo, exec_lo, s72
                                        ; implicit-def: $vgpr30
                                        ; implicit-def: $vgpr29
                                        ; implicit-def: $vgpr52
	s_andn2_saveexec_b32 s71, s71
	s_cbranch_execz .LBB54_83
.LBB54_102:                             ;   in Loop: Header=BB54_14 Depth=3
	s_mov_b32 s73, 0
                                        ; implicit-def: $sgpr72
                                        ; implicit-def: $sgpr75
                                        ; implicit-def: $sgpr74
	s_inst_prefetch 0x1
	s_branch .LBB54_104
	.p2align	6
.LBB54_103:                             ;   in Loop: Header=BB54_104 Depth=4
	s_or_b32 exec_lo, exec_lo, s76
	s_and_b32 s76, exec_lo, s75
	s_or_b32 s73, s76, s73
	s_andn2_b32 s72, s72, exec_lo
	s_and_b32 s76, s74, exec_lo
	s_or_b32 s72, s72, s76
	s_andn2_b32 exec_lo, exec_lo, s73
	s_cbranch_execz .LBB54_106
.LBB54_104:                             ;   Parent Loop BB54_5 Depth=1
                                        ;     Parent Loop BB54_9 Depth=2
                                        ;       Parent Loop BB54_14 Depth=3
                                        ; =>      This Inner Loop Header: Depth=4
	v_add_nc_u32_e32 v5, v29, v30
	s_or_b32 s74, s74, exec_lo
	s_or_b32 s75, s75, exec_lo
	s_mov_b32 s76, exec_lo
	v_ashrrev_i32_e32 v6, 31, v5
	v_lshlrev_b64 v[7:8], 2, v[5:6]
	v_add_co_u32 v7, vcc_lo, s16, v7
	v_add_co_ci_u32_e64 v8, null, s17, v8, vcc_lo
	global_load_dword v7, v[7:8], off
	s_waitcnt vmcnt(0)
	v_subrev_nc_u32_e32 v7, s62, v7
	v_cmpx_ne_u32_e64 v7, v19
	s_cbranch_execz .LBB54_103
; %bb.105:                              ;   in Loop: Header=BB54_104 Depth=4
	v_add_nc_u32_e32 v30, 1, v30
	s_andn2_b32 s75, s75, exec_lo
	s_andn2_b32 s74, s74, exec_lo
	v_cmp_ge_i32_e32 vcc_lo, v30, v52
	s_and_b32 s77, vcc_lo, exec_lo
	s_or_b32 s75, s75, s77
	s_branch .LBB54_103
.LBB54_106:                             ;   in Loop: Header=BB54_14 Depth=3
	s_inst_prefetch 0x2
	s_or_b32 exec_lo, exec_lo, s73
	s_and_saveexec_b32 s73, s72
	s_xor_b32 s72, exec_lo, s73
	s_cbranch_execz .LBB54_108
; %bb.107:                              ;   in Loop: Header=BB54_14 Depth=3
	v_lshlrev_b64 v[5:6], 4, v[5:6]
	v_add_co_u32 v5, vcc_lo, s18, v5
	v_add_co_ci_u32_e64 v6, null, s19, v6, vcc_lo
	global_load_dwordx4 v[5:8], v[5:6], off
	s_waitcnt vmcnt(0)
	v_add_f64 v[25:26], v[25:26], v[5:6]
	v_add_f64 v[27:28], v[27:28], v[7:8]
.LBB54_108:                             ;   in Loop: Header=BB54_14 Depth=3
	s_or_b32 exec_lo, exec_lo, s72
	s_or_b32 exec_lo, exec_lo, s71
	s_mov_b32 s71, exec_lo
	v_cmpx_eq_u32_e64 v19, v23
	s_cbranch_execnz .LBB54_84
	s_branch .LBB54_85
.LBB54_109:                             ;   in Loop: Header=BB54_14 Depth=3
	v_mov_b32_e32 v9, 0
	v_mov_b32_e32 v10, 0
	s_mov_b32 s75, exec_lo
	v_cmpx_neq_f64_e32 0, v[11:12]
	s_cbranch_execz .LBB54_111
; %bb.110:                              ;   in Loop: Header=BB54_14 Depth=3
	v_div_scale_f64 v[9:10], null, v[7:8], v[7:8], v[5:6]
	v_div_scale_f64 v[33:34], vcc_lo, v[5:6], v[7:8], v[5:6]
	v_rcp_f64_e32 v[11:12], v[9:10]
	v_fma_f64 v[31:32], -v[9:10], v[11:12], 1.0
	v_fma_f64 v[11:12], v[11:12], v[31:32], v[11:12]
	v_fma_f64 v[31:32], -v[9:10], v[11:12], 1.0
	v_fma_f64 v[11:12], v[11:12], v[31:32], v[11:12]
	v_mul_f64 v[31:32], v[33:34], v[11:12]
	v_fma_f64 v[9:10], -v[9:10], v[31:32], v[33:34]
	v_div_fmas_f64 v[9:10], v[9:10], v[11:12], v[31:32]
	v_div_fixup_f64 v[5:6], v[9:10], v[7:8], v[5:6]
	v_fma_f64 v[5:6], v[5:6], v[5:6], 1.0
	v_cmp_gt_f64_e32 vcc_lo, 0x10000000, v[5:6]
	v_cndmask_b32_e64 v9, 0, 0x100, vcc_lo
	v_ldexp_f64 v[5:6], v[5:6], v9
	v_rsq_f64_e32 v[9:10], v[5:6]
	v_mul_f64 v[11:12], v[5:6], v[9:10]
	v_mul_f64 v[9:10], v[9:10], 0.5
	v_fma_f64 v[31:32], -v[9:10], v[11:12], 0.5
	v_fma_f64 v[11:12], v[11:12], v[31:32], v[11:12]
	v_fma_f64 v[9:10], v[9:10], v[31:32], v[9:10]
	v_fma_f64 v[31:32], -v[11:12], v[11:12], v[5:6]
	v_fma_f64 v[11:12], v[31:32], v[9:10], v[11:12]
	v_fma_f64 v[31:32], -v[11:12], v[11:12], v[5:6]
	v_fma_f64 v[9:10], v[31:32], v[9:10], v[11:12]
	v_cndmask_b32_e64 v11, 0, 0xffffff80, vcc_lo
	v_cmp_class_f64_e64 vcc_lo, v[5:6], 0x260
	v_ldexp_f64 v[9:10], v[9:10], v11
	v_cndmask_b32_e32 v6, v10, v6, vcc_lo
	v_cndmask_b32_e32 v5, v9, v5, vcc_lo
	v_mul_f64 v[9:10], v[7:8], v[5:6]
.LBB54_111:                             ;   in Loop: Header=BB54_14 Depth=3
	s_or_b32 exec_lo, exec_lo, s75
                                        ; implicit-def: $vgpr5_vgpr6
                                        ; implicit-def: $vgpr7_vgpr8
	s_andn2_saveexec_b32 s74, s74
	s_cbranch_execz .LBB54_45
.LBB54_112:                             ;   in Loop: Header=BB54_14 Depth=3
	v_div_scale_f64 v[9:10], null, v[5:6], v[5:6], v[7:8]
	v_div_scale_f64 v[33:34], vcc_lo, v[7:8], v[5:6], v[7:8]
	v_rcp_f64_e32 v[11:12], v[9:10]
	v_fma_f64 v[31:32], -v[9:10], v[11:12], 1.0
	v_fma_f64 v[11:12], v[11:12], v[31:32], v[11:12]
	v_fma_f64 v[31:32], -v[9:10], v[11:12], 1.0
	v_fma_f64 v[11:12], v[11:12], v[31:32], v[11:12]
	v_mul_f64 v[31:32], v[33:34], v[11:12]
	v_fma_f64 v[9:10], -v[9:10], v[31:32], v[33:34]
	v_div_fmas_f64 v[9:10], v[9:10], v[11:12], v[31:32]
	v_div_fixup_f64 v[7:8], v[9:10], v[5:6], v[7:8]
	v_fma_f64 v[7:8], v[7:8], v[7:8], 1.0
	v_cmp_gt_f64_e32 vcc_lo, 0x10000000, v[7:8]
	v_cndmask_b32_e64 v9, 0, 0x100, vcc_lo
	v_ldexp_f64 v[7:8], v[7:8], v9
	v_rsq_f64_e32 v[9:10], v[7:8]
	v_mul_f64 v[11:12], v[7:8], v[9:10]
	v_mul_f64 v[9:10], v[9:10], 0.5
	v_fma_f64 v[31:32], -v[9:10], v[11:12], 0.5
	v_fma_f64 v[11:12], v[11:12], v[31:32], v[11:12]
	v_fma_f64 v[9:10], v[9:10], v[31:32], v[9:10]
	v_fma_f64 v[31:32], -v[11:12], v[11:12], v[7:8]
	v_fma_f64 v[11:12], v[31:32], v[9:10], v[11:12]
	v_fma_f64 v[31:32], -v[11:12], v[11:12], v[7:8]
	v_fma_f64 v[9:10], v[31:32], v[9:10], v[11:12]
	v_cndmask_b32_e64 v11, 0, 0xffffff80, vcc_lo
	v_cmp_class_f64_e64 vcc_lo, v[7:8], 0x260
	v_ldexp_f64 v[9:10], v[9:10], v11
	v_cndmask_b32_e32 v8, v10, v8, vcc_lo
	v_cndmask_b32_e32 v7, v9, v7, vcc_lo
	v_mul_f64 v[9:10], v[5:6], v[7:8]
	s_or_b32 exec_lo, exec_lo, s74
	v_cmp_class_f64_e64 s75, v[9:10], 0x1f8
	s_and_saveexec_b32 s74, s75
	s_cbranch_execnz .LBB54_46
	s_branch .LBB54_47
.LBB54_113:                             ;   in Loop: Header=BB54_14 Depth=3
	v_mov_b32_e32 v9, 0
	v_mov_b32_e32 v10, 0
	s_mov_b32 s76, exec_lo
	v_cmpx_neq_f64_e32 0, v[11:12]
	s_cbranch_execz .LBB54_115
; %bb.114:                              ;   in Loop: Header=BB54_14 Depth=3
	v_div_scale_f64 v[9:10], null, v[7:8], v[7:8], v[5:6]
	v_div_scale_f64 v[33:34], vcc_lo, v[5:6], v[7:8], v[5:6]
	v_rcp_f64_e32 v[11:12], v[9:10]
	v_fma_f64 v[31:32], -v[9:10], v[11:12], 1.0
	v_fma_f64 v[11:12], v[11:12], v[31:32], v[11:12]
	v_fma_f64 v[31:32], -v[9:10], v[11:12], 1.0
	v_fma_f64 v[11:12], v[11:12], v[31:32], v[11:12]
	v_mul_f64 v[31:32], v[33:34], v[11:12]
	v_fma_f64 v[9:10], -v[9:10], v[31:32], v[33:34]
	v_div_fmas_f64 v[9:10], v[9:10], v[11:12], v[31:32]
	v_div_fixup_f64 v[5:6], v[9:10], v[7:8], v[5:6]
	v_fma_f64 v[5:6], v[5:6], v[5:6], 1.0
	v_cmp_gt_f64_e32 vcc_lo, 0x10000000, v[5:6]
	v_cndmask_b32_e64 v9, 0, 0x100, vcc_lo
	v_ldexp_f64 v[5:6], v[5:6], v9
	v_rsq_f64_e32 v[9:10], v[5:6]
	v_mul_f64 v[11:12], v[5:6], v[9:10]
	v_mul_f64 v[9:10], v[9:10], 0.5
	v_fma_f64 v[31:32], -v[9:10], v[11:12], 0.5
	v_fma_f64 v[11:12], v[11:12], v[31:32], v[11:12]
	v_fma_f64 v[9:10], v[9:10], v[31:32], v[9:10]
	v_fma_f64 v[31:32], -v[11:12], v[11:12], v[5:6]
	v_fma_f64 v[11:12], v[31:32], v[9:10], v[11:12]
	v_fma_f64 v[31:32], -v[11:12], v[11:12], v[5:6]
	v_fma_f64 v[9:10], v[31:32], v[9:10], v[11:12]
	v_cndmask_b32_e64 v11, 0, 0xffffff80, vcc_lo
	v_cmp_class_f64_e64 vcc_lo, v[5:6], 0x260
	v_ldexp_f64 v[9:10], v[9:10], v11
	v_cndmask_b32_e32 v6, v10, v6, vcc_lo
	v_cndmask_b32_e32 v5, v9, v5, vcc_lo
	v_mul_f64 v[9:10], v[7:8], v[5:6]
.LBB54_115:                             ;   in Loop: Header=BB54_14 Depth=3
	s_or_b32 exec_lo, exec_lo, s76
                                        ; implicit-def: $vgpr5_vgpr6
                                        ; implicit-def: $vgpr7_vgpr8
	s_andn2_saveexec_b32 s75, s75
	s_cbranch_execz .LBB54_75
.LBB54_116:                             ;   in Loop: Header=BB54_14 Depth=3
	v_div_scale_f64 v[9:10], null, v[5:6], v[5:6], v[7:8]
	v_div_scale_f64 v[33:34], vcc_lo, v[7:8], v[5:6], v[7:8]
	v_rcp_f64_e32 v[11:12], v[9:10]
	v_fma_f64 v[31:32], -v[9:10], v[11:12], 1.0
	v_fma_f64 v[11:12], v[11:12], v[31:32], v[11:12]
	v_fma_f64 v[31:32], -v[9:10], v[11:12], 1.0
	v_fma_f64 v[11:12], v[11:12], v[31:32], v[11:12]
	v_mul_f64 v[31:32], v[33:34], v[11:12]
	v_fma_f64 v[9:10], -v[9:10], v[31:32], v[33:34]
	v_div_fmas_f64 v[9:10], v[9:10], v[11:12], v[31:32]
	v_div_fixup_f64 v[7:8], v[9:10], v[5:6], v[7:8]
	v_fma_f64 v[7:8], v[7:8], v[7:8], 1.0
	v_cmp_gt_f64_e32 vcc_lo, 0x10000000, v[7:8]
	v_cndmask_b32_e64 v9, 0, 0x100, vcc_lo
	v_ldexp_f64 v[7:8], v[7:8], v9
	v_rsq_f64_e32 v[9:10], v[7:8]
	v_mul_f64 v[11:12], v[7:8], v[9:10]
	v_mul_f64 v[9:10], v[9:10], 0.5
	v_fma_f64 v[31:32], -v[9:10], v[11:12], 0.5
	v_fma_f64 v[11:12], v[11:12], v[31:32], v[11:12]
	v_fma_f64 v[9:10], v[9:10], v[31:32], v[9:10]
	v_fma_f64 v[31:32], -v[11:12], v[11:12], v[7:8]
	v_fma_f64 v[11:12], v[31:32], v[9:10], v[11:12]
	v_fma_f64 v[31:32], -v[11:12], v[11:12], v[7:8]
	v_fma_f64 v[9:10], v[31:32], v[9:10], v[11:12]
	v_cndmask_b32_e64 v11, 0, 0xffffff80, vcc_lo
	v_cmp_class_f64_e64 vcc_lo, v[7:8], 0x260
	v_ldexp_f64 v[9:10], v[9:10], v11
	v_cndmask_b32_e32 v8, v10, v8, vcc_lo
	v_cndmask_b32_e32 v7, v9, v7, vcc_lo
	v_mul_f64 v[9:10], v[5:6], v[7:8]
	s_or_b32 exec_lo, exec_lo, s75
	v_cmp_class_f64_e64 s76, v[9:10], 0x1f8
	s_and_saveexec_b32 s75, s76
	s_cbranch_execnz .LBB54_76
	s_branch .LBB54_77
.LBB54_117:                             ;   in Loop: Header=BB54_14 Depth=3
	v_mov_b32_e32 v9, 0
	v_mov_b32_e32 v10, 0
	s_mov_b32 s77, exec_lo
	v_cmpx_neq_f64_e32 0, v[11:12]
	s_cbranch_execz .LBB54_119
; %bb.118:                              ;   in Loop: Header=BB54_14 Depth=3
	v_div_scale_f64 v[9:10], null, v[7:8], v[7:8], v[5:6]
	v_div_scale_f64 v[33:34], vcc_lo, v[5:6], v[7:8], v[5:6]
	v_rcp_f64_e32 v[11:12], v[9:10]
	v_fma_f64 v[31:32], -v[9:10], v[11:12], 1.0
	v_fma_f64 v[11:12], v[11:12], v[31:32], v[11:12]
	v_fma_f64 v[31:32], -v[9:10], v[11:12], 1.0
	v_fma_f64 v[11:12], v[11:12], v[31:32], v[11:12]
	v_mul_f64 v[31:32], v[33:34], v[11:12]
	v_fma_f64 v[9:10], -v[9:10], v[31:32], v[33:34]
	v_div_fmas_f64 v[9:10], v[9:10], v[11:12], v[31:32]
	v_div_fixup_f64 v[5:6], v[9:10], v[7:8], v[5:6]
	v_fma_f64 v[5:6], v[5:6], v[5:6], 1.0
	v_cmp_gt_f64_e32 vcc_lo, 0x10000000, v[5:6]
	v_cndmask_b32_e64 v9, 0, 0x100, vcc_lo
	v_ldexp_f64 v[5:6], v[5:6], v9
	v_rsq_f64_e32 v[9:10], v[5:6]
	v_mul_f64 v[11:12], v[5:6], v[9:10]
	v_mul_f64 v[9:10], v[9:10], 0.5
	v_fma_f64 v[31:32], -v[9:10], v[11:12], 0.5
	v_fma_f64 v[11:12], v[11:12], v[31:32], v[11:12]
	v_fma_f64 v[9:10], v[9:10], v[31:32], v[9:10]
	v_fma_f64 v[31:32], -v[11:12], v[11:12], v[5:6]
	v_fma_f64 v[11:12], v[31:32], v[9:10], v[11:12]
	v_fma_f64 v[31:32], -v[11:12], v[11:12], v[5:6]
	v_fma_f64 v[9:10], v[31:32], v[9:10], v[11:12]
	v_cndmask_b32_e64 v11, 0, 0xffffff80, vcc_lo
	v_cmp_class_f64_e64 vcc_lo, v[5:6], 0x260
	v_ldexp_f64 v[9:10], v[9:10], v11
	v_cndmask_b32_e32 v6, v10, v6, vcc_lo
	v_cndmask_b32_e32 v5, v9, v5, vcc_lo
	v_mul_f64 v[9:10], v[7:8], v[5:6]
.LBB54_119:                             ;   in Loop: Header=BB54_14 Depth=3
	s_or_b32 exec_lo, exec_lo, s77
                                        ; implicit-def: $vgpr5_vgpr6
                                        ; implicit-def: $vgpr7_vgpr8
	s_andn2_saveexec_b32 s76, s76
	s_cbranch_execz .LBB54_59
.LBB54_120:                             ;   in Loop: Header=BB54_14 Depth=3
	v_div_scale_f64 v[9:10], null, v[5:6], v[5:6], v[7:8]
	v_div_scale_f64 v[33:34], vcc_lo, v[7:8], v[5:6], v[7:8]
	v_rcp_f64_e32 v[11:12], v[9:10]
	v_fma_f64 v[31:32], -v[9:10], v[11:12], 1.0
	v_fma_f64 v[11:12], v[11:12], v[31:32], v[11:12]
	v_fma_f64 v[31:32], -v[9:10], v[11:12], 1.0
	v_fma_f64 v[11:12], v[11:12], v[31:32], v[11:12]
	v_mul_f64 v[31:32], v[33:34], v[11:12]
	v_fma_f64 v[9:10], -v[9:10], v[31:32], v[33:34]
	v_div_fmas_f64 v[9:10], v[9:10], v[11:12], v[31:32]
	v_div_fixup_f64 v[7:8], v[9:10], v[5:6], v[7:8]
	v_fma_f64 v[7:8], v[7:8], v[7:8], 1.0
	v_cmp_gt_f64_e32 vcc_lo, 0x10000000, v[7:8]
	v_cndmask_b32_e64 v9, 0, 0x100, vcc_lo
	v_ldexp_f64 v[7:8], v[7:8], v9
	v_rsq_f64_e32 v[9:10], v[7:8]
	v_mul_f64 v[11:12], v[7:8], v[9:10]
	v_mul_f64 v[9:10], v[9:10], 0.5
	v_fma_f64 v[31:32], -v[9:10], v[11:12], 0.5
	v_fma_f64 v[11:12], v[11:12], v[31:32], v[11:12]
	v_fma_f64 v[9:10], v[9:10], v[31:32], v[9:10]
	v_fma_f64 v[31:32], -v[11:12], v[11:12], v[7:8]
	v_fma_f64 v[11:12], v[31:32], v[9:10], v[11:12]
	v_fma_f64 v[31:32], -v[11:12], v[11:12], v[7:8]
	v_fma_f64 v[9:10], v[31:32], v[9:10], v[11:12]
	v_cndmask_b32_e64 v11, 0, 0xffffff80, vcc_lo
	v_cmp_class_f64_e64 vcc_lo, v[7:8], 0x260
	v_ldexp_f64 v[9:10], v[9:10], v11
	v_cndmask_b32_e32 v8, v10, v8, vcc_lo
	v_cndmask_b32_e32 v7, v9, v7, vcc_lo
	v_mul_f64 v[9:10], v[5:6], v[7:8]
	s_or_b32 exec_lo, exec_lo, s76
	v_cmp_class_f64_e64 s77, v[9:10], 0x1f8
	s_and_saveexec_b32 s76, s77
	s_cbranch_execnz .LBB54_60
	s_branch .LBB54_61
.LBB54_121:                             ;   in Loop: Header=BB54_5 Depth=1
	v_xor_b32_e32 v9, 16, v39
	v_xor_b32_e32 v8, 8, v39
	;; [unrolled: 1-line block ×5, first 2 shown]
	s_and_b32 vcc_lo, exec_lo, s33
	s_cbranch_vccnz .LBB54_124
; %bb.122:                              ;   in Loop: Header=BB54_5 Depth=1
	s_andn2_b32 vcc_lo, exec_lo, s10
	s_cbranch_vccz .LBB54_137
.LBB54_123:                             ;   in Loop: Header=BB54_5 Depth=1
	s_and_saveexec_b32 s9, s6
	s_cbranch_execnz .LBB54_150
	s_branch .LBB54_161
.LBB54_124:                             ;   in Loop: Header=BB54_5 Depth=1
	v_cmp_gt_i32_e32 vcc_lo, 32, v9
	v_cmp_gt_i32_e64 s8, 32, v8
	v_cndmask_b32_e32 v1, v39, v9, vcc_lo
	v_cndmask_b32_e64 v3, v39, v8, s8
	v_cmp_gt_i32_e64 s8, 32, v7
	v_lshlrev_b32_e32 v2, 2, v1
	v_lshlrev_b32_e32 v3, 2, v3
	v_cndmask_b32_e64 v10, v39, v7, s8
	v_cmp_gt_i32_e64 s8, 32, v6
	ds_bpermute_b32 v1, v2, v15
	ds_bpermute_b32 v2, v2, v16
	v_lshlrev_b32_e32 v10, 2, v10
	s_waitcnt lgkmcnt(0)
	v_cmp_lt_f64_e32 vcc_lo, v[15:16], v[1:2]
	v_cndmask_b32_e32 v2, v16, v2, vcc_lo
	v_cndmask_b32_e32 v1, v15, v1, vcc_lo
	ds_bpermute_b32 v4, v3, v2
	ds_bpermute_b32 v3, v3, v1
	s_waitcnt lgkmcnt(0)
	v_cmp_lt_f64_e32 vcc_lo, v[1:2], v[3:4]
	v_cndmask_b32_e32 v2, v2, v4, vcc_lo
	v_cndmask_b32_e32 v1, v1, v3, vcc_lo
	ds_bpermute_b32 v4, v10, v2
	ds_bpermute_b32 v3, v10, v1
	v_cndmask_b32_e64 v10, v39, v6, s8
	v_cmp_gt_i32_e64 s8, 32, v5
	v_lshlrev_b32_e32 v10, 2, v10
	s_waitcnt lgkmcnt(0)
	v_cmp_lt_f64_e32 vcc_lo, v[1:2], v[3:4]
	v_cndmask_b32_e32 v2, v2, v4, vcc_lo
	v_cndmask_b32_e32 v1, v1, v3, vcc_lo
	ds_bpermute_b32 v4, v10, v2
	ds_bpermute_b32 v3, v10, v1
	v_cndmask_b32_e64 v10, v39, v5, s8
	v_lshlrev_b32_e32 v10, 2, v10
	s_waitcnt lgkmcnt(0)
	v_cmp_lt_f64_e32 vcc_lo, v[1:2], v[3:4]
	v_cndmask_b32_e32 v2, v2, v4, vcc_lo
	v_cndmask_b32_e32 v1, v1, v3, vcc_lo
	ds_bpermute_b32 v3, v10, v1
	ds_bpermute_b32 v10, v10, v2
	s_and_saveexec_b32 s8, s0
	s_cbranch_execz .LBB54_126
; %bb.125:                              ;   in Loop: Header=BB54_5 Depth=1
	s_waitcnt lgkmcnt(0)
	v_mov_b32_e32 v4, v10
	v_cmp_lt_f64_e32 vcc_lo, v[1:2], v[3:4]
	v_cndmask_b32_e32 v2, v2, v10, vcc_lo
	v_cndmask_b32_e32 v1, v1, v3, vcc_lo
	ds_write_b64 v42, v[1:2]
.LBB54_126:                             ;   in Loop: Header=BB54_5 Depth=1
	s_or_b32 exec_lo, exec_lo, s8
	s_waitcnt lgkmcnt(0)
	s_waitcnt_vscnt null, 0x0
	s_barrier
	buffer_gl0_inv
	s_and_saveexec_b32 s8, s1
	s_cbranch_execz .LBB54_128
; %bb.127:                              ;   in Loop: Header=BB54_5 Depth=1
	ds_read2_b64 v[1:4], v40 offset1:16
	s_waitcnt lgkmcnt(0)
	v_cmp_lt_f64_e32 vcc_lo, v[1:2], v[3:4]
	v_cndmask_b32_e32 v2, v2, v4, vcc_lo
	v_cndmask_b32_e32 v1, v1, v3, vcc_lo
	ds_write_b64 v40, v[1:2]
.LBB54_128:                             ;   in Loop: Header=BB54_5 Depth=1
	s_or_b32 exec_lo, exec_lo, s8
	s_waitcnt lgkmcnt(0)
	s_barrier
	buffer_gl0_inv
	s_and_saveexec_b32 s8, s2
	s_cbranch_execz .LBB54_130
; %bb.129:                              ;   in Loop: Header=BB54_5 Depth=1
	ds_read2_b64 v[1:4], v40 offset1:8
	s_waitcnt lgkmcnt(0)
	v_cmp_lt_f64_e32 vcc_lo, v[1:2], v[3:4]
	v_cndmask_b32_e32 v2, v2, v4, vcc_lo
	v_cndmask_b32_e32 v1, v1, v3, vcc_lo
	ds_write_b64 v40, v[1:2]
.LBB54_130:                             ;   in Loop: Header=BB54_5 Depth=1
	s_or_b32 exec_lo, exec_lo, s8
	s_waitcnt lgkmcnt(0)
	;; [unrolled: 14-line block ×4, first 2 shown]
	s_barrier
	buffer_gl0_inv
	s_and_saveexec_b32 s8, s5
	s_cbranch_execz .LBB54_136
; %bb.135:                              ;   in Loop: Header=BB54_5 Depth=1
	ds_read_b128 v[1:4], v18
	s_waitcnt lgkmcnt(0)
	v_cmp_lt_f64_e32 vcc_lo, v[1:2], v[3:4]
	v_cndmask_b32_e32 v2, v2, v4, vcc_lo
	v_cndmask_b32_e32 v1, v1, v3, vcc_lo
	ds_write_b64 v18, v[1:2]
.LBB54_136:                             ;   in Loop: Header=BB54_5 Depth=1
	s_or_b32 exec_lo, exec_lo, s8
	s_waitcnt lgkmcnt(0)
	s_barrier
	buffer_gl0_inv
	ds_read_b64 v[1:2], v18
	s_load_dwordx2 s[8:9], s[54:55], 0x0
	s_waitcnt lgkmcnt(0)
	v_div_scale_f64 v[3:4], null, s[8:9], s[8:9], v[1:2]
	v_rcp_f64_e32 v[10:11], v[3:4]
	v_fma_f64 v[15:16], -v[3:4], v[10:11], 1.0
	v_fma_f64 v[10:11], v[10:11], v[15:16], v[10:11]
	v_fma_f64 v[15:16], -v[3:4], v[10:11], 1.0
	v_fma_f64 v[10:11], v[10:11], v[15:16], v[10:11]
	v_div_scale_f64 v[15:16], vcc_lo, v[1:2], s[8:9], v[1:2]
	v_mul_f64 v[19:20], v[15:16], v[10:11]
	v_fma_f64 v[3:4], -v[3:4], v[19:20], v[15:16]
	v_div_fmas_f64 v[3:4], v[3:4], v[10:11], v[19:20]
	v_div_fixup_f64 v[15:16], v[3:4], s[8:9], v[1:2]
	s_andn2_b32 vcc_lo, exec_lo, s10
	s_cbranch_vccnz .LBB54_123
.LBB54_137:                             ;   in Loop: Header=BB54_5 Depth=1
	v_cmp_gt_i32_e32 vcc_lo, 32, v9
	v_cmp_gt_i32_e64 s8, 32, v8
	v_cndmask_b32_e32 v1, v39, v9, vcc_lo
	v_cndmask_b32_e64 v3, v39, v8, s8
	v_cmp_gt_i32_e64 s8, 32, v7
	v_lshlrev_b32_e32 v2, 2, v1
	v_lshlrev_b32_e32 v3, 2, v3
	v_cndmask_b32_e64 v7, v39, v7, s8
	v_cmp_gt_i32_e64 s8, 32, v6
	ds_bpermute_b32 v1, v2, v13
	ds_bpermute_b32 v2, v2, v14
	v_lshlrev_b32_e32 v7, 2, v7
	v_cndmask_b32_e64 v6, v39, v6, s8
	v_cmp_gt_i32_e64 s8, 32, v5
	v_lshlrev_b32_e32 v6, 2, v6
	v_cndmask_b32_e64 v5, v39, v5, s8
	v_lshlrev_b32_e32 v5, 2, v5
	s_waitcnt lgkmcnt(0)
	v_cmp_lt_f64_e32 vcc_lo, v[13:14], v[1:2]
	v_cndmask_b32_e32 v2, v14, v2, vcc_lo
	v_cndmask_b32_e32 v1, v13, v1, vcc_lo
	ds_bpermute_b32 v4, v3, v2
	ds_bpermute_b32 v3, v3, v1
	s_waitcnt lgkmcnt(0)
	v_cmp_lt_f64_e32 vcc_lo, v[1:2], v[3:4]
	v_cndmask_b32_e32 v2, v2, v4, vcc_lo
	v_cndmask_b32_e32 v1, v1, v3, vcc_lo
	ds_bpermute_b32 v4, v7, v2
	ds_bpermute_b32 v3, v7, v1
	;; [unrolled: 6-line block ×4, first 2 shown]
	s_and_saveexec_b32 s8, s0
	s_cbranch_execz .LBB54_139
; %bb.138:                              ;   in Loop: Header=BB54_5 Depth=1
	s_waitcnt lgkmcnt(0)
	v_mov_b32_e32 v4, v5
	v_cmp_lt_f64_e32 vcc_lo, v[1:2], v[3:4]
	v_cndmask_b32_e32 v2, v2, v5, vcc_lo
	v_cndmask_b32_e32 v1, v1, v3, vcc_lo
	ds_write_b64 v42, v[1:2]
.LBB54_139:                             ;   in Loop: Header=BB54_5 Depth=1
	s_or_b32 exec_lo, exec_lo, s8
	s_waitcnt lgkmcnt(0)
	s_waitcnt_vscnt null, 0x0
	s_barrier
	buffer_gl0_inv
	s_and_saveexec_b32 s8, s1
	s_cbranch_execz .LBB54_141
; %bb.140:                              ;   in Loop: Header=BB54_5 Depth=1
	ds_read2_b64 v[1:4], v40 offset1:16
	s_waitcnt lgkmcnt(0)
	v_cmp_lt_f64_e32 vcc_lo, v[1:2], v[3:4]
	v_cndmask_b32_e32 v2, v2, v4, vcc_lo
	v_cndmask_b32_e32 v1, v1, v3, vcc_lo
	ds_write_b64 v40, v[1:2]
.LBB54_141:                             ;   in Loop: Header=BB54_5 Depth=1
	s_or_b32 exec_lo, exec_lo, s8
	s_waitcnt lgkmcnt(0)
	s_barrier
	buffer_gl0_inv
	s_and_saveexec_b32 s8, s2
	s_cbranch_execz .LBB54_143
; %bb.142:                              ;   in Loop: Header=BB54_5 Depth=1
	ds_read2_b64 v[1:4], v40 offset1:8
	s_waitcnt lgkmcnt(0)
	v_cmp_lt_f64_e32 vcc_lo, v[1:2], v[3:4]
	v_cndmask_b32_e32 v2, v2, v4, vcc_lo
	v_cndmask_b32_e32 v1, v1, v3, vcc_lo
	ds_write_b64 v40, v[1:2]
.LBB54_143:                             ;   in Loop: Header=BB54_5 Depth=1
	s_or_b32 exec_lo, exec_lo, s8
	s_waitcnt lgkmcnt(0)
	;; [unrolled: 14-line block ×4, first 2 shown]
	s_barrier
	buffer_gl0_inv
	s_and_saveexec_b32 s8, s5
	s_cbranch_execz .LBB54_149
; %bb.148:                              ;   in Loop: Header=BB54_5 Depth=1
	ds_read_b128 v[1:4], v18
	s_waitcnt lgkmcnt(0)
	v_cmp_lt_f64_e32 vcc_lo, v[1:2], v[3:4]
	v_cndmask_b32_e32 v2, v2, v4, vcc_lo
	v_cndmask_b32_e32 v1, v1, v3, vcc_lo
	ds_write_b64 v18, v[1:2]
.LBB54_149:                             ;   in Loop: Header=BB54_5 Depth=1
	s_or_b32 exec_lo, exec_lo, s8
	s_waitcnt lgkmcnt(0)
	s_barrier
	buffer_gl0_inv
	ds_read_b64 v[1:2], v18
	s_load_dwordx2 s[8:9], s[54:55], 0x0
	s_waitcnt lgkmcnt(0)
	v_div_scale_f64 v[3:4], null, s[8:9], s[8:9], v[1:2]
	v_rcp_f64_e32 v[5:6], v[3:4]
	v_fma_f64 v[7:8], -v[3:4], v[5:6], 1.0
	v_fma_f64 v[5:6], v[5:6], v[7:8], v[5:6]
	v_fma_f64 v[7:8], -v[3:4], v[5:6], 1.0
	v_fma_f64 v[5:6], v[5:6], v[7:8], v[5:6]
	v_div_scale_f64 v[7:8], vcc_lo, v[1:2], s[8:9], v[1:2]
	v_mul_f64 v[9:10], v[7:8], v[5:6]
	v_fma_f64 v[3:4], -v[3:4], v[9:10], v[7:8]
	v_div_fmas_f64 v[3:4], v[3:4], v[5:6], v[9:10]
	v_div_fixup_f64 v[13:14], v[3:4], s[8:9], v[1:2]
	s_and_saveexec_b32 s9, s6
	s_cbranch_execz .LBB54_161
.LBB54_150:                             ;   in Loop: Header=BB54_5 Depth=1
	v_mov_b32_e32 v1, v41
	s_mov_b32 s67, 0
	s_branch .LBB54_152
.LBB54_151:                             ;   in Loop: Header=BB54_152 Depth=2
	s_or_b32 exec_lo, exec_lo, s68
	v_add_nc_u32_e32 v1, 32, v1
	v_cmp_le_u32_e32 vcc_lo, s63, v1
	s_or_b32 s67, vcc_lo, s67
	s_andn2_b32 exec_lo, exec_lo, s67
	s_cbranch_execz .LBB54_161
.LBB54_152:                             ;   Parent Loop BB54_5 Depth=1
                                        ; =>  This Loop Header: Depth=2
                                        ;       Child Loop BB54_155 Depth 3
                                        ;       Child Loop BB54_158 Depth 3
	s_mov_b32 s68, exec_lo
	v_cmpx_gt_i32_e64 s56, v1
	s_cbranch_execz .LBB54_151
; %bb.153:                              ;   in Loop: Header=BB54_152 Depth=2
	v_ashrrev_i32_e32 v2, 31, v1
	s_mov_b32 s69, exec_lo
	v_lshlrev_b64 v[3:4], 2, v[1:2]
	v_add_co_u32 v5, vcc_lo, s20, v3
	v_add_co_ci_u32_e64 v6, null, s21, v4, vcc_lo
	v_add_co_u32 v7, vcc_lo, s22, v3
	v_add_co_ci_u32_e64 v8, null, s23, v4, vcc_lo
	global_load_dword v5, v[5:6], off
	global_load_dword v6, v[7:8], off
	s_waitcnt vmcnt(1)
	v_add_nc_u32_e32 v5, v44, v5
	s_waitcnt vmcnt(0)
	v_subrev_nc_u32_e32 v10, s61, v6
	v_cmpx_lt_i32_e64 v5, v10
	s_cbranch_execz .LBB54_156
; %bb.154:                              ;   in Loop: Header=BB54_152 Depth=2
	v_ashrrev_i32_e32 v6, 31, v5
	s_mov_b32 s70, 0
	v_lshlrev_b64 v[8:9], 4, v[5:6]
	v_add_co_u32 v6, vcc_lo, s26, v8
	v_add_co_ci_u32_e64 v7, null, s27, v9, vcc_lo
	v_add_co_u32 v8, vcc_lo, s52, v8
	v_add_co_ci_u32_e64 v9, null, s53, v9, vcc_lo
	.p2align	6
.LBB54_155:                             ;   Parent Loop BB54_5 Depth=1
                                        ;     Parent Loop BB54_152 Depth=2
                                        ; =>    This Inner Loop Header: Depth=3
	global_load_dwordx4 v[19:22], v[8:9], off
	v_add_nc_u32_e32 v5, 32, v5
	v_add_co_u32 v8, vcc_lo, 0x200, v8
	v_add_co_ci_u32_e64 v9, null, 0, v9, vcc_lo
	v_cmp_ge_i32_e32 vcc_lo, v5, v10
	s_or_b32 s70, vcc_lo, s70
	s_waitcnt vmcnt(0)
	global_store_dwordx4 v[6:7], v[19:22], off
	v_add_co_u32 v6, s8, 0x200, v6
	v_add_co_ci_u32_e64 v7, null, 0, v7, s8
	s_andn2_b32 exec_lo, exec_lo, s70
	s_cbranch_execnz .LBB54_155
.LBB54_156:                             ;   in Loop: Header=BB54_152 Depth=2
	s_or_b32 exec_lo, exec_lo, s69
	v_add_co_u32 v5, vcc_lo, s12, v3
	v_add_co_ci_u32_e64 v6, null, s13, v4, vcc_lo
	v_add_co_u32 v3, vcc_lo, s14, v3
	v_add_co_ci_u32_e64 v4, null, s15, v4, vcc_lo
	global_load_dword v5, v[5:6], off
	global_load_dword v4, v[3:4], off
	s_mov_b32 s69, exec_lo
	s_waitcnt vmcnt(1)
	v_add_nc_u32_e32 v3, v45, v5
	s_waitcnt vmcnt(0)
	v_subrev_nc_u32_e32 v8, s62, v4
	v_cmpx_lt_i32_e64 v3, v8
	s_cbranch_execz .LBB54_159
; %bb.157:                              ;   in Loop: Header=BB54_152 Depth=2
	v_ashrrev_i32_e32 v4, 31, v3
	s_mov_b32 s70, 0
	v_lshlrev_b64 v[6:7], 4, v[3:4]
	v_add_co_u32 v4, vcc_lo, s18, v6
	v_add_co_ci_u32_e64 v5, null, s19, v7, vcc_lo
	v_add_co_u32 v6, vcc_lo, s34, v6
	v_add_co_ci_u32_e64 v7, null, s35, v7, vcc_lo
	.p2align	6
.LBB54_158:                             ;   Parent Loop BB54_5 Depth=1
                                        ;     Parent Loop BB54_152 Depth=2
                                        ; =>    This Inner Loop Header: Depth=3
	global_load_dwordx4 v[9:12], v[6:7], off
	v_add_nc_u32_e32 v3, 32, v3
	v_add_co_u32 v6, vcc_lo, 0x200, v6
	v_add_co_ci_u32_e64 v7, null, 0, v7, vcc_lo
	v_cmp_ge_i32_e32 vcc_lo, v3, v8
	s_or_b32 s70, vcc_lo, s70
	s_waitcnt vmcnt(0)
	global_store_dwordx4 v[4:5], v[9:12], off
	v_add_co_u32 v4, s8, 0x200, v4
	v_add_co_ci_u32_e64 v5, null, 0, v5, s8
	s_andn2_b32 exec_lo, exec_lo, s70
	s_cbranch_execnz .LBB54_158
.LBB54_159:                             ;   in Loop: Header=BB54_152 Depth=2
	s_or_b32 exec_lo, exec_lo, s69
	s_and_b32 exec_lo, exec_lo, s7
	s_cbranch_execz .LBB54_151
; %bb.160:                              ;   in Loop: Header=BB54_152 Depth=2
	v_lshlrev_b64 v[6:7], 4, v[1:2]
	v_add_co_u32 v2, vcc_lo, s50, v6
	v_add_co_ci_u32_e64 v3, null, s51, v7, vcc_lo
	v_add_co_u32 v6, vcc_lo, s48, v6
	v_add_co_ci_u32_e64 v7, null, s49, v7, vcc_lo
	global_load_dwordx4 v[2:5], v[2:3], off
	s_waitcnt vmcnt(0)
	global_store_dwordx4 v[6:7], v[2:5], off
	s_branch .LBB54_151
.LBB54_161:                             ;   in Loop: Header=BB54_5 Depth=1
	s_or_b32 exec_lo, exec_lo, s9
	s_mov_b32 s9, -1
	s_and_b32 vcc_lo, exec_lo, s57
	s_mov_b32 s67, -1
	s_cbranch_vccz .LBB54_171
; %bb.162:                              ;   in Loop: Header=BB54_5 Depth=1
	s_and_b32 vcc_lo, exec_lo, s65
	s_mov_b32 s8, -1
                                        ; implicit-def: $sgpr67
	s_cbranch_vccz .LBB54_168
; %bb.163:                              ;   in Loop: Header=BB54_5 Depth=1
	s_and_b32 vcc_lo, exec_lo, s64
                                        ; implicit-def: $sgpr67
	s_cbranch_vccz .LBB54_165
; %bb.164:                              ;   in Loop: Header=BB54_5 Depth=1
	v_cmp_ge_f64_e64 s67, s[46:47], v[13:14]
	s_mov_b32 s8, 0
.LBB54_165:                             ;   in Loop: Header=BB54_5 Depth=1
	s_andn2_b32 vcc_lo, exec_lo, s8
	s_cbranch_vccnz .LBB54_167
; %bb.166:                              ;   in Loop: Header=BB54_5 Depth=1
	v_cmp_ge_f64_e32 vcc_lo, s[46:47], v[15:16]
	s_andn2_b32 s8, s67, exec_lo
	s_and_b32 s67, vcc_lo, exec_lo
	s_or_b32 s67, s8, s67
.LBB54_167:                             ;   in Loop: Header=BB54_5 Depth=1
	s_mov_b32 s8, 0
.LBB54_168:                             ;   in Loop: Header=BB54_5 Depth=1
	s_andn2_b32 vcc_lo, exec_lo, s8
	s_cbranch_vccnz .LBB54_170
; %bb.169:                              ;   in Loop: Header=BB54_5 Depth=1
	v_cmp_ge_f64_e32 vcc_lo, s[46:47], v[15:16]
	v_cmp_ge_f64_e64 s8, s[46:47], v[13:14]
	s_andn2_b32 s67, s67, exec_lo
	s_and_b32 s8, vcc_lo, s8
	s_and_b32 s8, s8, exec_lo
	s_or_b32 s67, s67, s8
.LBB54_170:                             ;   in Loop: Header=BB54_5 Depth=1
	s_xor_b32 s67, s67, -1
.LBB54_171:                             ;   in Loop: Header=BB54_5 Depth=1
	v_mov_b32_e32 v1, s66
	s_and_saveexec_b32 s8, s67
	s_cbranch_execz .LBB54_4
; %bb.172:                              ;   in Loop: Header=BB54_5 Depth=1
	s_add_i32 s66, s66, 1
	v_mov_b32_e32 v1, s11
	s_cmp_eq_u32 s66, s11
	s_cselect_b32 s9, -1, 0
	s_orn2_b32 s9, s9, exec_lo
	s_branch .LBB54_4
.LBB54_173:
	s_or_b32 exec_lo, exec_lo, s58
	s_or_b32 exec_lo, exec_lo, s59
	s_andn2_b32 vcc_lo, exec_lo, s57
	s_cbranch_vccnz .LBB54_2
.LBB54_174:
	v_xor_b32_e32 v2, 16, v39
	v_xor_b32_e32 v3, 8, v39
	s_mov_b32 s0, exec_lo
	v_cmp_gt_i32_e32 vcc_lo, 32, v2
	v_cndmask_b32_e32 v2, v39, v2, vcc_lo
	v_cmp_gt_i32_e32 vcc_lo, 32, v3
	v_lshlrev_b32_e32 v2, 2, v2
	v_cndmask_b32_e32 v3, v39, v3, vcc_lo
	ds_bpermute_b32 v2, v2, v1
	v_lshlrev_b32_e32 v3, 2, v3
	s_waitcnt lgkmcnt(0)
	v_max_i32_e32 v1, v1, v2
	ds_bpermute_b32 v2, v3, v1
	v_xor_b32_e32 v3, 4, v39
	v_cmp_gt_i32_e32 vcc_lo, 32, v3
	v_cndmask_b32_e32 v3, v39, v3, vcc_lo
	v_lshlrev_b32_e32 v3, 2, v3
	s_waitcnt lgkmcnt(0)
	v_max_i32_e32 v1, v1, v2
	ds_bpermute_b32 v2, v3, v1
	v_xor_b32_e32 v3, 2, v39
	v_cmp_gt_i32_e32 vcc_lo, 32, v3
	v_cndmask_b32_e32 v3, v39, v3, vcc_lo
	;; [unrolled: 7-line block ×3, first 2 shown]
	s_waitcnt lgkmcnt(0)
	v_max_i32_e32 v1, v1, v2
	v_lshlrev_b32_e32 v2, 2, v3
	ds_bpermute_b32 v2, v2, v1
	v_cmpx_eq_u32_e32 31, v38
	s_cbranch_execz .LBB54_176
; %bb.175:
	v_lshlrev_b32_e32 v3, 2, v37
	s_waitcnt lgkmcnt(0)
	v_max_i32_e32 v1, v1, v2
	ds_write_b32 v3, v1 offset:256
.LBB54_176:
	s_or_b32 exec_lo, exec_lo, s0
	v_lshlrev_b32_e32 v1, 2, v0
	s_mov_b32 s0, exec_lo
	s_waitcnt lgkmcnt(0)
	s_waitcnt_vscnt null, 0x0
	s_barrier
	buffer_gl0_inv
	v_cmpx_gt_u32_e32 16, v0
	s_cbranch_execz .LBB54_178
; %bb.177:
	ds_read2_b32 v[2:3], v1 offset0:64 offset1:80
	s_waitcnt lgkmcnt(0)
	v_max_i32_e32 v2, v2, v3
	ds_write_b32 v1, v2 offset:256
.LBB54_178:
	s_or_b32 exec_lo, exec_lo, s0
	s_mov_b32 s0, exec_lo
	s_waitcnt lgkmcnt(0)
	s_barrier
	buffer_gl0_inv
	v_cmpx_gt_u32_e32 8, v0
	s_cbranch_execz .LBB54_180
; %bb.179:
	ds_read2_b32 v[2:3], v1 offset0:64 offset1:72
	s_waitcnt lgkmcnt(0)
	v_max_i32_e32 v2, v2, v3
	ds_write_b32 v1, v2 offset:256
.LBB54_180:
	s_or_b32 exec_lo, exec_lo, s0
	s_mov_b32 s0, exec_lo
	s_waitcnt lgkmcnt(0)
	;; [unrolled: 13-line block ×3, first 2 shown]
	s_barrier
	buffer_gl0_inv
	v_cmpx_gt_u32_e32 2, v0
	s_cbranch_execz .LBB54_184
; %bb.183:
	ds_read2_b32 v[2:3], v1 offset0:64 offset1:66
	s_waitcnt lgkmcnt(0)
	v_max_i32_e32 v2, v2, v3
	ds_write_b32 v1, v2 offset:256
.LBB54_184:
	s_or_b32 exec_lo, exec_lo, s0
	v_cmp_eq_u32_e32 vcc_lo, 0, v0
	s_waitcnt lgkmcnt(0)
	s_barrier
	buffer_gl0_inv
	s_and_saveexec_b32 s0, vcc_lo
	s_cbranch_execz .LBB54_186
; %bb.185:
	v_mov_b32_e32 v3, 0
	ds_read_b64 v[1:2], v3 offset:256
	s_waitcnt lgkmcnt(0)
	v_max_i32_e32 v1, v1, v2
	ds_write_b32 v3, v1 offset:256
.LBB54_186:
	s_or_b32 exec_lo, exec_lo, s0
	s_waitcnt lgkmcnt(0)
	s_barrier
	buffer_gl0_inv
	s_and_saveexec_b32 s0, vcc_lo
	s_cbranch_execz .LBB54_189
; %bb.187:
	v_mbcnt_lo_u32_b32 v1, exec_lo, 0
	v_cmp_eq_u32_e32 vcc_lo, 0, v1
	s_and_b32 exec_lo, exec_lo, vcc_lo
	s_cbranch_execz .LBB54_189
; %bb.188:
	v_mov_b32_e32 v1, 0
	ds_read_b32 v2, v1 offset:256
	s_waitcnt lgkmcnt(0)
	v_add_nc_u32_e32 v2, 1, v2
	global_atomic_smax v1, v2, s[44:45]
.LBB54_189:
	s_or_b32 exec_lo, exec_lo, s0
	v_cmp_eq_u32_e32 vcc_lo, 0, v0
	s_and_b32 s0, vcc_lo, s33
	s_and_saveexec_b32 s1, s0
	s_cbranch_execz .LBB54_196
.LBB54_190:
	v_mov_b32_e32 v0, 0
	v_mov_b32_e32 v1, 0x7ff80000
	s_mov_b32 s0, exec_lo
.LBB54_191:                             ; =>This Inner Loop Header: Depth=1
	s_ff1_i32_b32 s4, s0
	v_max_f64 v[0:1], v[0:1], v[0:1]
	v_readlane_b32 s3, v16, s4
	v_readlane_b32 s2, v15, s4
	v_max_f64 v[2:3], s[2:3], s[2:3]
	s_lshl_b32 s2, 1, s4
	s_andn2_b32 s0, s0, s2
	s_cmp_lg_u32 s0, 0
	v_max_f64 v[0:1], v[0:1], v[2:3]
	s_cbranch_scc1 .LBB54_191
; %bb.192:
	v_mbcnt_lo_u32_b32 v2, exec_lo, 0
	s_mov_b32 s2, 0
	s_mov_b32 s3, exec_lo
	v_cmpx_eq_u32_e32 0, v2
	s_xor_b32 s3, exec_lo, s3
	s_cbranch_execz .LBB54_196
; %bb.193:
	v_mov_b32_e32 v6, 0
	v_max_f64 v[4:5], v[0:1], v[0:1]
	global_load_dwordx2 v[2:3], v6, s[28:29]
.LBB54_194:                             ; =>This Inner Loop Header: Depth=1
	s_waitcnt vmcnt(0)
	v_max_f64 v[0:1], v[2:3], v[2:3]
	v_max_f64 v[0:1], v[0:1], v[4:5]
	global_atomic_cmpswap_x2 v[0:1], v6, v[0:3], s[28:29] glc
	s_waitcnt vmcnt(0)
	v_cmp_eq_u64_e64 s0, v[0:1], v[2:3]
	v_mov_b32_e32 v3, v1
	v_mov_b32_e32 v2, v0
	s_or_b32 s2, s0, s2
	s_andn2_b32 exec_lo, exec_lo, s2
	s_cbranch_execnz .LBB54_194
; %bb.195:
	s_or_b32 exec_lo, exec_lo, s2
.LBB54_196:
	s_or_b32 exec_lo, exec_lo, s1
	s_and_b32 s0, vcc_lo, s10
	s_and_saveexec_b32 s1, s0
	s_cbranch_execz .LBB54_202
; %bb.197:
	v_mov_b32_e32 v0, 0
	v_mov_b32_e32 v1, 0x7ff80000
	s_mov_b32 s0, exec_lo
.LBB54_198:                             ; =>This Inner Loop Header: Depth=1
	s_ff1_i32_b32 s1, s0
	v_max_f64 v[0:1], v[0:1], v[0:1]
	v_readlane_b32 s3, v14, s1
	v_readlane_b32 s2, v13, s1
	s_lshl_b32 s1, 1, s1
	s_andn2_b32 s0, s0, s1
	v_max_f64 v[2:3], s[2:3], s[2:3]
	s_cmp_lg_u32 s0, 0
	v_max_f64 v[0:1], v[0:1], v[2:3]
	s_cbranch_scc1 .LBB54_198
; %bb.199:
	v_mbcnt_lo_u32_b32 v2, exec_lo, 0
	s_mov_b32 s0, 0
	s_mov_b32 s1, exec_lo
	v_cmpx_eq_u32_e32 0, v2
	s_xor_b32 s1, exec_lo, s1
	s_cbranch_execz .LBB54_202
; %bb.200:
	v_mov_b32_e32 v6, 0
	v_max_f64 v[4:5], v[0:1], v[0:1]
	global_load_dwordx2 v[2:3], v6, s[30:31]
.LBB54_201:                             ; =>This Inner Loop Header: Depth=1
	s_waitcnt vmcnt(0)
	v_max_f64 v[0:1], v[2:3], v[2:3]
	v_max_f64 v[0:1], v[0:1], v[4:5]
	global_atomic_cmpswap_x2 v[0:1], v6, v[0:3], s[30:31] glc
	s_waitcnt vmcnt(0)
	v_cmp_eq_u64_e32 vcc_lo, v[0:1], v[2:3]
	v_mov_b32_e32 v3, v1
	v_mov_b32_e32 v2, v0
	s_or_b32 s0, vcc_lo, s0
	s_andn2_b32 exec_lo, exec_lo, s0
	s_cbranch_execnz .LBB54_201
.LBB54_202:
	s_endpgm
	.section	.rodata,"a",@progbits
	.p2align	6, 0x0
	.amdhsa_kernel _ZN9rocsparseL6kernelILi1024ELi32E21rocsparse_complex_numIdEiiEEvbbbT3_PS3_NS_15floating_traitsIT1_E6data_tES3_T2_PKS9_SB_PKS3_PKS6_21rocsparse_index_base_SB_SB_SD_PS6_SH_SG_SB_SB_SD_SH_SH_SG_SH_SH_PS8_SI_PKS8_
		.amdhsa_group_segment_fixed_size 384
		.amdhsa_private_segment_fixed_size 0
		.amdhsa_kernarg_size 208
		.amdhsa_user_sgpr_count 6
		.amdhsa_user_sgpr_private_segment_buffer 1
		.amdhsa_user_sgpr_dispatch_ptr 0
		.amdhsa_user_sgpr_queue_ptr 0
		.amdhsa_user_sgpr_kernarg_segment_ptr 1
		.amdhsa_user_sgpr_dispatch_id 0
		.amdhsa_user_sgpr_flat_scratch_init 0
		.amdhsa_user_sgpr_private_segment_size 0
		.amdhsa_wavefront_size32 1
		.amdhsa_uses_dynamic_stack 0
		.amdhsa_system_sgpr_private_segment_wavefront_offset 0
		.amdhsa_system_sgpr_workgroup_id_x 1
		.amdhsa_system_sgpr_workgroup_id_y 0
		.amdhsa_system_sgpr_workgroup_id_z 0
		.amdhsa_system_sgpr_workgroup_info 0
		.amdhsa_system_vgpr_workitem_id 0
		.amdhsa_next_free_vgpr 59
		.amdhsa_next_free_sgpr 81
		.amdhsa_reserve_vcc 1
		.amdhsa_reserve_flat_scratch 0
		.amdhsa_float_round_mode_32 0
		.amdhsa_float_round_mode_16_64 0
		.amdhsa_float_denorm_mode_32 3
		.amdhsa_float_denorm_mode_16_64 3
		.amdhsa_dx10_clamp 1
		.amdhsa_ieee_mode 1
		.amdhsa_fp16_overflow 0
		.amdhsa_workgroup_processor_mode 1
		.amdhsa_memory_ordered 1
		.amdhsa_forward_progress 1
		.amdhsa_shared_vgpr_count 0
		.amdhsa_exception_fp_ieee_invalid_op 0
		.amdhsa_exception_fp_denorm_src 0
		.amdhsa_exception_fp_ieee_div_zero 0
		.amdhsa_exception_fp_ieee_overflow 0
		.amdhsa_exception_fp_ieee_underflow 0
		.amdhsa_exception_fp_ieee_inexact 0
		.amdhsa_exception_int_div_zero 0
	.end_amdhsa_kernel
	.section	.text._ZN9rocsparseL6kernelILi1024ELi32E21rocsparse_complex_numIdEiiEEvbbbT3_PS3_NS_15floating_traitsIT1_E6data_tES3_T2_PKS9_SB_PKS3_PKS6_21rocsparse_index_base_SB_SB_SD_PS6_SH_SG_SB_SB_SD_SH_SH_SG_SH_SH_PS8_SI_PKS8_,"axG",@progbits,_ZN9rocsparseL6kernelILi1024ELi32E21rocsparse_complex_numIdEiiEEvbbbT3_PS3_NS_15floating_traitsIT1_E6data_tES3_T2_PKS9_SB_PKS3_PKS6_21rocsparse_index_base_SB_SB_SD_PS6_SH_SG_SB_SB_SD_SH_SH_SG_SH_SH_PS8_SI_PKS8_,comdat
.Lfunc_end54:
	.size	_ZN9rocsparseL6kernelILi1024ELi32E21rocsparse_complex_numIdEiiEEvbbbT3_PS3_NS_15floating_traitsIT1_E6data_tES3_T2_PKS9_SB_PKS3_PKS6_21rocsparse_index_base_SB_SB_SD_PS6_SH_SG_SB_SB_SD_SH_SH_SG_SH_SH_PS8_SI_PKS8_, .Lfunc_end54-_ZN9rocsparseL6kernelILi1024ELi32E21rocsparse_complex_numIdEiiEEvbbbT3_PS3_NS_15floating_traitsIT1_E6data_tES3_T2_PKS9_SB_PKS3_PKS6_21rocsparse_index_base_SB_SB_SD_PS6_SH_SG_SB_SB_SD_SH_SH_SG_SH_SH_PS8_SI_PKS8_
                                        ; -- End function
	.set _ZN9rocsparseL6kernelILi1024ELi32E21rocsparse_complex_numIdEiiEEvbbbT3_PS3_NS_15floating_traitsIT1_E6data_tES3_T2_PKS9_SB_PKS3_PKS6_21rocsparse_index_base_SB_SB_SD_PS6_SH_SG_SB_SB_SD_SH_SH_SG_SH_SH_PS8_SI_PKS8_.num_vgpr, 59
	.set _ZN9rocsparseL6kernelILi1024ELi32E21rocsparse_complex_numIdEiiEEvbbbT3_PS3_NS_15floating_traitsIT1_E6data_tES3_T2_PKS9_SB_PKS3_PKS6_21rocsparse_index_base_SB_SB_SD_PS6_SH_SG_SB_SB_SD_SH_SH_SG_SH_SH_PS8_SI_PKS8_.num_agpr, 0
	.set _ZN9rocsparseL6kernelILi1024ELi32E21rocsparse_complex_numIdEiiEEvbbbT3_PS3_NS_15floating_traitsIT1_E6data_tES3_T2_PKS9_SB_PKS3_PKS6_21rocsparse_index_base_SB_SB_SD_PS6_SH_SG_SB_SB_SD_SH_SH_SG_SH_SH_PS8_SI_PKS8_.numbered_sgpr, 81
	.set _ZN9rocsparseL6kernelILi1024ELi32E21rocsparse_complex_numIdEiiEEvbbbT3_PS3_NS_15floating_traitsIT1_E6data_tES3_T2_PKS9_SB_PKS3_PKS6_21rocsparse_index_base_SB_SB_SD_PS6_SH_SG_SB_SB_SD_SH_SH_SG_SH_SH_PS8_SI_PKS8_.num_named_barrier, 0
	.set _ZN9rocsparseL6kernelILi1024ELi32E21rocsparse_complex_numIdEiiEEvbbbT3_PS3_NS_15floating_traitsIT1_E6data_tES3_T2_PKS9_SB_PKS3_PKS6_21rocsparse_index_base_SB_SB_SD_PS6_SH_SG_SB_SB_SD_SH_SH_SG_SH_SH_PS8_SI_PKS8_.private_seg_size, 0
	.set _ZN9rocsparseL6kernelILi1024ELi32E21rocsparse_complex_numIdEiiEEvbbbT3_PS3_NS_15floating_traitsIT1_E6data_tES3_T2_PKS9_SB_PKS3_PKS6_21rocsparse_index_base_SB_SB_SD_PS6_SH_SG_SB_SB_SD_SH_SH_SG_SH_SH_PS8_SI_PKS8_.uses_vcc, 1
	.set _ZN9rocsparseL6kernelILi1024ELi32E21rocsparse_complex_numIdEiiEEvbbbT3_PS3_NS_15floating_traitsIT1_E6data_tES3_T2_PKS9_SB_PKS3_PKS6_21rocsparse_index_base_SB_SB_SD_PS6_SH_SG_SB_SB_SD_SH_SH_SG_SH_SH_PS8_SI_PKS8_.uses_flat_scratch, 0
	.set _ZN9rocsparseL6kernelILi1024ELi32E21rocsparse_complex_numIdEiiEEvbbbT3_PS3_NS_15floating_traitsIT1_E6data_tES3_T2_PKS9_SB_PKS3_PKS6_21rocsparse_index_base_SB_SB_SD_PS6_SH_SG_SB_SB_SD_SH_SH_SG_SH_SH_PS8_SI_PKS8_.has_dyn_sized_stack, 0
	.set _ZN9rocsparseL6kernelILi1024ELi32E21rocsparse_complex_numIdEiiEEvbbbT3_PS3_NS_15floating_traitsIT1_E6data_tES3_T2_PKS9_SB_PKS3_PKS6_21rocsparse_index_base_SB_SB_SD_PS6_SH_SG_SB_SB_SD_SH_SH_SG_SH_SH_PS8_SI_PKS8_.has_recursion, 0
	.set _ZN9rocsparseL6kernelILi1024ELi32E21rocsparse_complex_numIdEiiEEvbbbT3_PS3_NS_15floating_traitsIT1_E6data_tES3_T2_PKS9_SB_PKS3_PKS6_21rocsparse_index_base_SB_SB_SD_PS6_SH_SG_SB_SB_SD_SH_SH_SG_SH_SH_PS8_SI_PKS8_.has_indirect_call, 0
	.section	.AMDGPU.csdata,"",@progbits
; Kernel info:
; codeLenInByte = 10184
; TotalNumSgprs: 83
; NumVgprs: 59
; ScratchSize: 0
; MemoryBound: 1
; FloatMode: 240
; IeeeMode: 1
; LDSByteSize: 384 bytes/workgroup (compile time only)
; SGPRBlocks: 0
; VGPRBlocks: 7
; NumSGPRsForWavesPerEU: 83
; NumVGPRsForWavesPerEU: 59
; Occupancy: 16
; WaveLimiterHint : 1
; COMPUTE_PGM_RSRC2:SCRATCH_EN: 0
; COMPUTE_PGM_RSRC2:USER_SGPR: 6
; COMPUTE_PGM_RSRC2:TRAP_HANDLER: 0
; COMPUTE_PGM_RSRC2:TGID_X_EN: 1
; COMPUTE_PGM_RSRC2:TGID_Y_EN: 0
; COMPUTE_PGM_RSRC2:TGID_Z_EN: 0
; COMPUTE_PGM_RSRC2:TIDIG_COMP_CNT: 0
	.section	.text._ZN9rocsparseL6kernelILi1024ELi64E21rocsparse_complex_numIdEiiEEvbbbT3_PS3_NS_15floating_traitsIT1_E6data_tES3_T2_PKS9_SB_PKS3_PKS6_21rocsparse_index_base_SB_SB_SD_PS6_SH_SG_SB_SB_SD_SH_SH_SG_SH_SH_PS8_SI_PKS8_,"axG",@progbits,_ZN9rocsparseL6kernelILi1024ELi64E21rocsparse_complex_numIdEiiEEvbbbT3_PS3_NS_15floating_traitsIT1_E6data_tES3_T2_PKS9_SB_PKS3_PKS6_21rocsparse_index_base_SB_SB_SD_PS6_SH_SG_SB_SB_SD_SH_SH_SG_SH_SH_PS8_SI_PKS8_,comdat
	.globl	_ZN9rocsparseL6kernelILi1024ELi64E21rocsparse_complex_numIdEiiEEvbbbT3_PS3_NS_15floating_traitsIT1_E6data_tES3_T2_PKS9_SB_PKS3_PKS6_21rocsparse_index_base_SB_SB_SD_PS6_SH_SG_SB_SB_SD_SH_SH_SG_SH_SH_PS8_SI_PKS8_ ; -- Begin function _ZN9rocsparseL6kernelILi1024ELi64E21rocsparse_complex_numIdEiiEEvbbbT3_PS3_NS_15floating_traitsIT1_E6data_tES3_T2_PKS9_SB_PKS3_PKS6_21rocsparse_index_base_SB_SB_SD_PS6_SH_SG_SB_SB_SD_SH_SH_SG_SH_SH_PS8_SI_PKS8_
	.p2align	8
	.type	_ZN9rocsparseL6kernelILi1024ELi64E21rocsparse_complex_numIdEiiEEvbbbT3_PS3_NS_15floating_traitsIT1_E6data_tES3_T2_PKS9_SB_PKS3_PKS6_21rocsparse_index_base_SB_SB_SD_PS6_SH_SG_SB_SB_SD_SH_SH_SG_SH_SH_PS8_SI_PKS8_,@function
_ZN9rocsparseL6kernelILi1024ELi64E21rocsparse_complex_numIdEiiEEvbbbT3_PS3_NS_15floating_traitsIT1_E6data_tES3_T2_PKS9_SB_PKS3_PKS6_21rocsparse_index_base_SB_SB_SD_PS6_SH_SG_SB_SB_SD_SH_SH_SG_SH_SH_PS8_SI_PKS8_: ; @_ZN9rocsparseL6kernelILi1024ELi64E21rocsparse_complex_numIdEiiEEvbbbT3_PS3_NS_15floating_traitsIT1_E6data_tES3_T2_PKS9_SB_PKS3_PKS6_21rocsparse_index_base_SB_SB_SD_PS6_SH_SG_SB_SB_SD_SH_SH_SG_SH_SH_PS8_SI_PKS8_
; %bb.0:
	s_clause 0x4
	s_load_dword s0, s[4:5], 0x0
	s_load_dwordx2 s[8:9], s[4:5], 0x0
	s_load_dword s55, s[4:5], 0x18
	s_load_dwordx4 s[44:47], s[4:5], 0x8
	s_load_dwordx4 s[28:31], s[4:5], 0xb8
	v_lshrrev_b32_e32 v37, 6, v0
	v_mov_b32_e32 v1, 0
	v_mov_b32_e32 v15, 0
	;; [unrolled: 1-line block ×3, first 2 shown]
	v_lshlrev_b32_e32 v40, 3, v0
	v_and_b32_e32 v38, 63, v0
	v_mov_b32_e32 v2, v1
	v_mov_b32_e32 v16, 0
	;; [unrolled: 1-line block ×3, first 2 shown]
	v_mbcnt_lo_u32_b32 v39, -1, 0
	s_mov_b32 s57, 0
	ds_write_b64 v40, v[1:2]
	s_waitcnt lgkmcnt(0)
	s_barrier
	buffer_gl0_inv
	s_bitcmp1_b32 s0, 0
	s_cselect_b32 s56, -1, 0
	s_bitcmp1_b32 s0, 8
	s_cselect_b32 s54, -1, 0
	;; [unrolled: 2-line block ×3, first 2 shown]
	s_lshl_b32 s62, s6, 10
	s_cmp_gt_i32 s9, 0
	v_or_b32_e32 v41, s62, v37
	s_cselect_b32 s0, -1, 0
	v_cmp_gt_i32_e32 vcc_lo, s55, v41
	s_and_b32 s0, s0, vcc_lo
	s_and_saveexec_b32 s58, s0
	s_cbranch_execnz .LBB55_3
; %bb.1:
	s_or_b32 exec_lo, exec_lo, s58
	s_andn2_b32 vcc_lo, exec_lo, s56
	s_cbranch_vccz .LBB55_170
.LBB55_2:
	v_cmp_eq_u32_e32 vcc_lo, 0, v0
	s_and_b32 s0, vcc_lo, s54
	s_and_saveexec_b32 s1, s0
	s_cbranch_execnz .LBB55_184
	s_branch .LBB55_190
.LBB55_3:
	s_clause 0x9
	s_load_dword s59, s[4:5], 0x40
	s_load_dword s60, s[4:5], 0x70
	;; [unrolled: 1-line block ×3, first 2 shown]
	s_load_dwordx2 s[10:11], s[4:5], 0x98
	s_load_dwordx2 s[34:35], s[4:5], 0x68
	;; [unrolled: 1-line block ×3, first 2 shown]
	s_load_dwordx4 s[48:51], s[4:5], 0xa8
	s_load_dwordx8 s[12:19], s[4:5], 0x78
	s_load_dwordx8 s[20:27], s[4:5], 0x48
	;; [unrolled: 1-line block ×3, first 2 shown]
	s_addk_i32 s62, 0x400
	v_mov_b32_e32 v13, 0
	v_mov_b32_e32 v15, 0
	v_cmp_eq_u32_e64 s0, 63, v38
	v_lshlrev_b32_e32 v42, 3, v37
	v_cmp_gt_u32_e64 s1, 8, v0
	v_cmp_gt_u32_e64 s2, 4, v0
	;; [unrolled: 1-line block ×3, first 2 shown]
	v_cmp_eq_u32_e64 s4, 0, v0
	v_cmp_gt_u32_e64 s5, s62, v41
	s_waitcnt lgkmcnt(0)
	v_subrev_nc_u32_e32 v43, s59, v38
	v_subrev_nc_u32_e32 v44, s60, v38
	;; [unrolled: 1-line block ×3, first 2 shown]
	v_cmp_eq_u32_e64 s6, 0, v38
	v_mov_b32_e32 v14, 0
	v_mov_b32_e32 v16, 0
	v_mov_b32_e32 v18, 0
	s_and_b32 s7, s54, s33
	s_xor_b32 s63, s54, -1
	s_xor_b32 s64, s7, -1
	s_mov_b32 s65, 0
	s_branch .LBB55_5
.LBB55_4:                               ;   in Loop: Header=BB55_5 Depth=1
	s_or_b32 exec_lo, exec_lo, s7
	s_and_b32 s7, exec_lo, s8
	s_or_b32 s57, s7, s57
	s_andn2_b32 exec_lo, exec_lo, s57
	s_cbranch_execz .LBB55_169
.LBB55_5:                               ; =>This Loop Header: Depth=1
                                        ;     Child Loop BB55_9 Depth 2
                                        ;       Child Loop BB55_14 Depth 3
                                        ;         Child Loop BB55_18 Depth 4
                                        ;         Child Loop BB55_53 Depth 4
	;; [unrolled: 1-line block ×5, first 2 shown]
                                        ;     Child Loop BB55_148 Depth 2
                                        ;       Child Loop BB55_151 Depth 3
                                        ;       Child Loop BB55_154 Depth 3
	v_cndmask_b32_e64 v16, v16, 0, s54
	v_cndmask_b32_e64 v15, v15, 0, s54
	v_cndmask_b32_e64 v14, v14, 0, s33
	v_cndmask_b32_e64 v13, v13, 0, s33
	s_mov_b32 s66, 0
	s_branch .LBB55_9
.LBB55_6:                               ;   in Loop: Header=BB55_9 Depth=2
	s_or_b32 exec_lo, exec_lo, s69
.LBB55_7:                               ;   in Loop: Header=BB55_9 Depth=2
	s_or_b32 exec_lo, exec_lo, s68
.LBB55_8:                               ;   in Loop: Header=BB55_9 Depth=2
	s_or_b32 exec_lo, exec_lo, s67
	s_add_i32 s66, s66, 1
	s_cmp_eq_u32 s66, 64
	s_cbranch_scc1 .LBB55_121
.LBB55_9:                               ;   Parent Loop BB55_5 Depth=1
                                        ; =>  This Loop Header: Depth=2
                                        ;       Child Loop BB55_14 Depth 3
                                        ;         Child Loop BB55_18 Depth 4
                                        ;         Child Loop BB55_53 Depth 4
	;; [unrolled: 1-line block ×5, first 2 shown]
	v_lshl_add_u32 v19, s66, 4, v41
	s_mov_b32 s67, exec_lo
	v_cmpx_gt_i32_e64 s55, v19
	s_cbranch_execz .LBB55_8
; %bb.10:                               ;   in Loop: Header=BB55_9 Depth=2
	v_ashrrev_i32_e32 v20, 31, v19
	s_mov_b32 s68, exec_lo
	v_lshlrev_b64 v[1:2], 2, v[19:20]
	v_add_co_u32 v3, vcc_lo, s36, v1
	v_add_co_ci_u32_e64 v4, null, s37, v2, vcc_lo
	v_add_co_u32 v5, vcc_lo, s38, v1
	v_add_co_ci_u32_e64 v6, null, s39, v2, vcc_lo
	global_load_dword v3, v[3:4], off
	global_load_dword v4, v[5:6], off
	s_waitcnt vmcnt(1)
	v_add_nc_u32_e32 v20, v43, v3
	s_waitcnt vmcnt(0)
	v_subrev_nc_u32_e32 v46, s59, v4
	v_cmpx_lt_i32_e64 v20, v46
	s_cbranch_execz .LBB55_7
; %bb.11:                               ;   in Loop: Header=BB55_9 Depth=2
	v_add_co_u32 v3, vcc_lo, s20, v1
	v_add_co_ci_u32_e64 v4, null, s21, v2, vcc_lo
	v_add_co_u32 v1, vcc_lo, s22, v1
	v_add_co_ci_u32_e64 v2, null, s23, v2, vcc_lo
	global_load_dword v3, v[3:4], off
	s_mov_b32 s69, 0
	global_load_dword v4, v[1:2], off
	s_waitcnt vmcnt(1)
	v_subrev_nc_u32_e32 v22, s60, v3
	s_waitcnt vmcnt(0)
	v_sub_nc_u32_e32 v47, v4, v3
	v_ashrrev_i32_e32 v23, 31, v22
	v_cmp_lt_i32_e64 s7, 0, v47
	v_lshlrev_b64 v[1:2], 2, v[22:23]
	v_lshlrev_b64 v[3:4], 4, v[22:23]
	v_add_co_u32 v48, vcc_lo, s24, v1
	v_add_co_ci_u32_e64 v49, null, s25, v2, vcc_lo
	v_add_co_u32 v50, vcc_lo, s26, v3
	v_add_co_ci_u32_e64 v51, null, s27, v4, vcc_lo
	s_branch .LBB55_14
.LBB55_12:                              ;   in Loop: Header=BB55_14 Depth=3
	s_or_b32 exec_lo, exec_lo, s70
.LBB55_13:                              ;   in Loop: Header=BB55_14 Depth=3
	s_or_b32 exec_lo, exec_lo, s8
	v_add_nc_u32_e32 v20, 64, v20
	v_cmp_ge_i32_e32 vcc_lo, v20, v46
	s_or_b32 s69, vcc_lo, s69
	s_andn2_b32 exec_lo, exec_lo, s69
	s_cbranch_execz .LBB55_6
.LBB55_14:                              ;   Parent Loop BB55_5 Depth=1
                                        ;     Parent Loop BB55_9 Depth=2
                                        ; =>    This Loop Header: Depth=3
                                        ;         Child Loop BB55_18 Depth 4
                                        ;         Child Loop BB55_53 Depth 4
	;; [unrolled: 1-line block ×5, first 2 shown]
	v_ashrrev_i32_e32 v21, 31, v20
	v_mov_b32_e32 v17, 0
	v_mov_b32_e32 v25, 0
	v_mov_b32_e32 v27, 0
	v_mov_b32_e32 v26, 0
	v_lshlrev_b64 v[1:2], 2, v[20:21]
	v_mov_b32_e32 v28, 0
	v_mov_b32_e32 v30, v17
	v_add_co_u32 v1, vcc_lo, s40, v1
	v_add_co_ci_u32_e64 v2, null, s41, v2, vcc_lo
	global_load_dword v1, v[1:2], off
	s_waitcnt vmcnt(0)
	v_subrev_nc_u32_e32 v23, s59, v1
	v_ashrrev_i32_e32 v24, 31, v23
	v_lshlrev_b64 v[1:2], 2, v[23:24]
	v_add_co_u32 v3, vcc_lo, s12, v1
	v_add_co_ci_u32_e64 v4, null, s13, v2, vcc_lo
	v_add_co_u32 v1, vcc_lo, s14, v1
	v_add_co_ci_u32_e64 v2, null, s15, v2, vcc_lo
	global_load_dword v3, v[3:4], off
	global_load_dword v1, v[1:2], off
	s_waitcnt vmcnt(1)
	v_subrev_nc_u32_e32 v29, s61, v3
	s_waitcnt vmcnt(0)
	v_sub_nc_u32_e32 v52, v1, v3
	s_and_saveexec_b32 s70, s7
	s_cbranch_execz .LBB55_22
; %bb.15:                               ;   in Loop: Header=BB55_14 Depth=3
	v_ashrrev_i32_e32 v30, 31, v29
	v_mov_b32_e32 v25, 0
	v_mov_b32_e32 v27, 0
	;; [unrolled: 1-line block ×4, first 2 shown]
	v_lshlrev_b64 v[1:2], 2, v[29:30]
	v_lshlrev_b64 v[3:4], 4, v[29:30]
	v_mov_b32_e32 v30, 0
	v_mov_b32_e32 v17, 0
	s_mov_b32 s71, 0
                                        ; implicit-def: $sgpr72
	v_add_co_u32 v1, vcc_lo, s16, v1
	v_add_co_ci_u32_e64 v2, null, s17, v2, vcc_lo
	v_add_co_u32 v3, vcc_lo, s18, v3
	v_add_co_ci_u32_e64 v4, null, s19, v4, vcc_lo
	s_branch .LBB55_18
.LBB55_16:                              ;   in Loop: Header=BB55_18 Depth=4
	s_or_b32 exec_lo, exec_lo, s8
	v_cmp_le_i32_e32 vcc_lo, v5, v6
	v_cmp_ge_i32_e64 s8, v5, v6
	v_add_co_ci_u32_e64 v17, null, 0, v17, vcc_lo
	v_add_co_ci_u32_e64 v30, null, 0, v30, s8
	s_andn2_b32 s8, s72, exec_lo
	v_cmp_ge_i32_e32 vcc_lo, v17, v47
	s_and_b32 s72, vcc_lo, exec_lo
	s_or_b32 s72, s8, s72
.LBB55_17:                              ;   in Loop: Header=BB55_18 Depth=4
	s_or_b32 exec_lo, exec_lo, s73
	s_and_b32 s8, exec_lo, s72
	s_or_b32 s71, s8, s71
	s_andn2_b32 exec_lo, exec_lo, s71
	s_cbranch_execz .LBB55_21
.LBB55_18:                              ;   Parent Loop BB55_5 Depth=1
                                        ;     Parent Loop BB55_9 Depth=2
                                        ;       Parent Loop BB55_14 Depth=3
                                        ; =>      This Inner Loop Header: Depth=4
	s_or_b32 s72, s72, exec_lo
	s_mov_b32 s73, exec_lo
	v_cmpx_lt_i32_e64 v30, v52
	s_cbranch_execz .LBB55_17
; %bb.19:                               ;   in Loop: Header=BB55_18 Depth=4
	v_mov_b32_e32 v31, v18
	v_lshlrev_b64 v[5:6], 2, v[17:18]
	s_mov_b32 s8, exec_lo
	v_lshlrev_b64 v[7:8], 2, v[30:31]
	v_add_co_u32 v5, vcc_lo, v48, v5
	v_add_co_ci_u32_e64 v6, null, v49, v6, vcc_lo
	v_add_co_u32 v7, vcc_lo, v1, v7
	v_add_co_ci_u32_e64 v8, null, v2, v8, vcc_lo
	global_load_dword v5, v[5:6], off
	global_load_dword v6, v[7:8], off
	s_waitcnt vmcnt(1)
	v_subrev_nc_u32_e32 v5, s60, v5
	s_waitcnt vmcnt(0)
	v_subrev_nc_u32_e32 v6, s61, v6
	v_cmpx_eq_u32_e64 v5, v6
	s_cbranch_execz .LBB55_16
; %bb.20:                               ;   in Loop: Header=BB55_18 Depth=4
	v_lshlrev_b64 v[7:8], 4, v[17:18]
	v_lshlrev_b64 v[9:10], 4, v[30:31]
	v_add_co_u32 v7, vcc_lo, v50, v7
	v_add_co_ci_u32_e64 v8, null, v51, v8, vcc_lo
	v_add_co_u32 v11, vcc_lo, v3, v9
	v_add_co_ci_u32_e64 v12, null, v4, v10, vcc_lo
	global_load_dwordx4 v[7:10], v[7:8], off
	global_load_dwordx4 v[31:34], v[11:12], off
	s_waitcnt vmcnt(0)
	v_fma_f64 v[11:12], v[7:8], v[31:32], v[25:26]
	v_fma_f64 v[27:28], v[9:10], v[31:32], v[27:28]
	v_fma_f64 v[25:26], -v[9:10], v[33:34], v[11:12]
	v_fma_f64 v[27:28], v[7:8], v[33:34], v[27:28]
	s_branch .LBB55_16
.LBB55_21:                              ;   in Loop: Header=BB55_14 Depth=3
	s_or_b32 exec_lo, exec_lo, s71
.LBB55_22:                              ;   in Loop: Header=BB55_14 Depth=3
	s_or_b32 exec_lo, exec_lo, s70
	v_lshlrev_b64 v[1:2], 4, v[20:21]
	v_cmp_le_i32_e64 s8, v19, v23
	s_mov_b32 s70, exec_lo
	v_add_co_u32 v1, vcc_lo, s42, v1
	v_add_co_ci_u32_e64 v2, null, s43, v2, vcc_lo
	global_load_dwordx4 v[1:4], v[1:2], off
	s_waitcnt vmcnt(0)
	v_add_f64 v[5:6], v[1:2], -v[25:26]
	v_add_f64 v[7:8], v[3:4], -v[27:28]
	v_cmpx_gt_i32_e64 v19, v23
	s_cbranch_execz .LBB55_32
; %bb.23:                               ;   in Loop: Header=BB55_14 Depth=3
	v_lshlrev_b64 v[9:10], 4, v[23:24]
	s_mov_b32 s71, exec_lo
                                        ; implicit-def: $vgpr35_vgpr36
	v_add_co_u32 v9, vcc_lo, s48, v9
	v_add_co_ci_u32_e64 v10, null, s49, v10, vcc_lo
	global_load_dwordx4 v[9:12], v[9:10], off
	s_waitcnt vmcnt(0)
	v_cmp_gt_f64_e32 vcc_lo, 0, v[9:10]
	v_xor_b32_e32 v21, 0x80000000, v10
	v_xor_b32_e32 v33, 0x80000000, v12
	v_mov_b32_e32 v31, v9
	v_cndmask_b32_e32 v32, v10, v21, vcc_lo
	v_cmp_gt_f64_e32 vcc_lo, 0, v[11:12]
	v_cndmask_b32_e32 v34, v12, v33, vcc_lo
	v_mov_b32_e32 v33, v11
	v_cmpx_ngt_f64_e32 v[31:32], v[33:34]
	s_xor_b32 s71, exec_lo, s71
	s_cbranch_execz .LBB55_27
; %bb.24:                               ;   in Loop: Header=BB55_14 Depth=3
	v_mov_b32_e32 v35, 0
	v_mov_b32_e32 v36, 0
	s_mov_b32 s72, exec_lo
	v_cmpx_neq_f64_e32 0, v[11:12]
	s_cbranch_execz .LBB55_26
; %bb.25:                               ;   in Loop: Header=BB55_14 Depth=3
	v_div_scale_f64 v[35:36], null, v[33:34], v[33:34], v[31:32]
	v_div_scale_f64 v[57:58], vcc_lo, v[31:32], v[33:34], v[31:32]
	v_rcp_f64_e32 v[53:54], v[35:36]
	v_fma_f64 v[55:56], -v[35:36], v[53:54], 1.0
	v_fma_f64 v[53:54], v[53:54], v[55:56], v[53:54]
	v_fma_f64 v[55:56], -v[35:36], v[53:54], 1.0
	v_fma_f64 v[53:54], v[53:54], v[55:56], v[53:54]
	v_mul_f64 v[55:56], v[57:58], v[53:54]
	v_fma_f64 v[35:36], -v[35:36], v[55:56], v[57:58]
	v_div_fmas_f64 v[35:36], v[35:36], v[53:54], v[55:56]
	v_div_fixup_f64 v[31:32], v[35:36], v[33:34], v[31:32]
	v_fma_f64 v[31:32], v[31:32], v[31:32], 1.0
	v_cmp_gt_f64_e32 vcc_lo, 0x10000000, v[31:32]
	v_cndmask_b32_e64 v21, 0, 0x100, vcc_lo
	v_ldexp_f64 v[31:32], v[31:32], v21
	v_cndmask_b32_e64 v21, 0, 0xffffff80, vcc_lo
	v_rsq_f64_e32 v[35:36], v[31:32]
	v_cmp_class_f64_e64 vcc_lo, v[31:32], 0x260
	v_mul_f64 v[53:54], v[31:32], v[35:36]
	v_mul_f64 v[35:36], v[35:36], 0.5
	v_fma_f64 v[55:56], -v[35:36], v[53:54], 0.5
	v_fma_f64 v[53:54], v[53:54], v[55:56], v[53:54]
	v_fma_f64 v[35:36], v[35:36], v[55:56], v[35:36]
	v_fma_f64 v[55:56], -v[53:54], v[53:54], v[31:32]
	v_fma_f64 v[53:54], v[55:56], v[35:36], v[53:54]
	v_fma_f64 v[55:56], -v[53:54], v[53:54], v[31:32]
	v_fma_f64 v[35:36], v[55:56], v[35:36], v[53:54]
	v_ldexp_f64 v[35:36], v[35:36], v21
	v_cndmask_b32_e32 v32, v36, v32, vcc_lo
	v_cndmask_b32_e32 v31, v35, v31, vcc_lo
	v_mul_f64 v[35:36], v[33:34], v[31:32]
.LBB55_26:                              ;   in Loop: Header=BB55_14 Depth=3
	s_or_b32 exec_lo, exec_lo, s72
                                        ; implicit-def: $vgpr31_vgpr32
                                        ; implicit-def: $vgpr33_vgpr34
.LBB55_27:                              ;   in Loop: Header=BB55_14 Depth=3
	s_andn2_saveexec_b32 s71, s71
	s_cbranch_execz .LBB55_29
; %bb.28:                               ;   in Loop: Header=BB55_14 Depth=3
	v_div_scale_f64 v[35:36], null, v[31:32], v[31:32], v[33:34]
	v_div_scale_f64 v[57:58], vcc_lo, v[33:34], v[31:32], v[33:34]
	v_rcp_f64_e32 v[53:54], v[35:36]
	v_fma_f64 v[55:56], -v[35:36], v[53:54], 1.0
	v_fma_f64 v[53:54], v[53:54], v[55:56], v[53:54]
	v_fma_f64 v[55:56], -v[35:36], v[53:54], 1.0
	v_fma_f64 v[53:54], v[53:54], v[55:56], v[53:54]
	v_mul_f64 v[55:56], v[57:58], v[53:54]
	v_fma_f64 v[35:36], -v[35:36], v[55:56], v[57:58]
	v_div_fmas_f64 v[35:36], v[35:36], v[53:54], v[55:56]
	v_div_fixup_f64 v[33:34], v[35:36], v[31:32], v[33:34]
	v_fma_f64 v[33:34], v[33:34], v[33:34], 1.0
	v_cmp_gt_f64_e32 vcc_lo, 0x10000000, v[33:34]
	v_cndmask_b32_e64 v21, 0, 0x100, vcc_lo
	v_ldexp_f64 v[33:34], v[33:34], v21
	v_cndmask_b32_e64 v21, 0, 0xffffff80, vcc_lo
	v_rsq_f64_e32 v[35:36], v[33:34]
	v_cmp_class_f64_e64 vcc_lo, v[33:34], 0x260
	v_mul_f64 v[53:54], v[33:34], v[35:36]
	v_mul_f64 v[35:36], v[35:36], 0.5
	v_fma_f64 v[55:56], -v[35:36], v[53:54], 0.5
	v_fma_f64 v[53:54], v[53:54], v[55:56], v[53:54]
	v_fma_f64 v[35:36], v[35:36], v[55:56], v[35:36]
	v_fma_f64 v[55:56], -v[53:54], v[53:54], v[33:34]
	v_fma_f64 v[53:54], v[55:56], v[35:36], v[53:54]
	v_fma_f64 v[55:56], -v[53:54], v[53:54], v[33:34]
	v_fma_f64 v[35:36], v[55:56], v[35:36], v[53:54]
	v_ldexp_f64 v[35:36], v[35:36], v21
	v_cndmask_b32_e32 v34, v36, v34, vcc_lo
	v_cndmask_b32_e32 v33, v35, v33, vcc_lo
	v_mul_f64 v[35:36], v[31:32], v[33:34]
.LBB55_29:                              ;   in Loop: Header=BB55_14 Depth=3
	s_or_b32 exec_lo, exec_lo, s71
	v_mov_b32_e32 v31, 0
	v_mov_b32_e32 v33, 0
	;; [unrolled: 1-line block ×4, first 2 shown]
	s_mov_b32 s71, exec_lo
	v_cmpx_lt_f64_e32 0, v[35:36]
	s_cbranch_execz .LBB55_31
; %bb.30:                               ;   in Loop: Header=BB55_14 Depth=3
	v_mul_f64 v[31:32], v[11:12], v[11:12]
	v_fma_f64 v[31:32], v[9:10], v[9:10], v[31:32]
	v_div_scale_f64 v[33:34], null, v[31:32], v[31:32], 1.0
	v_div_scale_f64 v[55:56], vcc_lo, 1.0, v[31:32], 1.0
	v_rcp_f64_e32 v[35:36], v[33:34]
	v_fma_f64 v[53:54], -v[33:34], v[35:36], 1.0
	v_fma_f64 v[35:36], v[35:36], v[53:54], v[35:36]
	v_fma_f64 v[53:54], -v[33:34], v[35:36], 1.0
	v_fma_f64 v[35:36], v[35:36], v[53:54], v[35:36]
	v_mul_f64 v[53:54], v[55:56], v[35:36]
	v_fma_f64 v[33:34], -v[33:34], v[53:54], v[55:56]
	v_mul_f64 v[55:56], v[7:8], v[11:12]
	v_mul_f64 v[11:12], v[11:12], -v[5:6]
	v_div_fmas_f64 v[33:34], v[33:34], v[35:36], v[53:54]
	v_fma_f64 v[5:6], v[5:6], v[9:10], v[55:56]
	v_fma_f64 v[7:8], v[7:8], v[9:10], v[11:12]
	v_div_fixup_f64 v[31:32], v[33:34], v[31:32], 1.0
	v_mul_f64 v[33:34], v[5:6], v[31:32]
	v_mul_f64 v[31:32], v[7:8], v[31:32]
.LBB55_31:                              ;   in Loop: Header=BB55_14 Depth=3
	s_or_b32 exec_lo, exec_lo, s71
	v_mov_b32_e32 v7, v31
	v_mov_b32_e32 v5, v33
	;; [unrolled: 1-line block ×4, first 2 shown]
.LBB55_32:                              ;   in Loop: Header=BB55_14 Depth=3
	s_or_b32 exec_lo, exec_lo, s70
	v_cmp_gt_f64_e32 vcc_lo, 0, v[5:6]
	v_xor_b32_e32 v10, 0x80000000, v6
	v_xor_b32_e32 v11, 0x80000000, v8
	v_mov_b32_e32 v9, v5
	s_mov_b32 s70, exec_lo
                                        ; implicit-def: $vgpr31_vgpr32
	v_cndmask_b32_e32 v10, v6, v10, vcc_lo
	v_cmp_gt_f64_e32 vcc_lo, 0, v[7:8]
	v_cndmask_b32_e32 v12, v8, v11, vcc_lo
	v_mov_b32_e32 v11, v7
	v_cmpx_ngt_f64_e32 v[9:10], v[11:12]
	s_xor_b32 s70, exec_lo, s70
	s_cbranch_execnz .LBB55_36
; %bb.33:                               ;   in Loop: Header=BB55_14 Depth=3
	s_andn2_saveexec_b32 s70, s70
	s_cbranch_execnz .LBB55_39
.LBB55_34:                              ;   in Loop: Header=BB55_14 Depth=3
	s_or_b32 exec_lo, exec_lo, s70
	v_cmp_class_f64_e64 s70, v[31:32], 0x1f8
	s_and_saveexec_b32 s71, s70
	s_cbranch_execnz .LBB55_40
.LBB55_35:                              ;   in Loop: Header=BB55_14 Depth=3
	s_or_b32 exec_lo, exec_lo, s71
	s_and_b32 s70, s33, s70
	s_and_saveexec_b32 s8, s70
	s_cbranch_execz .LBB55_13
	s_branch .LBB55_81
.LBB55_36:                              ;   in Loop: Header=BB55_14 Depth=3
	v_mov_b32_e32 v31, 0
	v_mov_b32_e32 v32, 0
	s_mov_b32 s71, exec_lo
	v_cmpx_neq_f64_e32 0, v[7:8]
	s_cbranch_execz .LBB55_38
; %bb.37:                               ;   in Loop: Header=BB55_14 Depth=3
	v_div_scale_f64 v[31:32], null, v[11:12], v[11:12], v[9:10]
	v_div_scale_f64 v[53:54], vcc_lo, v[9:10], v[11:12], v[9:10]
	v_rcp_f64_e32 v[33:34], v[31:32]
	v_fma_f64 v[35:36], -v[31:32], v[33:34], 1.0
	v_fma_f64 v[33:34], v[33:34], v[35:36], v[33:34]
	v_fma_f64 v[35:36], -v[31:32], v[33:34], 1.0
	v_fma_f64 v[33:34], v[33:34], v[35:36], v[33:34]
	v_mul_f64 v[35:36], v[53:54], v[33:34]
	v_fma_f64 v[31:32], -v[31:32], v[35:36], v[53:54]
	v_div_fmas_f64 v[31:32], v[31:32], v[33:34], v[35:36]
	v_div_fixup_f64 v[9:10], v[31:32], v[11:12], v[9:10]
	v_fma_f64 v[9:10], v[9:10], v[9:10], 1.0
	v_cmp_gt_f64_e32 vcc_lo, 0x10000000, v[9:10]
	v_cndmask_b32_e64 v21, 0, 0x100, vcc_lo
	v_ldexp_f64 v[9:10], v[9:10], v21
	v_cndmask_b32_e64 v21, 0, 0xffffff80, vcc_lo
	v_rsq_f64_e32 v[31:32], v[9:10]
	v_cmp_class_f64_e64 vcc_lo, v[9:10], 0x260
	v_mul_f64 v[33:34], v[9:10], v[31:32]
	v_mul_f64 v[31:32], v[31:32], 0.5
	v_fma_f64 v[35:36], -v[31:32], v[33:34], 0.5
	v_fma_f64 v[33:34], v[33:34], v[35:36], v[33:34]
	v_fma_f64 v[31:32], v[31:32], v[35:36], v[31:32]
	v_fma_f64 v[35:36], -v[33:34], v[33:34], v[9:10]
	v_fma_f64 v[33:34], v[35:36], v[31:32], v[33:34]
	v_fma_f64 v[35:36], -v[33:34], v[33:34], v[9:10]
	v_fma_f64 v[31:32], v[35:36], v[31:32], v[33:34]
	v_ldexp_f64 v[31:32], v[31:32], v21
	v_cndmask_b32_e32 v10, v32, v10, vcc_lo
	v_cndmask_b32_e32 v9, v31, v9, vcc_lo
	v_mul_f64 v[31:32], v[11:12], v[9:10]
.LBB55_38:                              ;   in Loop: Header=BB55_14 Depth=3
	s_or_b32 exec_lo, exec_lo, s71
                                        ; implicit-def: $vgpr9_vgpr10
                                        ; implicit-def: $vgpr11_vgpr12
	s_andn2_saveexec_b32 s70, s70
	s_cbranch_execz .LBB55_34
.LBB55_39:                              ;   in Loop: Header=BB55_14 Depth=3
	v_div_scale_f64 v[31:32], null, v[9:10], v[9:10], v[11:12]
	v_div_scale_f64 v[53:54], vcc_lo, v[11:12], v[9:10], v[11:12]
	v_rcp_f64_e32 v[33:34], v[31:32]
	v_fma_f64 v[35:36], -v[31:32], v[33:34], 1.0
	v_fma_f64 v[33:34], v[33:34], v[35:36], v[33:34]
	v_fma_f64 v[35:36], -v[31:32], v[33:34], 1.0
	v_fma_f64 v[33:34], v[33:34], v[35:36], v[33:34]
	v_mul_f64 v[35:36], v[53:54], v[33:34]
	v_fma_f64 v[31:32], -v[31:32], v[35:36], v[53:54]
	v_div_fmas_f64 v[31:32], v[31:32], v[33:34], v[35:36]
	v_div_fixup_f64 v[11:12], v[31:32], v[9:10], v[11:12]
	v_fma_f64 v[11:12], v[11:12], v[11:12], 1.0
	v_cmp_gt_f64_e32 vcc_lo, 0x10000000, v[11:12]
	v_cndmask_b32_e64 v21, 0, 0x100, vcc_lo
	v_ldexp_f64 v[11:12], v[11:12], v21
	v_cndmask_b32_e64 v21, 0, 0xffffff80, vcc_lo
	v_rsq_f64_e32 v[31:32], v[11:12]
	v_cmp_class_f64_e64 vcc_lo, v[11:12], 0x260
	v_mul_f64 v[33:34], v[11:12], v[31:32]
	v_mul_f64 v[31:32], v[31:32], 0.5
	v_fma_f64 v[35:36], -v[31:32], v[33:34], 0.5
	v_fma_f64 v[33:34], v[33:34], v[35:36], v[33:34]
	v_fma_f64 v[31:32], v[31:32], v[35:36], v[31:32]
	v_fma_f64 v[35:36], -v[33:34], v[33:34], v[11:12]
	v_fma_f64 v[33:34], v[35:36], v[31:32], v[33:34]
	v_fma_f64 v[35:36], -v[33:34], v[33:34], v[11:12]
	v_fma_f64 v[31:32], v[35:36], v[31:32], v[33:34]
	v_ldexp_f64 v[31:32], v[31:32], v21
	v_cndmask_b32_e32 v12, v32, v12, vcc_lo
	v_cndmask_b32_e32 v11, v31, v11, vcc_lo
	v_mul_f64 v[31:32], v[9:10], v[11:12]
	s_or_b32 exec_lo, exec_lo, s70
	v_cmp_class_f64_e64 s70, v[31:32], 0x1f8
	s_and_saveexec_b32 s71, s70
	s_cbranch_execz .LBB55_35
.LBB55_40:                              ;   in Loop: Header=BB55_14 Depth=3
	s_and_saveexec_b32 s72, s8
	s_xor_b32 s8, exec_lo, s72
	s_cbranch_execz .LBB55_65
; %bb.41:                               ;   in Loop: Header=BB55_14 Depth=3
	s_mov_b32 s72, exec_lo
	v_cmpx_ge_i32_e64 v19, v23
	s_xor_b32 s72, exec_lo, s72
	s_cbranch_execz .LBB55_49
; %bb.42:                               ;   in Loop: Header=BB55_14 Depth=3
	v_lshlrev_b64 v[9:10], 4, v[23:24]
	v_add_co_u32 v11, vcc_lo, s50, v9
	v_add_co_ci_u32_e64 v12, null, s51, v10, vcc_lo
	s_andn2_b32 vcc_lo, exec_lo, s54
	global_store_dwordx4 v[11:12], v[5:8], off
	s_cbranch_vccnz .LBB55_48
; %bb.43:                               ;   in Loop: Header=BB55_14 Depth=3
	v_add_co_u32 v9, vcc_lo, s48, v9
	v_add_co_ci_u32_e64 v10, null, s49, v10, vcc_lo
	s_mov_b32 s73, exec_lo
	global_load_dwordx4 v[9:12], v[9:10], off
	s_waitcnt vmcnt(0)
	v_add_f64 v[5:6], v[9:10], -v[5:6]
	v_add_f64 v[11:12], v[11:12], -v[7:8]
                                        ; implicit-def: $vgpr9_vgpr10
	v_cmp_gt_f64_e32 vcc_lo, 0, v[5:6]
	v_xor_b32_e32 v7, 0x80000000, v6
	v_xor_b32_e32 v8, 0x80000000, v12
	v_cndmask_b32_e32 v6, v6, v7, vcc_lo
	v_cmp_gt_f64_e32 vcc_lo, 0, v[11:12]
	v_mov_b32_e32 v7, v11
	v_cndmask_b32_e32 v8, v12, v8, vcc_lo
	v_cmpx_ngt_f64_e32 v[5:6], v[7:8]
	s_xor_b32 s73, exec_lo, s73
	s_cbranch_execnz .LBB55_109
; %bb.44:                               ;   in Loop: Header=BB55_14 Depth=3
	s_andn2_saveexec_b32 s73, s73
	s_cbranch_execnz .LBB55_112
.LBB55_45:                              ;   in Loop: Header=BB55_14 Depth=3
	s_or_b32 exec_lo, exec_lo, s73
	v_cmp_class_f64_e64 s74, v[9:10], 0x1f8
	s_and_saveexec_b32 s73, s74
.LBB55_46:                              ;   in Loop: Header=BB55_14 Depth=3
	v_cmp_lt_f64_e32 vcc_lo, v[15:16], v[9:10]
	v_cndmask_b32_e32 v16, v16, v10, vcc_lo
	v_cndmask_b32_e32 v15, v15, v9, vcc_lo
.LBB55_47:                              ;   in Loop: Header=BB55_14 Depth=3
	s_or_b32 exec_lo, exec_lo, s73
.LBB55_48:                              ;   in Loop: Header=BB55_14 Depth=3
                                        ; implicit-def: $vgpr5_vgpr6
.LBB55_49:                              ;   in Loop: Header=BB55_14 Depth=3
	s_andn2_saveexec_b32 s72, s72
	s_cbranch_execz .LBB55_64
; %bb.50:                               ;   in Loop: Header=BB55_14 Depth=3
	s_mov_b32 s73, exec_lo
	v_cmpx_lt_i32_e64 v30, v52
	s_cbranch_execz .LBB55_63
; %bb.51:                               ;   in Loop: Header=BB55_14 Depth=3
	v_mov_b32_e32 v11, v30
	s_mov_b32 s74, 0
                                        ; implicit-def: $sgpr75
                                        ; implicit-def: $sgpr77
                                        ; implicit-def: $sgpr76
	s_inst_prefetch 0x1
	s_branch .LBB55_53
	.p2align	6
.LBB55_52:                              ;   in Loop: Header=BB55_53 Depth=4
	s_or_b32 exec_lo, exec_lo, s78
	s_and_b32 s78, exec_lo, s77
	s_or_b32 s74, s78, s74
	s_andn2_b32 s75, s75, exec_lo
	s_and_b32 s78, s76, exec_lo
	s_or_b32 s75, s75, s78
	s_andn2_b32 exec_lo, exec_lo, s74
	s_cbranch_execz .LBB55_55
.LBB55_53:                              ;   Parent Loop BB55_5 Depth=1
                                        ;     Parent Loop BB55_9 Depth=2
                                        ;       Parent Loop BB55_14 Depth=3
                                        ; =>      This Inner Loop Header: Depth=4
	v_add_nc_u32_e32 v9, v29, v11
	s_or_b32 s76, s76, exec_lo
	s_or_b32 s77, s77, exec_lo
	s_mov_b32 s78, exec_lo
	v_ashrrev_i32_e32 v10, 31, v9
	v_lshlrev_b64 v[31:32], 2, v[9:10]
	v_add_co_u32 v31, vcc_lo, s16, v31
	v_add_co_ci_u32_e64 v32, null, s17, v32, vcc_lo
	global_load_dword v12, v[31:32], off
	s_waitcnt vmcnt(0)
	v_subrev_nc_u32_e32 v12, s61, v12
	v_cmpx_ne_u32_e64 v12, v19
	s_cbranch_execz .LBB55_52
; %bb.54:                               ;   in Loop: Header=BB55_53 Depth=4
	v_add_nc_u32_e32 v11, 1, v11
	s_andn2_b32 s77, s77, exec_lo
	s_andn2_b32 s76, s76, exec_lo
	v_cmp_ge_i32_e32 vcc_lo, v11, v52
	s_and_b32 s79, vcc_lo, exec_lo
	s_or_b32 s77, s77, s79
	s_branch .LBB55_52
.LBB55_55:                              ;   in Loop: Header=BB55_14 Depth=3
	s_inst_prefetch 0x2
	s_or_b32 exec_lo, exec_lo, s74
	s_and_saveexec_b32 s74, s75
	s_xor_b32 s74, exec_lo, s74
	s_cbranch_execz .LBB55_62
; %bb.56:                               ;   in Loop: Header=BB55_14 Depth=3
	v_lshlrev_b64 v[9:10], 4, v[9:10]
	v_add_co_u32 v11, vcc_lo, s10, v9
	v_add_co_ci_u32_e64 v12, null, s11, v10, vcc_lo
	s_andn2_b32 vcc_lo, exec_lo, s54
	global_store_dwordx4 v[11:12], v[5:8], off
	s_cbranch_vccnz .LBB55_62
; %bb.57:                               ;   in Loop: Header=BB55_14 Depth=3
	v_add_co_u32 v9, vcc_lo, s18, v9
	v_add_co_ci_u32_e64 v10, null, s19, v10, vcc_lo
	s_mov_b32 s75, exec_lo
	global_load_dwordx4 v[9:12], v[9:10], off
	s_waitcnt vmcnt(0)
	v_add_f64 v[5:6], v[9:10], -v[5:6]
	v_add_f64 v[11:12], v[11:12], -v[7:8]
                                        ; implicit-def: $vgpr9_vgpr10
	v_cmp_gt_f64_e32 vcc_lo, 0, v[5:6]
	v_xor_b32_e32 v7, 0x80000000, v6
	v_xor_b32_e32 v8, 0x80000000, v12
	v_cndmask_b32_e32 v6, v6, v7, vcc_lo
	v_cmp_gt_f64_e32 vcc_lo, 0, v[11:12]
	v_mov_b32_e32 v7, v11
	v_cndmask_b32_e32 v8, v12, v8, vcc_lo
	v_cmpx_ngt_f64_e32 v[5:6], v[7:8]
	s_xor_b32 s75, exec_lo, s75
	s_cbranch_execnz .LBB55_117
; %bb.58:                               ;   in Loop: Header=BB55_14 Depth=3
	s_andn2_saveexec_b32 s75, s75
	s_cbranch_execnz .LBB55_120
.LBB55_59:                              ;   in Loop: Header=BB55_14 Depth=3
	s_or_b32 exec_lo, exec_lo, s75
	v_cmp_class_f64_e64 s76, v[9:10], 0x1f8
	s_and_saveexec_b32 s75, s76
.LBB55_60:                              ;   in Loop: Header=BB55_14 Depth=3
	v_cmp_lt_f64_e32 vcc_lo, v[15:16], v[9:10]
	v_cndmask_b32_e32 v16, v16, v10, vcc_lo
	v_cndmask_b32_e32 v15, v15, v9, vcc_lo
.LBB55_61:                              ;   in Loop: Header=BB55_14 Depth=3
	s_or_b32 exec_lo, exec_lo, s75
.LBB55_62:                              ;   in Loop: Header=BB55_14 Depth=3
	s_or_b32 exec_lo, exec_lo, s74
.LBB55_63:                              ;   in Loop: Header=BB55_14 Depth=3
	s_or_b32 exec_lo, exec_lo, s73
.LBB55_64:                              ;   in Loop: Header=BB55_14 Depth=3
	s_or_b32 exec_lo, exec_lo, s72
                                        ; implicit-def: $vgpr5_vgpr6
.LBB55_65:                              ;   in Loop: Header=BB55_14 Depth=3
	s_andn2_saveexec_b32 s8, s8
	s_cbranch_execz .LBB55_80
; %bb.66:                               ;   in Loop: Header=BB55_14 Depth=3
	s_mov_b32 s72, exec_lo
	v_cmpx_lt_i32_e64 v17, v47
	s_cbranch_execz .LBB55_79
; %bb.67:                               ;   in Loop: Header=BB55_14 Depth=3
	v_mov_b32_e32 v11, v17
	s_mov_b32 s73, 0
                                        ; implicit-def: $sgpr74
                                        ; implicit-def: $sgpr76
                                        ; implicit-def: $sgpr75
	s_inst_prefetch 0x1
	s_branch .LBB55_69
	.p2align	6
.LBB55_68:                              ;   in Loop: Header=BB55_69 Depth=4
	s_or_b32 exec_lo, exec_lo, s77
	s_and_b32 s77, exec_lo, s76
	s_or_b32 s73, s77, s73
	s_andn2_b32 s74, s74, exec_lo
	s_and_b32 s77, s75, exec_lo
	s_or_b32 s74, s74, s77
	s_andn2_b32 exec_lo, exec_lo, s73
	s_cbranch_execz .LBB55_71
.LBB55_69:                              ;   Parent Loop BB55_5 Depth=1
                                        ;     Parent Loop BB55_9 Depth=2
                                        ;       Parent Loop BB55_14 Depth=3
                                        ; =>      This Inner Loop Header: Depth=4
	v_add_nc_u32_e32 v9, v22, v11
	s_or_b32 s75, s75, exec_lo
	s_or_b32 s76, s76, exec_lo
	s_mov_b32 s77, exec_lo
	v_ashrrev_i32_e32 v10, 31, v9
	v_lshlrev_b64 v[31:32], 2, v[9:10]
	v_add_co_u32 v31, vcc_lo, s24, v31
	v_add_co_ci_u32_e64 v32, null, s25, v32, vcc_lo
	global_load_dword v12, v[31:32], off
	s_waitcnt vmcnt(0)
	v_subrev_nc_u32_e32 v12, s60, v12
	v_cmpx_ne_u32_e64 v12, v23
	s_cbranch_execz .LBB55_68
; %bb.70:                               ;   in Loop: Header=BB55_69 Depth=4
	v_add_nc_u32_e32 v11, 1, v11
	s_andn2_b32 s76, s76, exec_lo
	s_andn2_b32 s75, s75, exec_lo
	v_cmp_ge_i32_e32 vcc_lo, v11, v47
	s_and_b32 s78, vcc_lo, exec_lo
	s_or_b32 s76, s76, s78
	s_branch .LBB55_68
.LBB55_71:                              ;   in Loop: Header=BB55_14 Depth=3
	s_inst_prefetch 0x2
	s_or_b32 exec_lo, exec_lo, s73
	s_and_saveexec_b32 s73, s74
	s_xor_b32 s73, exec_lo, s73
	s_cbranch_execz .LBB55_78
; %bb.72:                               ;   in Loop: Header=BB55_14 Depth=3
	v_lshlrev_b64 v[9:10], 4, v[9:10]
	v_add_co_u32 v11, vcc_lo, s34, v9
	v_add_co_ci_u32_e64 v12, null, s35, v10, vcc_lo
	s_andn2_b32 vcc_lo, exec_lo, s54
	global_store_dwordx4 v[11:12], v[5:8], off
	s_cbranch_vccnz .LBB55_78
; %bb.73:                               ;   in Loop: Header=BB55_14 Depth=3
	v_add_co_u32 v9, vcc_lo, s26, v9
	v_add_co_ci_u32_e64 v10, null, s27, v10, vcc_lo
	s_mov_b32 s74, exec_lo
	global_load_dwordx4 v[9:12], v[9:10], off
	s_waitcnt vmcnt(0)
	v_add_f64 v[5:6], v[9:10], -v[5:6]
	v_add_f64 v[11:12], v[11:12], -v[7:8]
                                        ; implicit-def: $vgpr9_vgpr10
	v_cmp_gt_f64_e32 vcc_lo, 0, v[5:6]
	v_xor_b32_e32 v7, 0x80000000, v6
	v_xor_b32_e32 v8, 0x80000000, v12
	v_cndmask_b32_e32 v6, v6, v7, vcc_lo
	v_cmp_gt_f64_e32 vcc_lo, 0, v[11:12]
	v_mov_b32_e32 v7, v11
	v_cndmask_b32_e32 v8, v12, v8, vcc_lo
	v_cmpx_ngt_f64_e32 v[5:6], v[7:8]
	s_xor_b32 s74, exec_lo, s74
	s_cbranch_execnz .LBB55_113
; %bb.74:                               ;   in Loop: Header=BB55_14 Depth=3
	s_andn2_saveexec_b32 s74, s74
	s_cbranch_execnz .LBB55_116
.LBB55_75:                              ;   in Loop: Header=BB55_14 Depth=3
	s_or_b32 exec_lo, exec_lo, s74
	v_cmp_class_f64_e64 s75, v[9:10], 0x1f8
	s_and_saveexec_b32 s74, s75
.LBB55_76:                              ;   in Loop: Header=BB55_14 Depth=3
	v_cmp_lt_f64_e32 vcc_lo, v[15:16], v[9:10]
	v_cndmask_b32_e32 v16, v16, v10, vcc_lo
	v_cndmask_b32_e32 v15, v15, v9, vcc_lo
.LBB55_77:                              ;   in Loop: Header=BB55_14 Depth=3
	s_or_b32 exec_lo, exec_lo, s74
.LBB55_78:                              ;   in Loop: Header=BB55_14 Depth=3
	s_or_b32 exec_lo, exec_lo, s73
.LBB55_79:                              ;   in Loop: Header=BB55_14 Depth=3
	s_or_b32 exec_lo, exec_lo, s72
.LBB55_80:                              ;   in Loop: Header=BB55_14 Depth=3
	s_or_b32 exec_lo, exec_lo, s8
	s_or_b32 exec_lo, exec_lo, s71
	s_and_b32 s70, s33, s70
	s_and_saveexec_b32 s8, s70
	s_cbranch_execz .LBB55_13
.LBB55_81:                              ;   in Loop: Header=BB55_14 Depth=3
	s_mov_b32 s70, exec_lo
	v_cmpx_ge_i32_e64 v30, v52
	s_xor_b32 s70, exec_lo, s70
	s_cbranch_execnz .LBB55_88
; %bb.82:                               ;   in Loop: Header=BB55_14 Depth=3
	s_andn2_saveexec_b32 s70, s70
	s_cbranch_execnz .LBB55_102
.LBB55_83:                              ;   in Loop: Header=BB55_14 Depth=3
	s_or_b32 exec_lo, exec_lo, s70
	s_mov_b32 s70, exec_lo
	v_cmpx_eq_u32_e64 v19, v23
	s_cbranch_execz .LBB55_85
.LBB55_84:                              ;   in Loop: Header=BB55_14 Depth=3
	v_lshlrev_b64 v[5:6], 4, v[23:24]
	v_add_co_u32 v5, vcc_lo, s48, v5
	v_add_co_ci_u32_e64 v6, null, s49, v6, vcc_lo
	global_load_dwordx4 v[5:8], v[5:6], off
	s_waitcnt vmcnt(0)
	v_add_f64 v[25:26], v[25:26], v[5:6]
	v_add_f64 v[27:28], v[27:28], v[7:8]
.LBB55_85:                              ;   in Loop: Header=BB55_14 Depth=3
	s_or_b32 exec_lo, exec_lo, s70
	v_add_f64 v[1:2], v[1:2], -v[25:26]
	v_add_f64 v[7:8], v[3:4], -v[27:28]
	s_mov_b32 s70, exec_lo
                                        ; implicit-def: $vgpr5_vgpr6
	v_cmp_gt_f64_e32 vcc_lo, 0, v[1:2]
	v_xor_b32_e32 v3, 0x80000000, v2
	v_xor_b32_e32 v4, 0x80000000, v8
	v_cndmask_b32_e32 v2, v2, v3, vcc_lo
	v_cmp_gt_f64_e32 vcc_lo, 0, v[7:8]
	v_mov_b32_e32 v3, v7
	v_cndmask_b32_e32 v4, v8, v4, vcc_lo
	v_cmpx_ngt_f64_e32 v[1:2], v[3:4]
	s_xor_b32 s70, exec_lo, s70
	s_cbranch_execnz .LBB55_93
; %bb.86:                               ;   in Loop: Header=BB55_14 Depth=3
	s_andn2_saveexec_b32 s70, s70
	s_cbranch_execnz .LBB55_96
.LBB55_87:                              ;   in Loop: Header=BB55_14 Depth=3
	s_or_b32 exec_lo, exec_lo, s70
	v_cmp_class_f64_e64 s71, v[5:6], 0x1f8
	s_and_saveexec_b32 s70, s71
	s_cbranch_execz .LBB55_12
	s_branch .LBB55_97
.LBB55_88:                              ;   in Loop: Header=BB55_14 Depth=3
	s_mov_b32 s71, exec_lo
	v_cmpx_lt_i32_e64 v17, v47
	s_cbranch_execz .LBB55_101
; %bb.89:                               ;   in Loop: Header=BB55_14 Depth=3
	s_mov_b32 s73, 0
                                        ; implicit-def: $sgpr72
                                        ; implicit-def: $sgpr75
                                        ; implicit-def: $sgpr74
	s_inst_prefetch 0x1
	s_branch .LBB55_91
	.p2align	6
.LBB55_90:                              ;   in Loop: Header=BB55_91 Depth=4
	s_or_b32 exec_lo, exec_lo, s76
	s_and_b32 s76, exec_lo, s75
	s_or_b32 s73, s76, s73
	s_andn2_b32 s72, s72, exec_lo
	s_and_b32 s76, s74, exec_lo
	s_or_b32 s72, s72, s76
	s_andn2_b32 exec_lo, exec_lo, s73
	s_cbranch_execz .LBB55_98
.LBB55_91:                              ;   Parent Loop BB55_5 Depth=1
                                        ;     Parent Loop BB55_9 Depth=2
                                        ;       Parent Loop BB55_14 Depth=3
                                        ; =>      This Inner Loop Header: Depth=4
	v_add_nc_u32_e32 v5, v22, v17
	s_or_b32 s74, s74, exec_lo
	s_or_b32 s75, s75, exec_lo
	s_mov_b32 s76, exec_lo
	v_ashrrev_i32_e32 v6, 31, v5
	v_lshlrev_b64 v[7:8], 2, v[5:6]
	v_add_co_u32 v7, vcc_lo, s24, v7
	v_add_co_ci_u32_e64 v8, null, s25, v8, vcc_lo
	global_load_dword v7, v[7:8], off
	s_waitcnt vmcnt(0)
	v_subrev_nc_u32_e32 v7, s60, v7
	v_cmpx_ne_u32_e64 v7, v23
	s_cbranch_execz .LBB55_90
; %bb.92:                               ;   in Loop: Header=BB55_91 Depth=4
	v_add_nc_u32_e32 v17, 1, v17
	s_andn2_b32 s75, s75, exec_lo
	s_andn2_b32 s74, s74, exec_lo
	v_cmp_ge_i32_e32 vcc_lo, v17, v47
	s_and_b32 s77, vcc_lo, exec_lo
	s_or_b32 s75, s75, s77
	s_branch .LBB55_90
.LBB55_93:                              ;   in Loop: Header=BB55_14 Depth=3
	v_mov_b32_e32 v5, 0
	v_mov_b32_e32 v6, 0
	s_mov_b32 s71, exec_lo
	v_cmpx_neq_f64_e32 0, v[7:8]
	s_cbranch_execz .LBB55_95
; %bb.94:                               ;   in Loop: Header=BB55_14 Depth=3
	v_div_scale_f64 v[5:6], null, v[3:4], v[3:4], v[1:2]
	v_div_scale_f64 v[11:12], vcc_lo, v[1:2], v[3:4], v[1:2]
	v_rcp_f64_e32 v[7:8], v[5:6]
	v_fma_f64 v[9:10], -v[5:6], v[7:8], 1.0
	v_fma_f64 v[7:8], v[7:8], v[9:10], v[7:8]
	v_fma_f64 v[9:10], -v[5:6], v[7:8], 1.0
	v_fma_f64 v[7:8], v[7:8], v[9:10], v[7:8]
	v_mul_f64 v[9:10], v[11:12], v[7:8]
	v_fma_f64 v[5:6], -v[5:6], v[9:10], v[11:12]
	v_div_fmas_f64 v[5:6], v[5:6], v[7:8], v[9:10]
	v_div_fixup_f64 v[1:2], v[5:6], v[3:4], v[1:2]
	v_fma_f64 v[1:2], v[1:2], v[1:2], 1.0
	v_cmp_gt_f64_e32 vcc_lo, 0x10000000, v[1:2]
	v_cndmask_b32_e64 v5, 0, 0x100, vcc_lo
	v_ldexp_f64 v[1:2], v[1:2], v5
	v_rsq_f64_e32 v[5:6], v[1:2]
	v_mul_f64 v[7:8], v[1:2], v[5:6]
	v_mul_f64 v[5:6], v[5:6], 0.5
	v_fma_f64 v[9:10], -v[5:6], v[7:8], 0.5
	v_fma_f64 v[7:8], v[7:8], v[9:10], v[7:8]
	v_fma_f64 v[5:6], v[5:6], v[9:10], v[5:6]
	v_fma_f64 v[9:10], -v[7:8], v[7:8], v[1:2]
	v_fma_f64 v[7:8], v[9:10], v[5:6], v[7:8]
	v_fma_f64 v[9:10], -v[7:8], v[7:8], v[1:2]
	v_fma_f64 v[5:6], v[9:10], v[5:6], v[7:8]
	v_cndmask_b32_e64 v7, 0, 0xffffff80, vcc_lo
	v_cmp_class_f64_e64 vcc_lo, v[1:2], 0x260
	v_ldexp_f64 v[5:6], v[5:6], v7
	v_cndmask_b32_e32 v2, v6, v2, vcc_lo
	v_cndmask_b32_e32 v1, v5, v1, vcc_lo
	v_mul_f64 v[5:6], v[3:4], v[1:2]
.LBB55_95:                              ;   in Loop: Header=BB55_14 Depth=3
	s_or_b32 exec_lo, exec_lo, s71
                                        ; implicit-def: $vgpr1_vgpr2
                                        ; implicit-def: $vgpr3_vgpr4
	s_andn2_saveexec_b32 s70, s70
	s_cbranch_execz .LBB55_87
.LBB55_96:                              ;   in Loop: Header=BB55_14 Depth=3
	v_div_scale_f64 v[5:6], null, v[1:2], v[1:2], v[3:4]
	v_div_scale_f64 v[11:12], vcc_lo, v[3:4], v[1:2], v[3:4]
	v_rcp_f64_e32 v[7:8], v[5:6]
	v_fma_f64 v[9:10], -v[5:6], v[7:8], 1.0
	v_fma_f64 v[7:8], v[7:8], v[9:10], v[7:8]
	v_fma_f64 v[9:10], -v[5:6], v[7:8], 1.0
	v_fma_f64 v[7:8], v[7:8], v[9:10], v[7:8]
	v_mul_f64 v[9:10], v[11:12], v[7:8]
	v_fma_f64 v[5:6], -v[5:6], v[9:10], v[11:12]
	v_div_fmas_f64 v[5:6], v[5:6], v[7:8], v[9:10]
	v_div_fixup_f64 v[3:4], v[5:6], v[1:2], v[3:4]
	v_fma_f64 v[3:4], v[3:4], v[3:4], 1.0
	v_cmp_gt_f64_e32 vcc_lo, 0x10000000, v[3:4]
	v_cndmask_b32_e64 v5, 0, 0x100, vcc_lo
	v_ldexp_f64 v[3:4], v[3:4], v5
	v_rsq_f64_e32 v[5:6], v[3:4]
	v_mul_f64 v[7:8], v[3:4], v[5:6]
	v_mul_f64 v[5:6], v[5:6], 0.5
	v_fma_f64 v[9:10], -v[5:6], v[7:8], 0.5
	v_fma_f64 v[7:8], v[7:8], v[9:10], v[7:8]
	v_fma_f64 v[5:6], v[5:6], v[9:10], v[5:6]
	v_fma_f64 v[9:10], -v[7:8], v[7:8], v[3:4]
	v_fma_f64 v[7:8], v[9:10], v[5:6], v[7:8]
	v_fma_f64 v[9:10], -v[7:8], v[7:8], v[3:4]
	v_fma_f64 v[5:6], v[9:10], v[5:6], v[7:8]
	v_cndmask_b32_e64 v7, 0, 0xffffff80, vcc_lo
	v_cmp_class_f64_e64 vcc_lo, v[3:4], 0x260
	v_ldexp_f64 v[5:6], v[5:6], v7
	v_cndmask_b32_e32 v4, v6, v4, vcc_lo
	v_cndmask_b32_e32 v3, v5, v3, vcc_lo
	v_mul_f64 v[5:6], v[1:2], v[3:4]
	s_or_b32 exec_lo, exec_lo, s70
	v_cmp_class_f64_e64 s71, v[5:6], 0x1f8
	s_and_saveexec_b32 s70, s71
	s_cbranch_execz .LBB55_12
.LBB55_97:                              ;   in Loop: Header=BB55_14 Depth=3
	v_cmp_lt_f64_e32 vcc_lo, v[13:14], v[5:6]
	v_cndmask_b32_e32 v14, v14, v6, vcc_lo
	v_cndmask_b32_e32 v13, v13, v5, vcc_lo
	s_branch .LBB55_12
.LBB55_98:                              ;   in Loop: Header=BB55_14 Depth=3
	s_inst_prefetch 0x2
	s_or_b32 exec_lo, exec_lo, s73
	s_and_saveexec_b32 s73, s72
	s_xor_b32 s72, exec_lo, s73
	s_cbranch_execz .LBB55_100
; %bb.99:                               ;   in Loop: Header=BB55_14 Depth=3
	v_lshlrev_b64 v[7:8], 4, v[23:24]
	v_lshlrev_b64 v[5:6], 4, v[5:6]
	v_add_co_u32 v7, vcc_lo, s48, v7
	v_add_co_ci_u32_e64 v8, null, s49, v8, vcc_lo
	v_add_co_u32 v9, vcc_lo, s26, v5
	v_add_co_ci_u32_e64 v10, null, s27, v6, vcc_lo
	global_load_dwordx4 v[5:8], v[7:8], off
	global_load_dwordx4 v[9:12], v[9:10], off
	s_waitcnt vmcnt(0)
	v_mul_f64 v[29:30], v[7:8], -v[11:12]
	v_mul_f64 v[7:8], v[7:8], v[9:10]
	v_fma_f64 v[9:10], v[9:10], v[5:6], v[29:30]
	v_fma_f64 v[5:6], v[11:12], v[5:6], v[7:8]
	v_add_f64 v[25:26], v[25:26], v[9:10]
	v_add_f64 v[27:28], v[27:28], v[5:6]
.LBB55_100:                             ;   in Loop: Header=BB55_14 Depth=3
	s_or_b32 exec_lo, exec_lo, s72
.LBB55_101:                             ;   in Loop: Header=BB55_14 Depth=3
	s_or_b32 exec_lo, exec_lo, s71
                                        ; implicit-def: $vgpr30
                                        ; implicit-def: $vgpr29
                                        ; implicit-def: $vgpr52
	s_andn2_saveexec_b32 s70, s70
	s_cbranch_execz .LBB55_83
.LBB55_102:                             ;   in Loop: Header=BB55_14 Depth=3
	s_mov_b32 s72, 0
                                        ; implicit-def: $sgpr71
                                        ; implicit-def: $sgpr74
                                        ; implicit-def: $sgpr73
	s_inst_prefetch 0x1
	s_branch .LBB55_104
	.p2align	6
.LBB55_103:                             ;   in Loop: Header=BB55_104 Depth=4
	s_or_b32 exec_lo, exec_lo, s75
	s_and_b32 s75, exec_lo, s74
	s_or_b32 s72, s75, s72
	s_andn2_b32 s71, s71, exec_lo
	s_and_b32 s75, s73, exec_lo
	s_or_b32 s71, s71, s75
	s_andn2_b32 exec_lo, exec_lo, s72
	s_cbranch_execz .LBB55_106
.LBB55_104:                             ;   Parent Loop BB55_5 Depth=1
                                        ;     Parent Loop BB55_9 Depth=2
                                        ;       Parent Loop BB55_14 Depth=3
                                        ; =>      This Inner Loop Header: Depth=4
	v_add_nc_u32_e32 v5, v29, v30
	s_or_b32 s73, s73, exec_lo
	s_or_b32 s74, s74, exec_lo
	s_mov_b32 s75, exec_lo
	v_ashrrev_i32_e32 v6, 31, v5
	v_lshlrev_b64 v[7:8], 2, v[5:6]
	v_add_co_u32 v7, vcc_lo, s16, v7
	v_add_co_ci_u32_e64 v8, null, s17, v8, vcc_lo
	global_load_dword v7, v[7:8], off
	s_waitcnt vmcnt(0)
	v_subrev_nc_u32_e32 v7, s61, v7
	v_cmpx_ne_u32_e64 v7, v19
	s_cbranch_execz .LBB55_103
; %bb.105:                              ;   in Loop: Header=BB55_104 Depth=4
	v_add_nc_u32_e32 v30, 1, v30
	s_andn2_b32 s74, s74, exec_lo
	s_andn2_b32 s73, s73, exec_lo
	v_cmp_ge_i32_e32 vcc_lo, v30, v52
	s_and_b32 s76, vcc_lo, exec_lo
	s_or_b32 s74, s74, s76
	s_branch .LBB55_103
.LBB55_106:                             ;   in Loop: Header=BB55_14 Depth=3
	s_inst_prefetch 0x2
	s_or_b32 exec_lo, exec_lo, s72
	s_and_saveexec_b32 s72, s71
	s_xor_b32 s71, exec_lo, s72
	s_cbranch_execz .LBB55_108
; %bb.107:                              ;   in Loop: Header=BB55_14 Depth=3
	v_lshlrev_b64 v[5:6], 4, v[5:6]
	v_add_co_u32 v5, vcc_lo, s18, v5
	v_add_co_ci_u32_e64 v6, null, s19, v6, vcc_lo
	global_load_dwordx4 v[5:8], v[5:6], off
	s_waitcnt vmcnt(0)
	v_add_f64 v[25:26], v[25:26], v[5:6]
	v_add_f64 v[27:28], v[27:28], v[7:8]
.LBB55_108:                             ;   in Loop: Header=BB55_14 Depth=3
	s_or_b32 exec_lo, exec_lo, s71
	s_or_b32 exec_lo, exec_lo, s70
	s_mov_b32 s70, exec_lo
	v_cmpx_eq_u32_e64 v19, v23
	s_cbranch_execnz .LBB55_84
	s_branch .LBB55_85
.LBB55_109:                             ;   in Loop: Header=BB55_14 Depth=3
	v_mov_b32_e32 v9, 0
	v_mov_b32_e32 v10, 0
	s_mov_b32 s74, exec_lo
	v_cmpx_neq_f64_e32 0, v[11:12]
	s_cbranch_execz .LBB55_111
; %bb.110:                              ;   in Loop: Header=BB55_14 Depth=3
	v_div_scale_f64 v[9:10], null, v[7:8], v[7:8], v[5:6]
	v_div_scale_f64 v[33:34], vcc_lo, v[5:6], v[7:8], v[5:6]
	v_rcp_f64_e32 v[11:12], v[9:10]
	v_fma_f64 v[31:32], -v[9:10], v[11:12], 1.0
	v_fma_f64 v[11:12], v[11:12], v[31:32], v[11:12]
	v_fma_f64 v[31:32], -v[9:10], v[11:12], 1.0
	v_fma_f64 v[11:12], v[11:12], v[31:32], v[11:12]
	v_mul_f64 v[31:32], v[33:34], v[11:12]
	v_fma_f64 v[9:10], -v[9:10], v[31:32], v[33:34]
	v_div_fmas_f64 v[9:10], v[9:10], v[11:12], v[31:32]
	v_div_fixup_f64 v[5:6], v[9:10], v[7:8], v[5:6]
	v_fma_f64 v[5:6], v[5:6], v[5:6], 1.0
	v_cmp_gt_f64_e32 vcc_lo, 0x10000000, v[5:6]
	v_cndmask_b32_e64 v9, 0, 0x100, vcc_lo
	v_ldexp_f64 v[5:6], v[5:6], v9
	v_rsq_f64_e32 v[9:10], v[5:6]
	v_mul_f64 v[11:12], v[5:6], v[9:10]
	v_mul_f64 v[9:10], v[9:10], 0.5
	v_fma_f64 v[31:32], -v[9:10], v[11:12], 0.5
	v_fma_f64 v[11:12], v[11:12], v[31:32], v[11:12]
	v_fma_f64 v[9:10], v[9:10], v[31:32], v[9:10]
	v_fma_f64 v[31:32], -v[11:12], v[11:12], v[5:6]
	v_fma_f64 v[11:12], v[31:32], v[9:10], v[11:12]
	v_fma_f64 v[31:32], -v[11:12], v[11:12], v[5:6]
	v_fma_f64 v[9:10], v[31:32], v[9:10], v[11:12]
	v_cndmask_b32_e64 v11, 0, 0xffffff80, vcc_lo
	v_cmp_class_f64_e64 vcc_lo, v[5:6], 0x260
	v_ldexp_f64 v[9:10], v[9:10], v11
	v_cndmask_b32_e32 v6, v10, v6, vcc_lo
	v_cndmask_b32_e32 v5, v9, v5, vcc_lo
	v_mul_f64 v[9:10], v[7:8], v[5:6]
.LBB55_111:                             ;   in Loop: Header=BB55_14 Depth=3
	s_or_b32 exec_lo, exec_lo, s74
                                        ; implicit-def: $vgpr5_vgpr6
                                        ; implicit-def: $vgpr7_vgpr8
	s_andn2_saveexec_b32 s73, s73
	s_cbranch_execz .LBB55_45
.LBB55_112:                             ;   in Loop: Header=BB55_14 Depth=3
	v_div_scale_f64 v[9:10], null, v[5:6], v[5:6], v[7:8]
	v_div_scale_f64 v[33:34], vcc_lo, v[7:8], v[5:6], v[7:8]
	v_rcp_f64_e32 v[11:12], v[9:10]
	v_fma_f64 v[31:32], -v[9:10], v[11:12], 1.0
	v_fma_f64 v[11:12], v[11:12], v[31:32], v[11:12]
	v_fma_f64 v[31:32], -v[9:10], v[11:12], 1.0
	v_fma_f64 v[11:12], v[11:12], v[31:32], v[11:12]
	v_mul_f64 v[31:32], v[33:34], v[11:12]
	v_fma_f64 v[9:10], -v[9:10], v[31:32], v[33:34]
	v_div_fmas_f64 v[9:10], v[9:10], v[11:12], v[31:32]
	v_div_fixup_f64 v[7:8], v[9:10], v[5:6], v[7:8]
	v_fma_f64 v[7:8], v[7:8], v[7:8], 1.0
	v_cmp_gt_f64_e32 vcc_lo, 0x10000000, v[7:8]
	v_cndmask_b32_e64 v9, 0, 0x100, vcc_lo
	v_ldexp_f64 v[7:8], v[7:8], v9
	v_rsq_f64_e32 v[9:10], v[7:8]
	v_mul_f64 v[11:12], v[7:8], v[9:10]
	v_mul_f64 v[9:10], v[9:10], 0.5
	v_fma_f64 v[31:32], -v[9:10], v[11:12], 0.5
	v_fma_f64 v[11:12], v[11:12], v[31:32], v[11:12]
	v_fma_f64 v[9:10], v[9:10], v[31:32], v[9:10]
	v_fma_f64 v[31:32], -v[11:12], v[11:12], v[7:8]
	v_fma_f64 v[11:12], v[31:32], v[9:10], v[11:12]
	v_fma_f64 v[31:32], -v[11:12], v[11:12], v[7:8]
	v_fma_f64 v[9:10], v[31:32], v[9:10], v[11:12]
	v_cndmask_b32_e64 v11, 0, 0xffffff80, vcc_lo
	v_cmp_class_f64_e64 vcc_lo, v[7:8], 0x260
	v_ldexp_f64 v[9:10], v[9:10], v11
	v_cndmask_b32_e32 v8, v10, v8, vcc_lo
	v_cndmask_b32_e32 v7, v9, v7, vcc_lo
	v_mul_f64 v[9:10], v[5:6], v[7:8]
	s_or_b32 exec_lo, exec_lo, s73
	v_cmp_class_f64_e64 s74, v[9:10], 0x1f8
	s_and_saveexec_b32 s73, s74
	s_cbranch_execnz .LBB55_46
	s_branch .LBB55_47
.LBB55_113:                             ;   in Loop: Header=BB55_14 Depth=3
	v_mov_b32_e32 v9, 0
	v_mov_b32_e32 v10, 0
	s_mov_b32 s75, exec_lo
	v_cmpx_neq_f64_e32 0, v[11:12]
	s_cbranch_execz .LBB55_115
; %bb.114:                              ;   in Loop: Header=BB55_14 Depth=3
	v_div_scale_f64 v[9:10], null, v[7:8], v[7:8], v[5:6]
	v_div_scale_f64 v[33:34], vcc_lo, v[5:6], v[7:8], v[5:6]
	v_rcp_f64_e32 v[11:12], v[9:10]
	v_fma_f64 v[31:32], -v[9:10], v[11:12], 1.0
	v_fma_f64 v[11:12], v[11:12], v[31:32], v[11:12]
	v_fma_f64 v[31:32], -v[9:10], v[11:12], 1.0
	v_fma_f64 v[11:12], v[11:12], v[31:32], v[11:12]
	v_mul_f64 v[31:32], v[33:34], v[11:12]
	v_fma_f64 v[9:10], -v[9:10], v[31:32], v[33:34]
	v_div_fmas_f64 v[9:10], v[9:10], v[11:12], v[31:32]
	v_div_fixup_f64 v[5:6], v[9:10], v[7:8], v[5:6]
	v_fma_f64 v[5:6], v[5:6], v[5:6], 1.0
	v_cmp_gt_f64_e32 vcc_lo, 0x10000000, v[5:6]
	v_cndmask_b32_e64 v9, 0, 0x100, vcc_lo
	v_ldexp_f64 v[5:6], v[5:6], v9
	v_rsq_f64_e32 v[9:10], v[5:6]
	v_mul_f64 v[11:12], v[5:6], v[9:10]
	v_mul_f64 v[9:10], v[9:10], 0.5
	v_fma_f64 v[31:32], -v[9:10], v[11:12], 0.5
	v_fma_f64 v[11:12], v[11:12], v[31:32], v[11:12]
	v_fma_f64 v[9:10], v[9:10], v[31:32], v[9:10]
	v_fma_f64 v[31:32], -v[11:12], v[11:12], v[5:6]
	v_fma_f64 v[11:12], v[31:32], v[9:10], v[11:12]
	v_fma_f64 v[31:32], -v[11:12], v[11:12], v[5:6]
	v_fma_f64 v[9:10], v[31:32], v[9:10], v[11:12]
	v_cndmask_b32_e64 v11, 0, 0xffffff80, vcc_lo
	v_cmp_class_f64_e64 vcc_lo, v[5:6], 0x260
	v_ldexp_f64 v[9:10], v[9:10], v11
	v_cndmask_b32_e32 v6, v10, v6, vcc_lo
	v_cndmask_b32_e32 v5, v9, v5, vcc_lo
	v_mul_f64 v[9:10], v[7:8], v[5:6]
.LBB55_115:                             ;   in Loop: Header=BB55_14 Depth=3
	s_or_b32 exec_lo, exec_lo, s75
                                        ; implicit-def: $vgpr5_vgpr6
                                        ; implicit-def: $vgpr7_vgpr8
	s_andn2_saveexec_b32 s74, s74
	s_cbranch_execz .LBB55_75
.LBB55_116:                             ;   in Loop: Header=BB55_14 Depth=3
	v_div_scale_f64 v[9:10], null, v[5:6], v[5:6], v[7:8]
	v_div_scale_f64 v[33:34], vcc_lo, v[7:8], v[5:6], v[7:8]
	v_rcp_f64_e32 v[11:12], v[9:10]
	v_fma_f64 v[31:32], -v[9:10], v[11:12], 1.0
	v_fma_f64 v[11:12], v[11:12], v[31:32], v[11:12]
	v_fma_f64 v[31:32], -v[9:10], v[11:12], 1.0
	v_fma_f64 v[11:12], v[11:12], v[31:32], v[11:12]
	v_mul_f64 v[31:32], v[33:34], v[11:12]
	v_fma_f64 v[9:10], -v[9:10], v[31:32], v[33:34]
	v_div_fmas_f64 v[9:10], v[9:10], v[11:12], v[31:32]
	v_div_fixup_f64 v[7:8], v[9:10], v[5:6], v[7:8]
	v_fma_f64 v[7:8], v[7:8], v[7:8], 1.0
	v_cmp_gt_f64_e32 vcc_lo, 0x10000000, v[7:8]
	v_cndmask_b32_e64 v9, 0, 0x100, vcc_lo
	v_ldexp_f64 v[7:8], v[7:8], v9
	v_rsq_f64_e32 v[9:10], v[7:8]
	v_mul_f64 v[11:12], v[7:8], v[9:10]
	v_mul_f64 v[9:10], v[9:10], 0.5
	v_fma_f64 v[31:32], -v[9:10], v[11:12], 0.5
	v_fma_f64 v[11:12], v[11:12], v[31:32], v[11:12]
	v_fma_f64 v[9:10], v[9:10], v[31:32], v[9:10]
	v_fma_f64 v[31:32], -v[11:12], v[11:12], v[7:8]
	v_fma_f64 v[11:12], v[31:32], v[9:10], v[11:12]
	v_fma_f64 v[31:32], -v[11:12], v[11:12], v[7:8]
	v_fma_f64 v[9:10], v[31:32], v[9:10], v[11:12]
	v_cndmask_b32_e64 v11, 0, 0xffffff80, vcc_lo
	v_cmp_class_f64_e64 vcc_lo, v[7:8], 0x260
	v_ldexp_f64 v[9:10], v[9:10], v11
	v_cndmask_b32_e32 v8, v10, v8, vcc_lo
	v_cndmask_b32_e32 v7, v9, v7, vcc_lo
	v_mul_f64 v[9:10], v[5:6], v[7:8]
	s_or_b32 exec_lo, exec_lo, s74
	v_cmp_class_f64_e64 s75, v[9:10], 0x1f8
	s_and_saveexec_b32 s74, s75
	s_cbranch_execnz .LBB55_76
	s_branch .LBB55_77
.LBB55_117:                             ;   in Loop: Header=BB55_14 Depth=3
	v_mov_b32_e32 v9, 0
	v_mov_b32_e32 v10, 0
	s_mov_b32 s76, exec_lo
	v_cmpx_neq_f64_e32 0, v[11:12]
	s_cbranch_execz .LBB55_119
; %bb.118:                              ;   in Loop: Header=BB55_14 Depth=3
	v_div_scale_f64 v[9:10], null, v[7:8], v[7:8], v[5:6]
	v_div_scale_f64 v[33:34], vcc_lo, v[5:6], v[7:8], v[5:6]
	v_rcp_f64_e32 v[11:12], v[9:10]
	v_fma_f64 v[31:32], -v[9:10], v[11:12], 1.0
	v_fma_f64 v[11:12], v[11:12], v[31:32], v[11:12]
	v_fma_f64 v[31:32], -v[9:10], v[11:12], 1.0
	v_fma_f64 v[11:12], v[11:12], v[31:32], v[11:12]
	v_mul_f64 v[31:32], v[33:34], v[11:12]
	v_fma_f64 v[9:10], -v[9:10], v[31:32], v[33:34]
	v_div_fmas_f64 v[9:10], v[9:10], v[11:12], v[31:32]
	v_div_fixup_f64 v[5:6], v[9:10], v[7:8], v[5:6]
	v_fma_f64 v[5:6], v[5:6], v[5:6], 1.0
	v_cmp_gt_f64_e32 vcc_lo, 0x10000000, v[5:6]
	v_cndmask_b32_e64 v9, 0, 0x100, vcc_lo
	v_ldexp_f64 v[5:6], v[5:6], v9
	v_rsq_f64_e32 v[9:10], v[5:6]
	v_mul_f64 v[11:12], v[5:6], v[9:10]
	v_mul_f64 v[9:10], v[9:10], 0.5
	v_fma_f64 v[31:32], -v[9:10], v[11:12], 0.5
	v_fma_f64 v[11:12], v[11:12], v[31:32], v[11:12]
	v_fma_f64 v[9:10], v[9:10], v[31:32], v[9:10]
	v_fma_f64 v[31:32], -v[11:12], v[11:12], v[5:6]
	v_fma_f64 v[11:12], v[31:32], v[9:10], v[11:12]
	v_fma_f64 v[31:32], -v[11:12], v[11:12], v[5:6]
	v_fma_f64 v[9:10], v[31:32], v[9:10], v[11:12]
	v_cndmask_b32_e64 v11, 0, 0xffffff80, vcc_lo
	v_cmp_class_f64_e64 vcc_lo, v[5:6], 0x260
	v_ldexp_f64 v[9:10], v[9:10], v11
	v_cndmask_b32_e32 v6, v10, v6, vcc_lo
	v_cndmask_b32_e32 v5, v9, v5, vcc_lo
	v_mul_f64 v[9:10], v[7:8], v[5:6]
.LBB55_119:                             ;   in Loop: Header=BB55_14 Depth=3
	s_or_b32 exec_lo, exec_lo, s76
                                        ; implicit-def: $vgpr5_vgpr6
                                        ; implicit-def: $vgpr7_vgpr8
	s_andn2_saveexec_b32 s75, s75
	s_cbranch_execz .LBB55_59
.LBB55_120:                             ;   in Loop: Header=BB55_14 Depth=3
	v_div_scale_f64 v[9:10], null, v[5:6], v[5:6], v[7:8]
	v_div_scale_f64 v[33:34], vcc_lo, v[7:8], v[5:6], v[7:8]
	v_rcp_f64_e32 v[11:12], v[9:10]
	v_fma_f64 v[31:32], -v[9:10], v[11:12], 1.0
	v_fma_f64 v[11:12], v[11:12], v[31:32], v[11:12]
	v_fma_f64 v[31:32], -v[9:10], v[11:12], 1.0
	v_fma_f64 v[11:12], v[11:12], v[31:32], v[11:12]
	v_mul_f64 v[31:32], v[33:34], v[11:12]
	v_fma_f64 v[9:10], -v[9:10], v[31:32], v[33:34]
	v_div_fmas_f64 v[9:10], v[9:10], v[11:12], v[31:32]
	v_div_fixup_f64 v[7:8], v[9:10], v[5:6], v[7:8]
	v_fma_f64 v[7:8], v[7:8], v[7:8], 1.0
	v_cmp_gt_f64_e32 vcc_lo, 0x10000000, v[7:8]
	v_cndmask_b32_e64 v9, 0, 0x100, vcc_lo
	v_ldexp_f64 v[7:8], v[7:8], v9
	v_rsq_f64_e32 v[9:10], v[7:8]
	v_mul_f64 v[11:12], v[7:8], v[9:10]
	v_mul_f64 v[9:10], v[9:10], 0.5
	v_fma_f64 v[31:32], -v[9:10], v[11:12], 0.5
	v_fma_f64 v[11:12], v[11:12], v[31:32], v[11:12]
	v_fma_f64 v[9:10], v[9:10], v[31:32], v[9:10]
	v_fma_f64 v[31:32], -v[11:12], v[11:12], v[7:8]
	v_fma_f64 v[11:12], v[31:32], v[9:10], v[11:12]
	v_fma_f64 v[31:32], -v[11:12], v[11:12], v[7:8]
	v_fma_f64 v[9:10], v[31:32], v[9:10], v[11:12]
	v_cndmask_b32_e64 v11, 0, 0xffffff80, vcc_lo
	v_cmp_class_f64_e64 vcc_lo, v[7:8], 0x260
	v_ldexp_f64 v[9:10], v[9:10], v11
	v_cndmask_b32_e32 v8, v10, v8, vcc_lo
	v_cndmask_b32_e32 v7, v9, v7, vcc_lo
	v_mul_f64 v[9:10], v[5:6], v[7:8]
	s_or_b32 exec_lo, exec_lo, s75
	v_cmp_class_f64_e64 s76, v[9:10], 0x1f8
	s_and_saveexec_b32 s75, s76
	s_cbranch_execnz .LBB55_60
	s_branch .LBB55_61
.LBB55_121:                             ;   in Loop: Header=BB55_5 Depth=1
	v_or_b32_e32 v10, 32, v39
	v_xor_b32_e32 v9, 16, v39
	v_xor_b32_e32 v8, 8, v39
	;; [unrolled: 1-line block ×5, first 2 shown]
	s_and_b32 vcc_lo, exec_lo, s54
	s_cbranch_vccnz .LBB55_124
; %bb.122:                              ;   in Loop: Header=BB55_5 Depth=1
	s_andn2_b32 vcc_lo, exec_lo, s33
	s_cbranch_vccz .LBB55_135
.LBB55_123:                             ;   in Loop: Header=BB55_5 Depth=1
	s_and_saveexec_b32 s8, s5
	s_cbranch_execnz .LBB55_146
	s_branch .LBB55_157
.LBB55_124:                             ;   in Loop: Header=BB55_5 Depth=1
	v_cmp_gt_i32_e32 vcc_lo, 32, v10
	v_cmp_gt_i32_e64 s7, 32, v9
	v_cndmask_b32_e32 v1, v39, v10, vcc_lo
	v_cndmask_b32_e64 v3, v39, v9, s7
	v_cmp_gt_i32_e64 s7, 32, v8
	v_lshlrev_b32_e32 v2, 2, v1
	v_lshlrev_b32_e32 v3, 2, v3
	v_cndmask_b32_e64 v11, v39, v8, s7
	v_cmp_gt_i32_e64 s7, 32, v7
	ds_bpermute_b32 v1, v2, v15
	ds_bpermute_b32 v2, v2, v16
	v_lshlrev_b32_e32 v11, 2, v11
	s_waitcnt lgkmcnt(0)
	v_cmp_lt_f64_e32 vcc_lo, v[15:16], v[1:2]
	v_cndmask_b32_e32 v2, v16, v2, vcc_lo
	v_cndmask_b32_e32 v1, v15, v1, vcc_lo
	ds_bpermute_b32 v4, v3, v2
	ds_bpermute_b32 v3, v3, v1
	s_waitcnt lgkmcnt(0)
	v_cmp_lt_f64_e32 vcc_lo, v[1:2], v[3:4]
	v_cndmask_b32_e32 v2, v2, v4, vcc_lo
	v_cndmask_b32_e32 v1, v1, v3, vcc_lo
	ds_bpermute_b32 v4, v11, v2
	ds_bpermute_b32 v3, v11, v1
	v_cndmask_b32_e64 v11, v39, v7, s7
	v_cmp_gt_i32_e64 s7, 32, v6
	v_lshlrev_b32_e32 v11, 2, v11
	s_waitcnt lgkmcnt(0)
	v_cmp_lt_f64_e32 vcc_lo, v[1:2], v[3:4]
	v_cndmask_b32_e32 v2, v2, v4, vcc_lo
	v_cndmask_b32_e32 v1, v1, v3, vcc_lo
	ds_bpermute_b32 v4, v11, v2
	ds_bpermute_b32 v3, v11, v1
	v_cndmask_b32_e64 v11, v39, v6, s7
	v_cmp_gt_i32_e64 s7, 32, v5
	v_lshlrev_b32_e32 v11, 2, v11
	s_waitcnt lgkmcnt(0)
	v_cmp_lt_f64_e32 vcc_lo, v[1:2], v[3:4]
	v_cndmask_b32_e32 v2, v2, v4, vcc_lo
	v_cndmask_b32_e32 v1, v1, v3, vcc_lo
	ds_bpermute_b32 v4, v11, v2
	ds_bpermute_b32 v3, v11, v1
	v_cndmask_b32_e64 v11, v39, v5, s7
	v_lshlrev_b32_e32 v11, 2, v11
	s_waitcnt lgkmcnt(0)
	v_cmp_lt_f64_e32 vcc_lo, v[1:2], v[3:4]
	v_cndmask_b32_e32 v2, v2, v4, vcc_lo
	v_cndmask_b32_e32 v1, v1, v3, vcc_lo
	ds_bpermute_b32 v3, v11, v1
	ds_bpermute_b32 v11, v11, v2
	s_and_saveexec_b32 s7, s0
	s_cbranch_execz .LBB55_126
; %bb.125:                              ;   in Loop: Header=BB55_5 Depth=1
	s_waitcnt lgkmcnt(0)
	v_mov_b32_e32 v4, v11
	v_cmp_lt_f64_e32 vcc_lo, v[1:2], v[3:4]
	v_cndmask_b32_e32 v2, v2, v11, vcc_lo
	v_cndmask_b32_e32 v1, v1, v3, vcc_lo
	ds_write_b64 v42, v[1:2]
.LBB55_126:                             ;   in Loop: Header=BB55_5 Depth=1
	s_or_b32 exec_lo, exec_lo, s7
	s_waitcnt lgkmcnt(0)
	s_waitcnt_vscnt null, 0x0
	s_barrier
	buffer_gl0_inv
	s_and_saveexec_b32 s7, s1
	s_cbranch_execz .LBB55_128
; %bb.127:                              ;   in Loop: Header=BB55_5 Depth=1
	ds_read2_b64 v[1:4], v40 offset1:8
	s_waitcnt lgkmcnt(0)
	v_cmp_lt_f64_e32 vcc_lo, v[1:2], v[3:4]
	v_cndmask_b32_e32 v2, v2, v4, vcc_lo
	v_cndmask_b32_e32 v1, v1, v3, vcc_lo
	ds_write_b64 v40, v[1:2]
.LBB55_128:                             ;   in Loop: Header=BB55_5 Depth=1
	s_or_b32 exec_lo, exec_lo, s7
	s_waitcnt lgkmcnt(0)
	s_barrier
	buffer_gl0_inv
	s_and_saveexec_b32 s7, s2
	s_cbranch_execz .LBB55_130
; %bb.129:                              ;   in Loop: Header=BB55_5 Depth=1
	ds_read2_b64 v[1:4], v40 offset1:4
	s_waitcnt lgkmcnt(0)
	v_cmp_lt_f64_e32 vcc_lo, v[1:2], v[3:4]
	v_cndmask_b32_e32 v2, v2, v4, vcc_lo
	v_cndmask_b32_e32 v1, v1, v3, vcc_lo
	ds_write_b64 v40, v[1:2]
.LBB55_130:                             ;   in Loop: Header=BB55_5 Depth=1
	s_or_b32 exec_lo, exec_lo, s7
	s_waitcnt lgkmcnt(0)
	;; [unrolled: 14-line block ×3, first 2 shown]
	s_barrier
	buffer_gl0_inv
	s_and_saveexec_b32 s7, s4
	s_cbranch_execz .LBB55_134
; %bb.133:                              ;   in Loop: Header=BB55_5 Depth=1
	ds_read_b128 v[1:4], v18
	s_waitcnt lgkmcnt(0)
	v_cmp_lt_f64_e32 vcc_lo, v[1:2], v[3:4]
	v_cndmask_b32_e32 v2, v2, v4, vcc_lo
	v_cndmask_b32_e32 v1, v1, v3, vcc_lo
	ds_write_b64 v18, v[1:2]
.LBB55_134:                             ;   in Loop: Header=BB55_5 Depth=1
	s_or_b32 exec_lo, exec_lo, s7
	s_waitcnt lgkmcnt(0)
	s_barrier
	buffer_gl0_inv
	ds_read_b64 v[1:2], v18
	s_load_dwordx2 s[66:67], s[52:53], 0x0
	s_waitcnt lgkmcnt(0)
	v_div_scale_f64 v[3:4], null, s[66:67], s[66:67], v[1:2]
	v_rcp_f64_e32 v[11:12], v[3:4]
	v_fma_f64 v[15:16], -v[3:4], v[11:12], 1.0
	v_fma_f64 v[11:12], v[11:12], v[15:16], v[11:12]
	v_fma_f64 v[15:16], -v[3:4], v[11:12], 1.0
	v_fma_f64 v[11:12], v[11:12], v[15:16], v[11:12]
	v_div_scale_f64 v[15:16], vcc_lo, v[1:2], s[66:67], v[1:2]
	v_mul_f64 v[19:20], v[15:16], v[11:12]
	v_fma_f64 v[3:4], -v[3:4], v[19:20], v[15:16]
	v_div_fmas_f64 v[3:4], v[3:4], v[11:12], v[19:20]
	v_div_fixup_f64 v[15:16], v[3:4], s[66:67], v[1:2]
	s_andn2_b32 vcc_lo, exec_lo, s33
	s_cbranch_vccnz .LBB55_123
.LBB55_135:                             ;   in Loop: Header=BB55_5 Depth=1
	v_cmp_gt_i32_e32 vcc_lo, 32, v10
	v_cmp_gt_i32_e64 s7, 32, v9
	v_cndmask_b32_e32 v1, v39, v10, vcc_lo
	v_cndmask_b32_e64 v3, v39, v9, s7
	v_cmp_gt_i32_e64 s7, 32, v8
	v_lshlrev_b32_e32 v2, 2, v1
	v_lshlrev_b32_e32 v3, 2, v3
	v_cndmask_b32_e64 v8, v39, v8, s7
	v_cmp_gt_i32_e64 s7, 32, v7
	ds_bpermute_b32 v1, v2, v13
	ds_bpermute_b32 v2, v2, v14
	v_lshlrev_b32_e32 v8, 2, v8
	v_cndmask_b32_e64 v7, v39, v7, s7
	v_cmp_gt_i32_e64 s7, 32, v6
	v_lshlrev_b32_e32 v7, 2, v7
	v_cndmask_b32_e64 v6, v39, v6, s7
	v_cmp_gt_i32_e64 s7, 32, v5
	v_lshlrev_b32_e32 v6, 2, v6
	v_cndmask_b32_e64 v5, v39, v5, s7
	v_lshlrev_b32_e32 v5, 2, v5
	s_waitcnt lgkmcnt(0)
	v_cmp_lt_f64_e32 vcc_lo, v[13:14], v[1:2]
	v_cndmask_b32_e32 v2, v14, v2, vcc_lo
	v_cndmask_b32_e32 v1, v13, v1, vcc_lo
	ds_bpermute_b32 v4, v3, v2
	ds_bpermute_b32 v3, v3, v1
	s_waitcnt lgkmcnt(0)
	v_cmp_lt_f64_e32 vcc_lo, v[1:2], v[3:4]
	v_cndmask_b32_e32 v2, v2, v4, vcc_lo
	v_cndmask_b32_e32 v1, v1, v3, vcc_lo
	ds_bpermute_b32 v4, v8, v2
	ds_bpermute_b32 v3, v8, v1
	;; [unrolled: 6-line block ×5, first 2 shown]
	s_and_saveexec_b32 s7, s0
	s_cbranch_execz .LBB55_137
; %bb.136:                              ;   in Loop: Header=BB55_5 Depth=1
	s_waitcnt lgkmcnt(0)
	v_mov_b32_e32 v4, v5
	v_cmp_lt_f64_e32 vcc_lo, v[1:2], v[3:4]
	v_cndmask_b32_e32 v2, v2, v5, vcc_lo
	v_cndmask_b32_e32 v1, v1, v3, vcc_lo
	ds_write_b64 v42, v[1:2]
.LBB55_137:                             ;   in Loop: Header=BB55_5 Depth=1
	s_or_b32 exec_lo, exec_lo, s7
	s_waitcnt lgkmcnt(0)
	s_waitcnt_vscnt null, 0x0
	s_barrier
	buffer_gl0_inv
	s_and_saveexec_b32 s7, s1
	s_cbranch_execz .LBB55_139
; %bb.138:                              ;   in Loop: Header=BB55_5 Depth=1
	ds_read2_b64 v[1:4], v40 offset1:8
	s_waitcnt lgkmcnt(0)
	v_cmp_lt_f64_e32 vcc_lo, v[1:2], v[3:4]
	v_cndmask_b32_e32 v2, v2, v4, vcc_lo
	v_cndmask_b32_e32 v1, v1, v3, vcc_lo
	ds_write_b64 v40, v[1:2]
.LBB55_139:                             ;   in Loop: Header=BB55_5 Depth=1
	s_or_b32 exec_lo, exec_lo, s7
	s_waitcnt lgkmcnt(0)
	s_barrier
	buffer_gl0_inv
	s_and_saveexec_b32 s7, s2
	s_cbranch_execz .LBB55_141
; %bb.140:                              ;   in Loop: Header=BB55_5 Depth=1
	ds_read2_b64 v[1:4], v40 offset1:4
	s_waitcnt lgkmcnt(0)
	v_cmp_lt_f64_e32 vcc_lo, v[1:2], v[3:4]
	v_cndmask_b32_e32 v2, v2, v4, vcc_lo
	v_cndmask_b32_e32 v1, v1, v3, vcc_lo
	ds_write_b64 v40, v[1:2]
.LBB55_141:                             ;   in Loop: Header=BB55_5 Depth=1
	s_or_b32 exec_lo, exec_lo, s7
	s_waitcnt lgkmcnt(0)
	;; [unrolled: 14-line block ×3, first 2 shown]
	s_barrier
	buffer_gl0_inv
	s_and_saveexec_b32 s7, s4
	s_cbranch_execz .LBB55_145
; %bb.144:                              ;   in Loop: Header=BB55_5 Depth=1
	ds_read_b128 v[1:4], v18
	s_waitcnt lgkmcnt(0)
	v_cmp_lt_f64_e32 vcc_lo, v[1:2], v[3:4]
	v_cndmask_b32_e32 v2, v2, v4, vcc_lo
	v_cndmask_b32_e32 v1, v1, v3, vcc_lo
	ds_write_b64 v18, v[1:2]
.LBB55_145:                             ;   in Loop: Header=BB55_5 Depth=1
	s_or_b32 exec_lo, exec_lo, s7
	s_waitcnt lgkmcnt(0)
	s_barrier
	buffer_gl0_inv
	ds_read_b64 v[1:2], v18
	s_load_dwordx2 s[66:67], s[52:53], 0x0
	s_waitcnt lgkmcnt(0)
	v_div_scale_f64 v[3:4], null, s[66:67], s[66:67], v[1:2]
	v_rcp_f64_e32 v[5:6], v[3:4]
	v_fma_f64 v[7:8], -v[3:4], v[5:6], 1.0
	v_fma_f64 v[5:6], v[5:6], v[7:8], v[5:6]
	v_fma_f64 v[7:8], -v[3:4], v[5:6], 1.0
	v_fma_f64 v[5:6], v[5:6], v[7:8], v[5:6]
	v_div_scale_f64 v[7:8], vcc_lo, v[1:2], s[66:67], v[1:2]
	v_mul_f64 v[9:10], v[7:8], v[5:6]
	v_fma_f64 v[3:4], -v[3:4], v[9:10], v[7:8]
	v_div_fmas_f64 v[3:4], v[3:4], v[5:6], v[9:10]
	v_div_fixup_f64 v[13:14], v[3:4], s[66:67], v[1:2]
	s_and_saveexec_b32 s8, s5
	s_cbranch_execz .LBB55_157
.LBB55_146:                             ;   in Loop: Header=BB55_5 Depth=1
	v_mov_b32_e32 v1, v41
	s_mov_b32 s66, 0
	s_branch .LBB55_148
.LBB55_147:                             ;   in Loop: Header=BB55_148 Depth=2
	s_or_b32 exec_lo, exec_lo, s67
	v_add_nc_u32_e32 v1, 16, v1
	v_cmp_le_u32_e32 vcc_lo, s62, v1
	s_or_b32 s66, vcc_lo, s66
	s_andn2_b32 exec_lo, exec_lo, s66
	s_cbranch_execz .LBB55_157
.LBB55_148:                             ;   Parent Loop BB55_5 Depth=1
                                        ; =>  This Loop Header: Depth=2
                                        ;       Child Loop BB55_151 Depth 3
                                        ;       Child Loop BB55_154 Depth 3
	s_mov_b32 s67, exec_lo
	v_cmpx_gt_i32_e64 s55, v1
	s_cbranch_execz .LBB55_147
; %bb.149:                              ;   in Loop: Header=BB55_148 Depth=2
	v_ashrrev_i32_e32 v2, 31, v1
	s_mov_b32 s68, exec_lo
	v_lshlrev_b64 v[3:4], 2, v[1:2]
	v_add_co_u32 v5, vcc_lo, s20, v3
	v_add_co_ci_u32_e64 v6, null, s21, v4, vcc_lo
	v_add_co_u32 v7, vcc_lo, s22, v3
	v_add_co_ci_u32_e64 v8, null, s23, v4, vcc_lo
	global_load_dword v5, v[5:6], off
	global_load_dword v6, v[7:8], off
	s_waitcnt vmcnt(1)
	v_add_nc_u32_e32 v5, v44, v5
	s_waitcnt vmcnt(0)
	v_subrev_nc_u32_e32 v10, s60, v6
	v_cmpx_lt_i32_e64 v5, v10
	s_cbranch_execz .LBB55_152
; %bb.150:                              ;   in Loop: Header=BB55_148 Depth=2
	v_ashrrev_i32_e32 v6, 31, v5
	s_mov_b32 s69, 0
	v_lshlrev_b64 v[8:9], 4, v[5:6]
	v_add_co_u32 v6, vcc_lo, s26, v8
	v_add_co_ci_u32_e64 v7, null, s27, v9, vcc_lo
	v_add_co_u32 v8, vcc_lo, s34, v8
	v_add_co_ci_u32_e64 v9, null, s35, v9, vcc_lo
	.p2align	6
.LBB55_151:                             ;   Parent Loop BB55_5 Depth=1
                                        ;     Parent Loop BB55_148 Depth=2
                                        ; =>    This Inner Loop Header: Depth=3
	global_load_dwordx4 v[19:22], v[8:9], off
	v_add_nc_u32_e32 v5, 64, v5
	v_add_co_u32 v8, vcc_lo, 0x400, v8
	v_add_co_ci_u32_e64 v9, null, 0, v9, vcc_lo
	v_cmp_ge_i32_e32 vcc_lo, v5, v10
	s_or_b32 s69, vcc_lo, s69
	s_waitcnt vmcnt(0)
	global_store_dwordx4 v[6:7], v[19:22], off
	v_add_co_u32 v6, s7, 0x400, v6
	v_add_co_ci_u32_e64 v7, null, 0, v7, s7
	s_andn2_b32 exec_lo, exec_lo, s69
	s_cbranch_execnz .LBB55_151
.LBB55_152:                             ;   in Loop: Header=BB55_148 Depth=2
	s_or_b32 exec_lo, exec_lo, s68
	v_add_co_u32 v5, vcc_lo, s12, v3
	v_add_co_ci_u32_e64 v6, null, s13, v4, vcc_lo
	v_add_co_u32 v3, vcc_lo, s14, v3
	v_add_co_ci_u32_e64 v4, null, s15, v4, vcc_lo
	global_load_dword v5, v[5:6], off
	global_load_dword v4, v[3:4], off
	s_mov_b32 s68, exec_lo
	s_waitcnt vmcnt(1)
	v_add_nc_u32_e32 v3, v45, v5
	s_waitcnt vmcnt(0)
	v_subrev_nc_u32_e32 v8, s61, v4
	v_cmpx_lt_i32_e64 v3, v8
	s_cbranch_execz .LBB55_155
; %bb.153:                              ;   in Loop: Header=BB55_148 Depth=2
	v_ashrrev_i32_e32 v4, 31, v3
	s_mov_b32 s69, 0
	v_lshlrev_b64 v[6:7], 4, v[3:4]
	v_add_co_u32 v4, vcc_lo, s18, v6
	v_add_co_ci_u32_e64 v5, null, s19, v7, vcc_lo
	v_add_co_u32 v6, vcc_lo, s10, v6
	v_add_co_ci_u32_e64 v7, null, s11, v7, vcc_lo
	.p2align	6
.LBB55_154:                             ;   Parent Loop BB55_5 Depth=1
                                        ;     Parent Loop BB55_148 Depth=2
                                        ; =>    This Inner Loop Header: Depth=3
	global_load_dwordx4 v[9:12], v[6:7], off
	v_add_nc_u32_e32 v3, 64, v3
	v_add_co_u32 v6, vcc_lo, 0x400, v6
	v_add_co_ci_u32_e64 v7, null, 0, v7, vcc_lo
	v_cmp_ge_i32_e32 vcc_lo, v3, v8
	s_or_b32 s69, vcc_lo, s69
	s_waitcnt vmcnt(0)
	global_store_dwordx4 v[4:5], v[9:12], off
	v_add_co_u32 v4, s7, 0x400, v4
	v_add_co_ci_u32_e64 v5, null, 0, v5, s7
	s_andn2_b32 exec_lo, exec_lo, s69
	s_cbranch_execnz .LBB55_154
.LBB55_155:                             ;   in Loop: Header=BB55_148 Depth=2
	s_or_b32 exec_lo, exec_lo, s68
	s_and_b32 exec_lo, exec_lo, s6
	s_cbranch_execz .LBB55_147
; %bb.156:                              ;   in Loop: Header=BB55_148 Depth=2
	v_lshlrev_b64 v[6:7], 4, v[1:2]
	v_add_co_u32 v2, vcc_lo, s50, v6
	v_add_co_ci_u32_e64 v3, null, s51, v7, vcc_lo
	v_add_co_u32 v6, vcc_lo, s48, v6
	v_add_co_ci_u32_e64 v7, null, s49, v7, vcc_lo
	global_load_dwordx4 v[2:5], v[2:3], off
	s_waitcnt vmcnt(0)
	global_store_dwordx4 v[6:7], v[2:5], off
	s_branch .LBB55_147
.LBB55_157:                             ;   in Loop: Header=BB55_5 Depth=1
	s_or_b32 exec_lo, exec_lo, s8
	s_mov_b32 s8, -1
	s_and_b32 vcc_lo, exec_lo, s56
	s_mov_b32 s66, -1
	s_cbranch_vccz .LBB55_167
; %bb.158:                              ;   in Loop: Header=BB55_5 Depth=1
	s_and_b32 vcc_lo, exec_lo, s64
	s_mov_b32 s7, -1
                                        ; implicit-def: $sgpr66
	s_cbranch_vccz .LBB55_164
; %bb.159:                              ;   in Loop: Header=BB55_5 Depth=1
	s_and_b32 vcc_lo, exec_lo, s63
                                        ; implicit-def: $sgpr66
	s_cbranch_vccz .LBB55_161
; %bb.160:                              ;   in Loop: Header=BB55_5 Depth=1
	v_cmp_ge_f64_e64 s66, s[46:47], v[13:14]
	s_mov_b32 s7, 0
.LBB55_161:                             ;   in Loop: Header=BB55_5 Depth=1
	s_andn2_b32 vcc_lo, exec_lo, s7
	s_cbranch_vccnz .LBB55_163
; %bb.162:                              ;   in Loop: Header=BB55_5 Depth=1
	v_cmp_ge_f64_e32 vcc_lo, s[46:47], v[15:16]
	s_andn2_b32 s7, s66, exec_lo
	s_and_b32 s66, vcc_lo, exec_lo
	s_or_b32 s66, s7, s66
.LBB55_163:                             ;   in Loop: Header=BB55_5 Depth=1
	s_mov_b32 s7, 0
.LBB55_164:                             ;   in Loop: Header=BB55_5 Depth=1
	s_andn2_b32 vcc_lo, exec_lo, s7
	s_cbranch_vccnz .LBB55_166
; %bb.165:                              ;   in Loop: Header=BB55_5 Depth=1
	v_cmp_ge_f64_e32 vcc_lo, s[46:47], v[15:16]
	v_cmp_ge_f64_e64 s7, s[46:47], v[13:14]
	s_andn2_b32 s66, s66, exec_lo
	s_and_b32 s7, vcc_lo, s7
	s_and_b32 s7, s7, exec_lo
	s_or_b32 s66, s66, s7
.LBB55_166:                             ;   in Loop: Header=BB55_5 Depth=1
	s_xor_b32 s66, s66, -1
.LBB55_167:                             ;   in Loop: Header=BB55_5 Depth=1
	v_mov_b32_e32 v1, s65
	s_and_saveexec_b32 s7, s66
	s_cbranch_execz .LBB55_4
; %bb.168:                              ;   in Loop: Header=BB55_5 Depth=1
	s_add_i32 s65, s65, 1
	v_mov_b32_e32 v1, s9
	s_cmp_eq_u32 s65, s9
	s_cselect_b32 s8, -1, 0
	s_orn2_b32 s8, s8, exec_lo
	s_branch .LBB55_4
.LBB55_169:
	s_or_b32 exec_lo, exec_lo, s57
	s_or_b32 exec_lo, exec_lo, s58
	s_andn2_b32 vcc_lo, exec_lo, s56
	s_cbranch_vccnz .LBB55_2
.LBB55_170:
	v_or_b32_e32 v2, 32, v39
	v_xor_b32_e32 v3, 16, v39
	s_mov_b32 s0, exec_lo
	v_cmp_gt_i32_e32 vcc_lo, 32, v2
	v_cndmask_b32_e32 v2, v39, v2, vcc_lo
	v_cmp_gt_i32_e32 vcc_lo, 32, v3
	v_lshlrev_b32_e32 v2, 2, v2
	v_cndmask_b32_e32 v3, v39, v3, vcc_lo
	ds_bpermute_b32 v2, v2, v1
	v_lshlrev_b32_e32 v3, 2, v3
	s_waitcnt lgkmcnt(0)
	v_max_i32_e32 v1, v1, v2
	ds_bpermute_b32 v2, v3, v1
	v_xor_b32_e32 v3, 8, v39
	v_cmp_gt_i32_e32 vcc_lo, 32, v3
	v_cndmask_b32_e32 v3, v39, v3, vcc_lo
	v_lshlrev_b32_e32 v3, 2, v3
	s_waitcnt lgkmcnt(0)
	v_max_i32_e32 v1, v1, v2
	ds_bpermute_b32 v2, v3, v1
	v_xor_b32_e32 v3, 4, v39
	v_cmp_gt_i32_e32 vcc_lo, 32, v3
	v_cndmask_b32_e32 v3, v39, v3, vcc_lo
	;; [unrolled: 7-line block ×4, first 2 shown]
	s_waitcnt lgkmcnt(0)
	v_max_i32_e32 v1, v1, v2
	v_lshlrev_b32_e32 v2, 2, v3
	ds_bpermute_b32 v2, v2, v1
	v_cmpx_eq_u32_e32 63, v38
	s_cbranch_execz .LBB55_172
; %bb.171:
	v_lshlrev_b32_e32 v3, 2, v37
	s_waitcnt lgkmcnt(0)
	v_max_i32_e32 v1, v1, v2
	ds_write_b32 v3, v1 offset:128
.LBB55_172:
	s_or_b32 exec_lo, exec_lo, s0
	v_lshlrev_b32_e32 v1, 2, v0
	s_mov_b32 s0, exec_lo
	s_waitcnt lgkmcnt(0)
	s_waitcnt_vscnt null, 0x0
	s_barrier
	buffer_gl0_inv
	v_cmpx_gt_u32_e32 8, v0
	s_cbranch_execz .LBB55_174
; %bb.173:
	ds_read2_b32 v[2:3], v1 offset0:32 offset1:40
	s_waitcnt lgkmcnt(0)
	v_max_i32_e32 v2, v2, v3
	ds_write_b32 v1, v2 offset:128
.LBB55_174:
	s_or_b32 exec_lo, exec_lo, s0
	s_mov_b32 s0, exec_lo
	s_waitcnt lgkmcnt(0)
	s_barrier
	buffer_gl0_inv
	v_cmpx_gt_u32_e32 4, v0
	s_cbranch_execz .LBB55_176
; %bb.175:
	ds_read2_b32 v[2:3], v1 offset0:32 offset1:36
	s_waitcnt lgkmcnt(0)
	v_max_i32_e32 v2, v2, v3
	ds_write_b32 v1, v2 offset:128
.LBB55_176:
	s_or_b32 exec_lo, exec_lo, s0
	s_mov_b32 s0, exec_lo
	s_waitcnt lgkmcnt(0)
	s_barrier
	buffer_gl0_inv
	v_cmpx_gt_u32_e32 2, v0
	s_cbranch_execz .LBB55_178
; %bb.177:
	ds_read2_b32 v[2:3], v1 offset0:32 offset1:34
	s_waitcnt lgkmcnt(0)
	v_max_i32_e32 v2, v2, v3
	ds_write_b32 v1, v2 offset:128
.LBB55_178:
	s_or_b32 exec_lo, exec_lo, s0
	v_cmp_eq_u32_e32 vcc_lo, 0, v0
	s_waitcnt lgkmcnt(0)
	s_barrier
	buffer_gl0_inv
	s_and_saveexec_b32 s0, vcc_lo
	s_cbranch_execz .LBB55_180
; %bb.179:
	v_mov_b32_e32 v3, 0
	ds_read_b64 v[1:2], v3 offset:128
	s_waitcnt lgkmcnt(0)
	v_max_i32_e32 v1, v1, v2
	ds_write_b32 v3, v1 offset:128
.LBB55_180:
	s_or_b32 exec_lo, exec_lo, s0
	s_waitcnt lgkmcnt(0)
	s_barrier
	buffer_gl0_inv
	s_and_saveexec_b32 s0, vcc_lo
	s_cbranch_execz .LBB55_183
; %bb.181:
	v_mbcnt_lo_u32_b32 v1, exec_lo, 0
	v_cmp_eq_u32_e32 vcc_lo, 0, v1
	s_and_b32 exec_lo, exec_lo, vcc_lo
	s_cbranch_execz .LBB55_183
; %bb.182:
	v_mov_b32_e32 v1, 0
	ds_read_b32 v2, v1 offset:128
	s_waitcnt lgkmcnt(0)
	v_add_nc_u32_e32 v2, 1, v2
	global_atomic_smax v1, v2, s[44:45]
.LBB55_183:
	s_or_b32 exec_lo, exec_lo, s0
	v_cmp_eq_u32_e32 vcc_lo, 0, v0
	s_and_b32 s0, vcc_lo, s54
	s_and_saveexec_b32 s1, s0
	s_cbranch_execz .LBB55_190
.LBB55_184:
	v_mov_b32_e32 v0, 0
	v_mov_b32_e32 v1, 0x7ff80000
	s_mov_b32 s0, exec_lo
.LBB55_185:                             ; =>This Inner Loop Header: Depth=1
	s_ff1_i32_b32 s4, s0
	v_max_f64 v[0:1], v[0:1], v[0:1]
	v_readlane_b32 s3, v16, s4
	v_readlane_b32 s2, v15, s4
	v_max_f64 v[2:3], s[2:3], s[2:3]
	s_lshl_b32 s2, 1, s4
	s_andn2_b32 s0, s0, s2
	s_cmp_lg_u32 s0, 0
	v_max_f64 v[0:1], v[0:1], v[2:3]
	s_cbranch_scc1 .LBB55_185
; %bb.186:
	v_mbcnt_lo_u32_b32 v2, exec_lo, 0
	s_mov_b32 s2, 0
	s_mov_b32 s3, exec_lo
	v_cmpx_eq_u32_e32 0, v2
	s_xor_b32 s3, exec_lo, s3
	s_cbranch_execz .LBB55_190
; %bb.187:
	v_mov_b32_e32 v6, 0
	v_max_f64 v[4:5], v[0:1], v[0:1]
	global_load_dwordx2 v[2:3], v6, s[28:29]
.LBB55_188:                             ; =>This Inner Loop Header: Depth=1
	s_waitcnt vmcnt(0)
	v_max_f64 v[0:1], v[2:3], v[2:3]
	v_max_f64 v[0:1], v[0:1], v[4:5]
	global_atomic_cmpswap_x2 v[0:1], v6, v[0:3], s[28:29] glc
	s_waitcnt vmcnt(0)
	v_cmp_eq_u64_e64 s0, v[0:1], v[2:3]
	v_mov_b32_e32 v3, v1
	v_mov_b32_e32 v2, v0
	s_or_b32 s2, s0, s2
	s_andn2_b32 exec_lo, exec_lo, s2
	s_cbranch_execnz .LBB55_188
; %bb.189:
	s_or_b32 exec_lo, exec_lo, s2
.LBB55_190:
	s_or_b32 exec_lo, exec_lo, s1
	s_and_b32 s0, vcc_lo, s33
	s_and_saveexec_b32 s1, s0
	s_cbranch_execz .LBB55_196
; %bb.191:
	v_mov_b32_e32 v0, 0
	v_mov_b32_e32 v1, 0x7ff80000
	s_mov_b32 s0, exec_lo
.LBB55_192:                             ; =>This Inner Loop Header: Depth=1
	s_ff1_i32_b32 s1, s0
	v_max_f64 v[0:1], v[0:1], v[0:1]
	v_readlane_b32 s3, v14, s1
	v_readlane_b32 s2, v13, s1
	s_lshl_b32 s1, 1, s1
	s_andn2_b32 s0, s0, s1
	v_max_f64 v[2:3], s[2:3], s[2:3]
	s_cmp_lg_u32 s0, 0
	v_max_f64 v[0:1], v[0:1], v[2:3]
	s_cbranch_scc1 .LBB55_192
; %bb.193:
	v_mbcnt_lo_u32_b32 v2, exec_lo, 0
	s_mov_b32 s0, 0
	s_mov_b32 s1, exec_lo
	v_cmpx_eq_u32_e32 0, v2
	s_xor_b32 s1, exec_lo, s1
	s_cbranch_execz .LBB55_196
; %bb.194:
	v_mov_b32_e32 v6, 0
	v_max_f64 v[4:5], v[0:1], v[0:1]
	global_load_dwordx2 v[2:3], v6, s[30:31]
.LBB55_195:                             ; =>This Inner Loop Header: Depth=1
	s_waitcnt vmcnt(0)
	v_max_f64 v[0:1], v[2:3], v[2:3]
	v_max_f64 v[0:1], v[0:1], v[4:5]
	global_atomic_cmpswap_x2 v[0:1], v6, v[0:3], s[30:31] glc
	s_waitcnt vmcnt(0)
	v_cmp_eq_u64_e32 vcc_lo, v[0:1], v[2:3]
	v_mov_b32_e32 v3, v1
	v_mov_b32_e32 v2, v0
	s_or_b32 s0, vcc_lo, s0
	s_andn2_b32 exec_lo, exec_lo, s0
	s_cbranch_execnz .LBB55_195
.LBB55_196:
	s_endpgm
	.section	.rodata,"a",@progbits
	.p2align	6, 0x0
	.amdhsa_kernel _ZN9rocsparseL6kernelILi1024ELi64E21rocsparse_complex_numIdEiiEEvbbbT3_PS3_NS_15floating_traitsIT1_E6data_tES3_T2_PKS9_SB_PKS3_PKS6_21rocsparse_index_base_SB_SB_SD_PS6_SH_SG_SB_SB_SD_SH_SH_SG_SH_SH_PS8_SI_PKS8_
		.amdhsa_group_segment_fixed_size 192
		.amdhsa_private_segment_fixed_size 0
		.amdhsa_kernarg_size 208
		.amdhsa_user_sgpr_count 6
		.amdhsa_user_sgpr_private_segment_buffer 1
		.amdhsa_user_sgpr_dispatch_ptr 0
		.amdhsa_user_sgpr_queue_ptr 0
		.amdhsa_user_sgpr_kernarg_segment_ptr 1
		.amdhsa_user_sgpr_dispatch_id 0
		.amdhsa_user_sgpr_flat_scratch_init 0
		.amdhsa_user_sgpr_private_segment_size 0
		.amdhsa_wavefront_size32 1
		.amdhsa_uses_dynamic_stack 0
		.amdhsa_system_sgpr_private_segment_wavefront_offset 0
		.amdhsa_system_sgpr_workgroup_id_x 1
		.amdhsa_system_sgpr_workgroup_id_y 0
		.amdhsa_system_sgpr_workgroup_id_z 0
		.amdhsa_system_sgpr_workgroup_info 0
		.amdhsa_system_vgpr_workitem_id 0
		.amdhsa_next_free_vgpr 59
		.amdhsa_next_free_sgpr 80
		.amdhsa_reserve_vcc 1
		.amdhsa_reserve_flat_scratch 0
		.amdhsa_float_round_mode_32 0
		.amdhsa_float_round_mode_16_64 0
		.amdhsa_float_denorm_mode_32 3
		.amdhsa_float_denorm_mode_16_64 3
		.amdhsa_dx10_clamp 1
		.amdhsa_ieee_mode 1
		.amdhsa_fp16_overflow 0
		.amdhsa_workgroup_processor_mode 1
		.amdhsa_memory_ordered 1
		.amdhsa_forward_progress 1
		.amdhsa_shared_vgpr_count 0
		.amdhsa_exception_fp_ieee_invalid_op 0
		.amdhsa_exception_fp_denorm_src 0
		.amdhsa_exception_fp_ieee_div_zero 0
		.amdhsa_exception_fp_ieee_overflow 0
		.amdhsa_exception_fp_ieee_underflow 0
		.amdhsa_exception_fp_ieee_inexact 0
		.amdhsa_exception_int_div_zero 0
	.end_amdhsa_kernel
	.section	.text._ZN9rocsparseL6kernelILi1024ELi64E21rocsparse_complex_numIdEiiEEvbbbT3_PS3_NS_15floating_traitsIT1_E6data_tES3_T2_PKS9_SB_PKS3_PKS6_21rocsparse_index_base_SB_SB_SD_PS6_SH_SG_SB_SB_SD_SH_SH_SG_SH_SH_PS8_SI_PKS8_,"axG",@progbits,_ZN9rocsparseL6kernelILi1024ELi64E21rocsparse_complex_numIdEiiEEvbbbT3_PS3_NS_15floating_traitsIT1_E6data_tES3_T2_PKS9_SB_PKS3_PKS6_21rocsparse_index_base_SB_SB_SD_PS6_SH_SG_SB_SB_SD_SH_SH_SG_SH_SH_PS8_SI_PKS8_,comdat
.Lfunc_end55:
	.size	_ZN9rocsparseL6kernelILi1024ELi64E21rocsparse_complex_numIdEiiEEvbbbT3_PS3_NS_15floating_traitsIT1_E6data_tES3_T2_PKS9_SB_PKS3_PKS6_21rocsparse_index_base_SB_SB_SD_PS6_SH_SG_SB_SB_SD_SH_SH_SG_SH_SH_PS8_SI_PKS8_, .Lfunc_end55-_ZN9rocsparseL6kernelILi1024ELi64E21rocsparse_complex_numIdEiiEEvbbbT3_PS3_NS_15floating_traitsIT1_E6data_tES3_T2_PKS9_SB_PKS3_PKS6_21rocsparse_index_base_SB_SB_SD_PS6_SH_SG_SB_SB_SD_SH_SH_SG_SH_SH_PS8_SI_PKS8_
                                        ; -- End function
	.set _ZN9rocsparseL6kernelILi1024ELi64E21rocsparse_complex_numIdEiiEEvbbbT3_PS3_NS_15floating_traitsIT1_E6data_tES3_T2_PKS9_SB_PKS3_PKS6_21rocsparse_index_base_SB_SB_SD_PS6_SH_SG_SB_SB_SD_SH_SH_SG_SH_SH_PS8_SI_PKS8_.num_vgpr, 59
	.set _ZN9rocsparseL6kernelILi1024ELi64E21rocsparse_complex_numIdEiiEEvbbbT3_PS3_NS_15floating_traitsIT1_E6data_tES3_T2_PKS9_SB_PKS3_PKS6_21rocsparse_index_base_SB_SB_SD_PS6_SH_SG_SB_SB_SD_SH_SH_SG_SH_SH_PS8_SI_PKS8_.num_agpr, 0
	.set _ZN9rocsparseL6kernelILi1024ELi64E21rocsparse_complex_numIdEiiEEvbbbT3_PS3_NS_15floating_traitsIT1_E6data_tES3_T2_PKS9_SB_PKS3_PKS6_21rocsparse_index_base_SB_SB_SD_PS6_SH_SG_SB_SB_SD_SH_SH_SG_SH_SH_PS8_SI_PKS8_.numbered_sgpr, 80
	.set _ZN9rocsparseL6kernelILi1024ELi64E21rocsparse_complex_numIdEiiEEvbbbT3_PS3_NS_15floating_traitsIT1_E6data_tES3_T2_PKS9_SB_PKS3_PKS6_21rocsparse_index_base_SB_SB_SD_PS6_SH_SG_SB_SB_SD_SH_SH_SG_SH_SH_PS8_SI_PKS8_.num_named_barrier, 0
	.set _ZN9rocsparseL6kernelILi1024ELi64E21rocsparse_complex_numIdEiiEEvbbbT3_PS3_NS_15floating_traitsIT1_E6data_tES3_T2_PKS9_SB_PKS3_PKS6_21rocsparse_index_base_SB_SB_SD_PS6_SH_SG_SB_SB_SD_SH_SH_SG_SH_SH_PS8_SI_PKS8_.private_seg_size, 0
	.set _ZN9rocsparseL6kernelILi1024ELi64E21rocsparse_complex_numIdEiiEEvbbbT3_PS3_NS_15floating_traitsIT1_E6data_tES3_T2_PKS9_SB_PKS3_PKS6_21rocsparse_index_base_SB_SB_SD_PS6_SH_SG_SB_SB_SD_SH_SH_SG_SH_SH_PS8_SI_PKS8_.uses_vcc, 1
	.set _ZN9rocsparseL6kernelILi1024ELi64E21rocsparse_complex_numIdEiiEEvbbbT3_PS3_NS_15floating_traitsIT1_E6data_tES3_T2_PKS9_SB_PKS3_PKS6_21rocsparse_index_base_SB_SB_SD_PS6_SH_SG_SB_SB_SD_SH_SH_SG_SH_SH_PS8_SI_PKS8_.uses_flat_scratch, 0
	.set _ZN9rocsparseL6kernelILi1024ELi64E21rocsparse_complex_numIdEiiEEvbbbT3_PS3_NS_15floating_traitsIT1_E6data_tES3_T2_PKS9_SB_PKS3_PKS6_21rocsparse_index_base_SB_SB_SD_PS6_SH_SG_SB_SB_SD_SH_SH_SG_SH_SH_PS8_SI_PKS8_.has_dyn_sized_stack, 0
	.set _ZN9rocsparseL6kernelILi1024ELi64E21rocsparse_complex_numIdEiiEEvbbbT3_PS3_NS_15floating_traitsIT1_E6data_tES3_T2_PKS9_SB_PKS3_PKS6_21rocsparse_index_base_SB_SB_SD_PS6_SH_SG_SB_SB_SD_SH_SH_SG_SH_SH_PS8_SI_PKS8_.has_recursion, 0
	.set _ZN9rocsparseL6kernelILi1024ELi64E21rocsparse_complex_numIdEiiEEvbbbT3_PS3_NS_15floating_traitsIT1_E6data_tES3_T2_PKS9_SB_PKS3_PKS6_21rocsparse_index_base_SB_SB_SD_PS6_SH_SG_SB_SB_SD_SH_SH_SG_SH_SH_PS8_SI_PKS8_.has_indirect_call, 0
	.section	.AMDGPU.csdata,"",@progbits
; Kernel info:
; codeLenInByte = 10096
; TotalNumSgprs: 82
; NumVgprs: 59
; ScratchSize: 0
; MemoryBound: 1
; FloatMode: 240
; IeeeMode: 1
; LDSByteSize: 192 bytes/workgroup (compile time only)
; SGPRBlocks: 0
; VGPRBlocks: 7
; NumSGPRsForWavesPerEU: 82
; NumVGPRsForWavesPerEU: 59
; Occupancy: 16
; WaveLimiterHint : 1
; COMPUTE_PGM_RSRC2:SCRATCH_EN: 0
; COMPUTE_PGM_RSRC2:USER_SGPR: 6
; COMPUTE_PGM_RSRC2:TRAP_HANDLER: 0
; COMPUTE_PGM_RSRC2:TGID_X_EN: 1
; COMPUTE_PGM_RSRC2:TGID_Y_EN: 0
; COMPUTE_PGM_RSRC2:TGID_Z_EN: 0
; COMPUTE_PGM_RSRC2:TIDIG_COMP_CNT: 0
	.section	.AMDGPU.gpr_maximums,"",@progbits
	.set amdgpu.max_num_vgpr, 0
	.set amdgpu.max_num_agpr, 0
	.set amdgpu.max_num_sgpr, 0
	.section	.AMDGPU.csdata,"",@progbits
	.type	__hip_cuid_706bf5e8ef7e96be,@object ; @__hip_cuid_706bf5e8ef7e96be
	.section	.bss,"aw",@nobits
	.globl	__hip_cuid_706bf5e8ef7e96be
__hip_cuid_706bf5e8ef7e96be:
	.byte	0                               ; 0x0
	.size	__hip_cuid_706bf5e8ef7e96be, 1

	.ident	"AMD clang version 22.0.0git (https://github.com/RadeonOpenCompute/llvm-project roc-7.2.4 26084 f58b06dce1f9c15707c5f808fd002e18c2accf7e)"
	.section	".note.GNU-stack","",@progbits
	.addrsig
	.addrsig_sym __hip_cuid_706bf5e8ef7e96be
	.amdgpu_metadata
---
amdhsa.kernels:
  - .args:
      - .offset:         0
        .size:           4
        .value_kind:     by_value
      - .offset:         4
        .size:           4
        .value_kind:     by_value
      - .offset:         8
        .size:           4
        .value_kind:     by_value
      - .actual_access:  read_only
        .address_space:  global
        .offset:         16
        .size:           8
        .value_kind:     global_buffer
      - .actual_access:  read_only
        .address_space:  global
        .offset:         24
        .size:           8
        .value_kind:     global_buffer
      - .actual_access:  read_only
        .address_space:  global
        .offset:         32
        .size:           8
        .value_kind:     global_buffer
      - .actual_access:  read_only
        .address_space:  global
        .offset:         40
        .size:           8
        .value_kind:     global_buffer
      - .offset:         48
        .size:           4
        .value_kind:     by_value
      - .actual_access:  read_only
        .address_space:  global
        .offset:         56
        .size:           8
        .value_kind:     global_buffer
      - .actual_access:  read_only
        .address_space:  global
        .offset:         64
        .size:           8
        .value_kind:     global_buffer
      - .actual_access:  read_only
        .address_space:  global
        .offset:         72
        .size:           8
        .value_kind:     global_buffer
      - .address_space:  global
        .offset:         80
        .size:           8
        .value_kind:     global_buffer
      - .address_space:  global
        .offset:         88
        .size:           8
        .value_kind:     global_buffer
      - .offset:         96
        .size:           4
        .value_kind:     by_value
      - .actual_access:  read_only
        .address_space:  global
        .offset:         104
        .size:           8
        .value_kind:     global_buffer
      - .actual_access:  read_only
        .address_space:  global
        .offset:         112
        .size:           8
        .value_kind:     global_buffer
      - .actual_access:  read_only
        .address_space:  global
        .offset:         120
        .size:           8
        .value_kind:     global_buffer
      - .address_space:  global
        .offset:         128
        .size:           8
        .value_kind:     global_buffer
      - .address_space:  global
        .offset:         136
        .size:           8
        .value_kind:     global_buffer
      - .offset:         144
        .size:           4
        .value_kind:     by_value
      - .address_space:  global
        .offset:         152
        .size:           8
        .value_kind:     global_buffer
      - .address_space:  global
        .offset:         160
        .size:           8
        .value_kind:     global_buffer
    .group_segment_fixed_size: 0
    .kernarg_segment_align: 8
    .kernarg_segment_size: 168
    .language:       OpenCL C
    .language_version:
      - 2
      - 0
    .max_flat_workgroup_size: 1024
    .name:           _ZN9rocsparseL14kernel_freerunILi1024ELi1EfiiEEvT3_S1_T2_PKS2_S4_PKS1_PKT1_21rocsparse_index_base_S4_S4_S6_PS7_SB_SA_S4_S4_S6_SB_SB_SA_SB_SB_
    .private_segment_fixed_size: 0
    .sgpr_count:     53
    .sgpr_spill_count: 0
    .symbol:         _ZN9rocsparseL14kernel_freerunILi1024ELi1EfiiEEvT3_S1_T2_PKS2_S4_PKS1_PKT1_21rocsparse_index_base_S4_S4_S6_PS7_SB_SA_S4_S4_S6_SB_SB_SA_SB_SB_.kd
    .uniform_work_group_size: 1
    .uses_dynamic_stack: false
    .vgpr_count:     34
    .vgpr_spill_count: 0
    .wavefront_size: 32
    .workgroup_processor_mode: 1
  - .args:
      - .offset:         0
        .size:           4
        .value_kind:     by_value
      - .offset:         4
        .size:           4
        .value_kind:     by_value
      - .offset:         8
        .size:           4
        .value_kind:     by_value
      - .actual_access:  read_only
        .address_space:  global
        .offset:         16
        .size:           8
        .value_kind:     global_buffer
      - .actual_access:  read_only
        .address_space:  global
        .offset:         24
        .size:           8
        .value_kind:     global_buffer
      - .actual_access:  read_only
        .address_space:  global
        .offset:         32
        .size:           8
        .value_kind:     global_buffer
      - .actual_access:  read_only
        .address_space:  global
        .offset:         40
        .size:           8
        .value_kind:     global_buffer
      - .offset:         48
        .size:           4
        .value_kind:     by_value
      - .actual_access:  read_only
        .address_space:  global
        .offset:         56
        .size:           8
        .value_kind:     global_buffer
      - .actual_access:  read_only
        .address_space:  global
        .offset:         64
        .size:           8
        .value_kind:     global_buffer
      - .actual_access:  read_only
        .address_space:  global
        .offset:         72
        .size:           8
        .value_kind:     global_buffer
      - .address_space:  global
        .offset:         80
        .size:           8
        .value_kind:     global_buffer
      - .address_space:  global
        .offset:         88
        .size:           8
        .value_kind:     global_buffer
      - .offset:         96
        .size:           4
        .value_kind:     by_value
      - .actual_access:  read_only
        .address_space:  global
        .offset:         104
        .size:           8
        .value_kind:     global_buffer
      - .actual_access:  read_only
        .address_space:  global
        .offset:         112
        .size:           8
        .value_kind:     global_buffer
      - .actual_access:  read_only
        .address_space:  global
        .offset:         120
        .size:           8
        .value_kind:     global_buffer
      - .address_space:  global
        .offset:         128
        .size:           8
        .value_kind:     global_buffer
      - .address_space:  global
        .offset:         136
        .size:           8
        .value_kind:     global_buffer
      - .offset:         144
        .size:           4
        .value_kind:     by_value
      - .address_space:  global
        .offset:         152
        .size:           8
        .value_kind:     global_buffer
      - .address_space:  global
        .offset:         160
        .size:           8
        .value_kind:     global_buffer
    .group_segment_fixed_size: 0
    .kernarg_segment_align: 8
    .kernarg_segment_size: 168
    .language:       OpenCL C
    .language_version:
      - 2
      - 0
    .max_flat_workgroup_size: 1024
    .name:           _ZN9rocsparseL14kernel_freerunILi1024ELi2EfiiEEvT3_S1_T2_PKS2_S4_PKS1_PKT1_21rocsparse_index_base_S4_S4_S6_PS7_SB_SA_S4_S4_S6_SB_SB_SA_SB_SB_
    .private_segment_fixed_size: 0
    .sgpr_count:     56
    .sgpr_spill_count: 0
    .symbol:         _ZN9rocsparseL14kernel_freerunILi1024ELi2EfiiEEvT3_S1_T2_PKS2_S4_PKS1_PKT1_21rocsparse_index_base_S4_S4_S6_PS7_SB_SA_S4_S4_S6_SB_SB_SA_SB_SB_.kd
    .uniform_work_group_size: 1
    .uses_dynamic_stack: false
    .vgpr_count:     53
    .vgpr_spill_count: 0
    .wavefront_size: 32
    .workgroup_processor_mode: 1
  - .args:
      - .offset:         0
        .size:           4
        .value_kind:     by_value
      - .offset:         4
        .size:           4
        .value_kind:     by_value
      - .offset:         8
        .size:           4
        .value_kind:     by_value
      - .actual_access:  read_only
        .address_space:  global
        .offset:         16
        .size:           8
        .value_kind:     global_buffer
      - .actual_access:  read_only
        .address_space:  global
        .offset:         24
        .size:           8
        .value_kind:     global_buffer
      - .actual_access:  read_only
        .address_space:  global
        .offset:         32
        .size:           8
        .value_kind:     global_buffer
      - .actual_access:  read_only
        .address_space:  global
        .offset:         40
        .size:           8
        .value_kind:     global_buffer
      - .offset:         48
        .size:           4
        .value_kind:     by_value
      - .actual_access:  read_only
        .address_space:  global
        .offset:         56
        .size:           8
        .value_kind:     global_buffer
      - .actual_access:  read_only
        .address_space:  global
        .offset:         64
        .size:           8
        .value_kind:     global_buffer
      - .actual_access:  read_only
        .address_space:  global
        .offset:         72
        .size:           8
        .value_kind:     global_buffer
      - .address_space:  global
        .offset:         80
        .size:           8
        .value_kind:     global_buffer
      - .address_space:  global
        .offset:         88
        .size:           8
        .value_kind:     global_buffer
      - .offset:         96
        .size:           4
        .value_kind:     by_value
      - .actual_access:  read_only
        .address_space:  global
        .offset:         104
        .size:           8
        .value_kind:     global_buffer
      - .actual_access:  read_only
        .address_space:  global
        .offset:         112
        .size:           8
        .value_kind:     global_buffer
      - .actual_access:  read_only
        .address_space:  global
        .offset:         120
        .size:           8
        .value_kind:     global_buffer
      - .address_space:  global
        .offset:         128
        .size:           8
        .value_kind:     global_buffer
      - .address_space:  global
        .offset:         136
        .size:           8
        .value_kind:     global_buffer
      - .offset:         144
        .size:           4
        .value_kind:     by_value
      - .address_space:  global
        .offset:         152
        .size:           8
        .value_kind:     global_buffer
      - .address_space:  global
        .offset:         160
        .size:           8
        .value_kind:     global_buffer
    .group_segment_fixed_size: 0
    .kernarg_segment_align: 8
    .kernarg_segment_size: 168
    .language:       OpenCL C
    .language_version:
      - 2
      - 0
    .max_flat_workgroup_size: 1024
    .name:           _ZN9rocsparseL14kernel_freerunILi1024ELi4EfiiEEvT3_S1_T2_PKS2_S4_PKS1_PKT1_21rocsparse_index_base_S4_S4_S6_PS7_SB_SA_S4_S4_S6_SB_SB_SA_SB_SB_
    .private_segment_fixed_size: 0
    .sgpr_count:     58
    .sgpr_spill_count: 0
    .symbol:         _ZN9rocsparseL14kernel_freerunILi1024ELi4EfiiEEvT3_S1_T2_PKS2_S4_PKS1_PKT1_21rocsparse_index_base_S4_S4_S6_PS7_SB_SA_S4_S4_S6_SB_SB_SA_SB_SB_.kd
    .uniform_work_group_size: 1
    .uses_dynamic_stack: false
    .vgpr_count:     37
    .vgpr_spill_count: 0
    .wavefront_size: 32
    .workgroup_processor_mode: 1
  - .args:
      - .offset:         0
        .size:           4
        .value_kind:     by_value
      - .offset:         4
        .size:           4
        .value_kind:     by_value
      - .offset:         8
        .size:           4
        .value_kind:     by_value
      - .actual_access:  read_only
        .address_space:  global
        .offset:         16
        .size:           8
        .value_kind:     global_buffer
      - .actual_access:  read_only
        .address_space:  global
        .offset:         24
        .size:           8
        .value_kind:     global_buffer
      - .actual_access:  read_only
        .address_space:  global
        .offset:         32
        .size:           8
        .value_kind:     global_buffer
      - .actual_access:  read_only
        .address_space:  global
        .offset:         40
        .size:           8
        .value_kind:     global_buffer
      - .offset:         48
        .size:           4
        .value_kind:     by_value
      - .actual_access:  read_only
        .address_space:  global
        .offset:         56
        .size:           8
        .value_kind:     global_buffer
      - .actual_access:  read_only
        .address_space:  global
        .offset:         64
        .size:           8
        .value_kind:     global_buffer
      - .actual_access:  read_only
        .address_space:  global
        .offset:         72
        .size:           8
        .value_kind:     global_buffer
      - .address_space:  global
        .offset:         80
        .size:           8
        .value_kind:     global_buffer
      - .address_space:  global
        .offset:         88
        .size:           8
        .value_kind:     global_buffer
      - .offset:         96
        .size:           4
        .value_kind:     by_value
      - .actual_access:  read_only
        .address_space:  global
        .offset:         104
        .size:           8
        .value_kind:     global_buffer
      - .actual_access:  read_only
        .address_space:  global
        .offset:         112
        .size:           8
        .value_kind:     global_buffer
      - .actual_access:  read_only
        .address_space:  global
        .offset:         120
        .size:           8
        .value_kind:     global_buffer
      - .address_space:  global
        .offset:         128
        .size:           8
        .value_kind:     global_buffer
      - .address_space:  global
        .offset:         136
        .size:           8
        .value_kind:     global_buffer
      - .offset:         144
        .size:           4
        .value_kind:     by_value
      - .address_space:  global
        .offset:         152
        .size:           8
        .value_kind:     global_buffer
      - .address_space:  global
        .offset:         160
        .size:           8
        .value_kind:     global_buffer
    .group_segment_fixed_size: 0
    .kernarg_segment_align: 8
    .kernarg_segment_size: 168
    .language:       OpenCL C
    .language_version:
      - 2
      - 0
    .max_flat_workgroup_size: 1024
    .name:           _ZN9rocsparseL14kernel_freerunILi1024ELi8EfiiEEvT3_S1_T2_PKS2_S4_PKS1_PKT1_21rocsparse_index_base_S4_S4_S6_PS7_SB_SA_S4_S4_S6_SB_SB_SA_SB_SB_
    .private_segment_fixed_size: 0
    .sgpr_count:     58
    .sgpr_spill_count: 0
    .symbol:         _ZN9rocsparseL14kernel_freerunILi1024ELi8EfiiEEvT3_S1_T2_PKS2_S4_PKS1_PKT1_21rocsparse_index_base_S4_S4_S6_PS7_SB_SA_S4_S4_S6_SB_SB_SA_SB_SB_.kd
    .uniform_work_group_size: 1
    .uses_dynamic_stack: false
    .vgpr_count:     37
    .vgpr_spill_count: 0
    .wavefront_size: 32
    .workgroup_processor_mode: 1
  - .args:
      - .offset:         0
        .size:           4
        .value_kind:     by_value
      - .offset:         4
        .size:           4
        .value_kind:     by_value
      - .offset:         8
        .size:           4
        .value_kind:     by_value
      - .actual_access:  read_only
        .address_space:  global
        .offset:         16
        .size:           8
        .value_kind:     global_buffer
      - .actual_access:  read_only
        .address_space:  global
        .offset:         24
        .size:           8
        .value_kind:     global_buffer
      - .actual_access:  read_only
        .address_space:  global
        .offset:         32
        .size:           8
        .value_kind:     global_buffer
      - .actual_access:  read_only
        .address_space:  global
        .offset:         40
        .size:           8
        .value_kind:     global_buffer
      - .offset:         48
        .size:           4
        .value_kind:     by_value
      - .actual_access:  read_only
        .address_space:  global
        .offset:         56
        .size:           8
        .value_kind:     global_buffer
      - .actual_access:  read_only
        .address_space:  global
        .offset:         64
        .size:           8
        .value_kind:     global_buffer
      - .actual_access:  read_only
        .address_space:  global
        .offset:         72
        .size:           8
        .value_kind:     global_buffer
      - .address_space:  global
        .offset:         80
        .size:           8
        .value_kind:     global_buffer
      - .address_space:  global
        .offset:         88
        .size:           8
        .value_kind:     global_buffer
      - .offset:         96
        .size:           4
        .value_kind:     by_value
      - .actual_access:  read_only
        .address_space:  global
        .offset:         104
        .size:           8
        .value_kind:     global_buffer
      - .actual_access:  read_only
        .address_space:  global
        .offset:         112
        .size:           8
        .value_kind:     global_buffer
      - .actual_access:  read_only
        .address_space:  global
        .offset:         120
        .size:           8
        .value_kind:     global_buffer
      - .address_space:  global
        .offset:         128
        .size:           8
        .value_kind:     global_buffer
      - .address_space:  global
        .offset:         136
        .size:           8
        .value_kind:     global_buffer
      - .offset:         144
        .size:           4
        .value_kind:     by_value
      - .address_space:  global
        .offset:         152
        .size:           8
        .value_kind:     global_buffer
      - .address_space:  global
        .offset:         160
        .size:           8
        .value_kind:     global_buffer
    .group_segment_fixed_size: 0
    .kernarg_segment_align: 8
    .kernarg_segment_size: 168
    .language:       OpenCL C
    .language_version:
      - 2
      - 0
    .max_flat_workgroup_size: 1024
    .name:           _ZN9rocsparseL14kernel_freerunILi1024ELi16EfiiEEvT3_S1_T2_PKS2_S4_PKS1_PKT1_21rocsparse_index_base_S4_S4_S6_PS7_SB_SA_S4_S4_S6_SB_SB_SA_SB_SB_
    .private_segment_fixed_size: 0
    .sgpr_count:     58
    .sgpr_spill_count: 0
    .symbol:         _ZN9rocsparseL14kernel_freerunILi1024ELi16EfiiEEvT3_S1_T2_PKS2_S4_PKS1_PKT1_21rocsparse_index_base_S4_S4_S6_PS7_SB_SA_S4_S4_S6_SB_SB_SA_SB_SB_.kd
    .uniform_work_group_size: 1
    .uses_dynamic_stack: false
    .vgpr_count:     37
    .vgpr_spill_count: 0
    .wavefront_size: 32
    .workgroup_processor_mode: 1
  - .args:
      - .offset:         0
        .size:           4
        .value_kind:     by_value
      - .offset:         4
        .size:           4
        .value_kind:     by_value
      - .offset:         8
        .size:           4
        .value_kind:     by_value
      - .actual_access:  read_only
        .address_space:  global
        .offset:         16
        .size:           8
        .value_kind:     global_buffer
      - .actual_access:  read_only
        .address_space:  global
        .offset:         24
        .size:           8
        .value_kind:     global_buffer
      - .actual_access:  read_only
        .address_space:  global
        .offset:         32
        .size:           8
        .value_kind:     global_buffer
      - .actual_access:  read_only
        .address_space:  global
        .offset:         40
        .size:           8
        .value_kind:     global_buffer
      - .offset:         48
        .size:           4
        .value_kind:     by_value
      - .actual_access:  read_only
        .address_space:  global
        .offset:         56
        .size:           8
        .value_kind:     global_buffer
      - .actual_access:  read_only
        .address_space:  global
        .offset:         64
        .size:           8
        .value_kind:     global_buffer
      - .actual_access:  read_only
        .address_space:  global
        .offset:         72
        .size:           8
        .value_kind:     global_buffer
      - .address_space:  global
        .offset:         80
        .size:           8
        .value_kind:     global_buffer
      - .address_space:  global
        .offset:         88
        .size:           8
        .value_kind:     global_buffer
      - .offset:         96
        .size:           4
        .value_kind:     by_value
      - .actual_access:  read_only
        .address_space:  global
        .offset:         104
        .size:           8
        .value_kind:     global_buffer
      - .actual_access:  read_only
        .address_space:  global
        .offset:         112
        .size:           8
        .value_kind:     global_buffer
      - .actual_access:  read_only
        .address_space:  global
        .offset:         120
        .size:           8
        .value_kind:     global_buffer
      - .address_space:  global
        .offset:         128
        .size:           8
        .value_kind:     global_buffer
      - .address_space:  global
        .offset:         136
        .size:           8
        .value_kind:     global_buffer
      - .offset:         144
        .size:           4
        .value_kind:     by_value
      - .address_space:  global
        .offset:         152
        .size:           8
        .value_kind:     global_buffer
      - .address_space:  global
        .offset:         160
        .size:           8
        .value_kind:     global_buffer
    .group_segment_fixed_size: 0
    .kernarg_segment_align: 8
    .kernarg_segment_size: 168
    .language:       OpenCL C
    .language_version:
      - 2
      - 0
    .max_flat_workgroup_size: 1024
    .name:           _ZN9rocsparseL14kernel_freerunILi1024ELi32EfiiEEvT3_S1_T2_PKS2_S4_PKS1_PKT1_21rocsparse_index_base_S4_S4_S6_PS7_SB_SA_S4_S4_S6_SB_SB_SA_SB_SB_
    .private_segment_fixed_size: 0
    .sgpr_count:     58
    .sgpr_spill_count: 0
    .symbol:         _ZN9rocsparseL14kernel_freerunILi1024ELi32EfiiEEvT3_S1_T2_PKS2_S4_PKS1_PKT1_21rocsparse_index_base_S4_S4_S6_PS7_SB_SA_S4_S4_S6_SB_SB_SA_SB_SB_.kd
    .uniform_work_group_size: 1
    .uses_dynamic_stack: false
    .vgpr_count:     37
    .vgpr_spill_count: 0
    .wavefront_size: 32
    .workgroup_processor_mode: 1
  - .args:
      - .offset:         0
        .size:           4
        .value_kind:     by_value
      - .offset:         4
        .size:           4
        .value_kind:     by_value
      - .offset:         8
        .size:           4
        .value_kind:     by_value
      - .actual_access:  read_only
        .address_space:  global
        .offset:         16
        .size:           8
        .value_kind:     global_buffer
      - .actual_access:  read_only
        .address_space:  global
        .offset:         24
        .size:           8
        .value_kind:     global_buffer
      - .actual_access:  read_only
        .address_space:  global
        .offset:         32
        .size:           8
        .value_kind:     global_buffer
      - .actual_access:  read_only
        .address_space:  global
        .offset:         40
        .size:           8
        .value_kind:     global_buffer
      - .offset:         48
        .size:           4
        .value_kind:     by_value
      - .actual_access:  read_only
        .address_space:  global
        .offset:         56
        .size:           8
        .value_kind:     global_buffer
      - .actual_access:  read_only
        .address_space:  global
        .offset:         64
        .size:           8
        .value_kind:     global_buffer
      - .actual_access:  read_only
        .address_space:  global
        .offset:         72
        .size:           8
        .value_kind:     global_buffer
      - .address_space:  global
        .offset:         80
        .size:           8
        .value_kind:     global_buffer
      - .address_space:  global
        .offset:         88
        .size:           8
        .value_kind:     global_buffer
      - .offset:         96
        .size:           4
        .value_kind:     by_value
      - .actual_access:  read_only
        .address_space:  global
        .offset:         104
        .size:           8
        .value_kind:     global_buffer
      - .actual_access:  read_only
        .address_space:  global
        .offset:         112
        .size:           8
        .value_kind:     global_buffer
      - .actual_access:  read_only
        .address_space:  global
        .offset:         120
        .size:           8
        .value_kind:     global_buffer
      - .address_space:  global
        .offset:         128
        .size:           8
        .value_kind:     global_buffer
      - .address_space:  global
        .offset:         136
        .size:           8
        .value_kind:     global_buffer
      - .offset:         144
        .size:           4
        .value_kind:     by_value
      - .address_space:  global
        .offset:         152
        .size:           8
        .value_kind:     global_buffer
      - .address_space:  global
        .offset:         160
        .size:           8
        .value_kind:     global_buffer
    .group_segment_fixed_size: 0
    .kernarg_segment_align: 8
    .kernarg_segment_size: 168
    .language:       OpenCL C
    .language_version:
      - 2
      - 0
    .max_flat_workgroup_size: 1024
    .name:           _ZN9rocsparseL14kernel_freerunILi1024ELi64EfiiEEvT3_S1_T2_PKS2_S4_PKS1_PKT1_21rocsparse_index_base_S4_S4_S6_PS7_SB_SA_S4_S4_S6_SB_SB_SA_SB_SB_
    .private_segment_fixed_size: 0
    .sgpr_count:     58
    .sgpr_spill_count: 0
    .symbol:         _ZN9rocsparseL14kernel_freerunILi1024ELi64EfiiEEvT3_S1_T2_PKS2_S4_PKS1_PKT1_21rocsparse_index_base_S4_S4_S6_PS7_SB_SA_S4_S4_S6_SB_SB_SA_SB_SB_.kd
    .uniform_work_group_size: 1
    .uses_dynamic_stack: false
    .vgpr_count:     37
    .vgpr_spill_count: 0
    .wavefront_size: 32
    .workgroup_processor_mode: 1
  - .args:
      - .offset:         0
        .size:           1
        .value_kind:     by_value
      - .offset:         1
        .size:           1
        .value_kind:     by_value
      - .offset:         2
        .size:           1
        .value_kind:     by_value
      - .offset:         4
        .size:           4
        .value_kind:     by_value
      - .address_space:  global
        .offset:         8
        .size:           8
        .value_kind:     global_buffer
      - .offset:         16
        .size:           4
        .value_kind:     by_value
      - .offset:         20
        .size:           4
        .value_kind:     by_value
      - .offset:         24
        .size:           4
        .value_kind:     by_value
      - .actual_access:  read_only
        .address_space:  global
        .offset:         32
        .size:           8
        .value_kind:     global_buffer
      - .actual_access:  read_only
        .address_space:  global
        .offset:         40
        .size:           8
        .value_kind:     global_buffer
      - .actual_access:  read_only
        .address_space:  global
        .offset:         48
        .size:           8
        .value_kind:     global_buffer
      - .actual_access:  read_only
        .address_space:  global
        .offset:         56
        .size:           8
        .value_kind:     global_buffer
      - .offset:         64
        .size:           4
        .value_kind:     by_value
      - .actual_access:  read_only
        .address_space:  global
        .offset:         72
        .size:           8
        .value_kind:     global_buffer
      - .actual_access:  read_only
        .address_space:  global
        .offset:         80
        .size:           8
        .value_kind:     global_buffer
      - .actual_access:  read_only
        .address_space:  global
        .offset:         88
        .size:           8
        .value_kind:     global_buffer
      - .address_space:  global
        .offset:         96
        .size:           8
        .value_kind:     global_buffer
      - .address_space:  global
        .offset:         104
        .size:           8
        .value_kind:     global_buffer
      - .offset:         112
        .size:           4
        .value_kind:     by_value
      - .actual_access:  read_only
        .address_space:  global
        .offset:         120
        .size:           8
        .value_kind:     global_buffer
      - .actual_access:  read_only
        .address_space:  global
        .offset:         128
        .size:           8
        .value_kind:     global_buffer
      - .actual_access:  read_only
        .address_space:  global
        .offset:         136
        .size:           8
        .value_kind:     global_buffer
      - .address_space:  global
        .offset:         144
        .size:           8
        .value_kind:     global_buffer
      - .address_space:  global
        .offset:         152
        .size:           8
        .value_kind:     global_buffer
      - .offset:         160
        .size:           4
        .value_kind:     by_value
      - .address_space:  global
        .offset:         168
        .size:           8
        .value_kind:     global_buffer
      - .address_space:  global
        .offset:         176
        .size:           8
        .value_kind:     global_buffer
      - .address_space:  global
        .offset:         184
        .size:           8
        .value_kind:     global_buffer
      - .address_space:  global
        .offset:         192
        .size:           8
        .value_kind:     global_buffer
      - .actual_access:  read_only
        .address_space:  global
        .offset:         200
        .size:           8
        .value_kind:     global_buffer
    .group_segment_fixed_size: 8192
    .kernarg_segment_align: 8
    .kernarg_segment_size: 208
    .language:       OpenCL C
    .language_version:
      - 2
      - 0
    .max_flat_workgroup_size: 1024
    .name:           _ZN9rocsparseL6kernelILi1024ELi1EfiiEEvbbbT3_PS1_NS_15floating_traitsIT1_E6data_tES1_T2_PKS7_S9_PKS1_PKS4_21rocsparse_index_base_S9_S9_SB_PS4_SF_SE_S9_S9_SB_SF_SF_SE_SF_SF_PS6_SG_PKS6_
    .private_segment_fixed_size: 0
    .sgpr_count:     80
    .sgpr_spill_count: 0
    .symbol:         _ZN9rocsparseL6kernelILi1024ELi1EfiiEEvbbbT3_PS1_NS_15floating_traitsIT1_E6data_tES1_T2_PKS7_S9_PKS1_PKS4_21rocsparse_index_base_S9_S9_SB_PS4_SF_SE_S9_S9_SB_SF_SF_SE_SF_SF_PS6_SG_PKS6_.kd
    .uniform_work_group_size: 1
    .uses_dynamic_stack: false
    .vgpr_count:     38
    .vgpr_spill_count: 0
    .wavefront_size: 32
    .workgroup_processor_mode: 1
  - .args:
      - .offset:         0
        .size:           1
        .value_kind:     by_value
      - .offset:         1
        .size:           1
        .value_kind:     by_value
      - .offset:         2
        .size:           1
        .value_kind:     by_value
      - .offset:         4
        .size:           4
        .value_kind:     by_value
      - .address_space:  global
        .offset:         8
        .size:           8
        .value_kind:     global_buffer
      - .offset:         16
        .size:           4
        .value_kind:     by_value
      - .offset:         20
        .size:           4
        .value_kind:     by_value
      - .offset:         24
        .size:           4
        .value_kind:     by_value
      - .actual_access:  read_only
        .address_space:  global
        .offset:         32
        .size:           8
        .value_kind:     global_buffer
      - .actual_access:  read_only
        .address_space:  global
        .offset:         40
        .size:           8
        .value_kind:     global_buffer
      - .actual_access:  read_only
        .address_space:  global
        .offset:         48
        .size:           8
        .value_kind:     global_buffer
      - .actual_access:  read_only
        .address_space:  global
        .offset:         56
        .size:           8
        .value_kind:     global_buffer
      - .offset:         64
        .size:           4
        .value_kind:     by_value
      - .actual_access:  read_only
        .address_space:  global
        .offset:         72
        .size:           8
        .value_kind:     global_buffer
      - .actual_access:  read_only
        .address_space:  global
        .offset:         80
        .size:           8
        .value_kind:     global_buffer
      - .actual_access:  read_only
        .address_space:  global
        .offset:         88
        .size:           8
        .value_kind:     global_buffer
      - .address_space:  global
        .offset:         96
        .size:           8
        .value_kind:     global_buffer
      - .address_space:  global
        .offset:         104
        .size:           8
        .value_kind:     global_buffer
      - .offset:         112
        .size:           4
        .value_kind:     by_value
      - .actual_access:  read_only
        .address_space:  global
        .offset:         120
        .size:           8
        .value_kind:     global_buffer
      - .actual_access:  read_only
        .address_space:  global
        .offset:         128
        .size:           8
        .value_kind:     global_buffer
      - .actual_access:  read_only
        .address_space:  global
        .offset:         136
        .size:           8
        .value_kind:     global_buffer
      - .address_space:  global
        .offset:         144
        .size:           8
        .value_kind:     global_buffer
      - .address_space:  global
        .offset:         152
        .size:           8
        .value_kind:     global_buffer
      - .offset:         160
        .size:           4
        .value_kind:     by_value
      - .address_space:  global
        .offset:         168
        .size:           8
        .value_kind:     global_buffer
      - .address_space:  global
        .offset:         176
        .size:           8
        .value_kind:     global_buffer
      - .address_space:  global
        .offset:         184
        .size:           8
        .value_kind:     global_buffer
      - .address_space:  global
        .offset:         192
        .size:           8
        .value_kind:     global_buffer
      - .actual_access:  read_only
        .address_space:  global
        .offset:         200
        .size:           8
        .value_kind:     global_buffer
    .group_segment_fixed_size: 4096
    .kernarg_segment_align: 8
    .kernarg_segment_size: 208
    .language:       OpenCL C
    .language_version:
      - 2
      - 0
    .max_flat_workgroup_size: 1024
    .name:           _ZN9rocsparseL6kernelILi1024ELi2EfiiEEvbbbT3_PS1_NS_15floating_traitsIT1_E6data_tES1_T2_PKS7_S9_PKS1_PKS4_21rocsparse_index_base_S9_S9_SB_PS4_SF_SE_S9_S9_SB_SF_SF_SE_SF_SF_PS6_SG_PKS6_
    .private_segment_fixed_size: 0
    .sgpr_count:     86
    .sgpr_spill_count: 0
    .symbol:         _ZN9rocsparseL6kernelILi1024ELi2EfiiEEvbbbT3_PS1_NS_15floating_traitsIT1_E6data_tES1_T2_PKS7_S9_PKS1_PKS4_21rocsparse_index_base_S9_S9_SB_PS4_SF_SE_S9_S9_SB_SF_SF_SE_SF_SF_PS6_SG_PKS6_.kd
    .uniform_work_group_size: 1
    .uses_dynamic_stack: false
    .vgpr_count:     45
    .vgpr_spill_count: 0
    .wavefront_size: 32
    .workgroup_processor_mode: 1
  - .args:
      - .offset:         0
        .size:           1
        .value_kind:     by_value
      - .offset:         1
        .size:           1
        .value_kind:     by_value
      - .offset:         2
        .size:           1
        .value_kind:     by_value
      - .offset:         4
        .size:           4
        .value_kind:     by_value
      - .address_space:  global
        .offset:         8
        .size:           8
        .value_kind:     global_buffer
      - .offset:         16
        .size:           4
        .value_kind:     by_value
      - .offset:         20
        .size:           4
        .value_kind:     by_value
      - .offset:         24
        .size:           4
        .value_kind:     by_value
      - .actual_access:  read_only
        .address_space:  global
        .offset:         32
        .size:           8
        .value_kind:     global_buffer
      - .actual_access:  read_only
        .address_space:  global
        .offset:         40
        .size:           8
        .value_kind:     global_buffer
      - .actual_access:  read_only
        .address_space:  global
        .offset:         48
        .size:           8
        .value_kind:     global_buffer
      - .actual_access:  read_only
        .address_space:  global
        .offset:         56
        .size:           8
        .value_kind:     global_buffer
      - .offset:         64
        .size:           4
        .value_kind:     by_value
      - .actual_access:  read_only
        .address_space:  global
        .offset:         72
        .size:           8
        .value_kind:     global_buffer
      - .actual_access:  read_only
        .address_space:  global
        .offset:         80
        .size:           8
        .value_kind:     global_buffer
      - .actual_access:  read_only
        .address_space:  global
        .offset:         88
        .size:           8
        .value_kind:     global_buffer
      - .address_space:  global
        .offset:         96
        .size:           8
        .value_kind:     global_buffer
      - .address_space:  global
        .offset:         104
        .size:           8
        .value_kind:     global_buffer
      - .offset:         112
        .size:           4
        .value_kind:     by_value
      - .actual_access:  read_only
        .address_space:  global
        .offset:         120
        .size:           8
        .value_kind:     global_buffer
      - .actual_access:  read_only
        .address_space:  global
        .offset:         128
        .size:           8
        .value_kind:     global_buffer
      - .actual_access:  read_only
        .address_space:  global
        .offset:         136
        .size:           8
        .value_kind:     global_buffer
      - .address_space:  global
        .offset:         144
        .size:           8
        .value_kind:     global_buffer
      - .address_space:  global
        .offset:         152
        .size:           8
        .value_kind:     global_buffer
      - .offset:         160
        .size:           4
        .value_kind:     by_value
      - .address_space:  global
        .offset:         168
        .size:           8
        .value_kind:     global_buffer
      - .address_space:  global
        .offset:         176
        .size:           8
        .value_kind:     global_buffer
      - .address_space:  global
        .offset:         184
        .size:           8
        .value_kind:     global_buffer
      - .address_space:  global
        .offset:         192
        .size:           8
        .value_kind:     global_buffer
      - .actual_access:  read_only
        .address_space:  global
        .offset:         200
        .size:           8
        .value_kind:     global_buffer
    .group_segment_fixed_size: 2048
    .kernarg_segment_align: 8
    .kernarg_segment_size: 208
    .language:       OpenCL C
    .language_version:
      - 2
      - 0
    .max_flat_workgroup_size: 1024
    .name:           _ZN9rocsparseL6kernelILi1024ELi4EfiiEEvbbbT3_PS1_NS_15floating_traitsIT1_E6data_tES1_T2_PKS7_S9_PKS1_PKS4_21rocsparse_index_base_S9_S9_SB_PS4_SF_SE_S9_S9_SB_SF_SF_SE_SF_SF_PS6_SG_PKS6_
    .private_segment_fixed_size: 0
    .sgpr_count:     85
    .sgpr_spill_count: 0
    .symbol:         _ZN9rocsparseL6kernelILi1024ELi4EfiiEEvbbbT3_PS1_NS_15floating_traitsIT1_E6data_tES1_T2_PKS7_S9_PKS1_PKS4_21rocsparse_index_base_S9_S9_SB_PS4_SF_SE_S9_S9_SB_SF_SF_SE_SF_SF_PS6_SG_PKS6_.kd
    .uniform_work_group_size: 1
    .uses_dynamic_stack: false
    .vgpr_count:     45
    .vgpr_spill_count: 0
    .wavefront_size: 32
    .workgroup_processor_mode: 1
  - .args:
      - .offset:         0
        .size:           1
        .value_kind:     by_value
      - .offset:         1
        .size:           1
        .value_kind:     by_value
      - .offset:         2
        .size:           1
        .value_kind:     by_value
      - .offset:         4
        .size:           4
        .value_kind:     by_value
      - .address_space:  global
        .offset:         8
        .size:           8
        .value_kind:     global_buffer
      - .offset:         16
        .size:           4
        .value_kind:     by_value
      - .offset:         20
        .size:           4
        .value_kind:     by_value
      - .offset:         24
        .size:           4
        .value_kind:     by_value
      - .actual_access:  read_only
        .address_space:  global
        .offset:         32
        .size:           8
        .value_kind:     global_buffer
      - .actual_access:  read_only
        .address_space:  global
        .offset:         40
        .size:           8
        .value_kind:     global_buffer
      - .actual_access:  read_only
        .address_space:  global
        .offset:         48
        .size:           8
        .value_kind:     global_buffer
      - .actual_access:  read_only
        .address_space:  global
        .offset:         56
        .size:           8
        .value_kind:     global_buffer
      - .offset:         64
        .size:           4
        .value_kind:     by_value
      - .actual_access:  read_only
        .address_space:  global
        .offset:         72
        .size:           8
        .value_kind:     global_buffer
      - .actual_access:  read_only
        .address_space:  global
        .offset:         80
        .size:           8
        .value_kind:     global_buffer
      - .actual_access:  read_only
        .address_space:  global
        .offset:         88
        .size:           8
        .value_kind:     global_buffer
      - .address_space:  global
        .offset:         96
        .size:           8
        .value_kind:     global_buffer
      - .address_space:  global
        .offset:         104
        .size:           8
        .value_kind:     global_buffer
      - .offset:         112
        .size:           4
        .value_kind:     by_value
      - .actual_access:  read_only
        .address_space:  global
        .offset:         120
        .size:           8
        .value_kind:     global_buffer
      - .actual_access:  read_only
        .address_space:  global
        .offset:         128
        .size:           8
        .value_kind:     global_buffer
      - .actual_access:  read_only
        .address_space:  global
        .offset:         136
        .size:           8
        .value_kind:     global_buffer
      - .address_space:  global
        .offset:         144
        .size:           8
        .value_kind:     global_buffer
      - .address_space:  global
        .offset:         152
        .size:           8
        .value_kind:     global_buffer
      - .offset:         160
        .size:           4
        .value_kind:     by_value
      - .address_space:  global
        .offset:         168
        .size:           8
        .value_kind:     global_buffer
      - .address_space:  global
        .offset:         176
        .size:           8
        .value_kind:     global_buffer
      - .address_space:  global
        .offset:         184
        .size:           8
        .value_kind:     global_buffer
      - .address_space:  global
        .offset:         192
        .size:           8
        .value_kind:     global_buffer
      - .actual_access:  read_only
        .address_space:  global
        .offset:         200
        .size:           8
        .value_kind:     global_buffer
    .group_segment_fixed_size: 1024
    .kernarg_segment_align: 8
    .kernarg_segment_size: 208
    .language:       OpenCL C
    .language_version:
      - 2
      - 0
    .max_flat_workgroup_size: 1024
    .name:           _ZN9rocsparseL6kernelILi1024ELi8EfiiEEvbbbT3_PS1_NS_15floating_traitsIT1_E6data_tES1_T2_PKS7_S9_PKS1_PKS4_21rocsparse_index_base_S9_S9_SB_PS4_SF_SE_S9_S9_SB_SF_SF_SE_SF_SF_PS6_SG_PKS6_
    .private_segment_fixed_size: 0
    .sgpr_count:     84
    .sgpr_spill_count: 0
    .symbol:         _ZN9rocsparseL6kernelILi1024ELi8EfiiEEvbbbT3_PS1_NS_15floating_traitsIT1_E6data_tES1_T2_PKS7_S9_PKS1_PKS4_21rocsparse_index_base_S9_S9_SB_PS4_SF_SE_S9_S9_SB_SF_SF_SE_SF_SF_PS6_SG_PKS6_.kd
    .uniform_work_group_size: 1
    .uses_dynamic_stack: false
    .vgpr_count:     45
    .vgpr_spill_count: 0
    .wavefront_size: 32
    .workgroup_processor_mode: 1
  - .args:
      - .offset:         0
        .size:           1
        .value_kind:     by_value
      - .offset:         1
        .size:           1
        .value_kind:     by_value
      - .offset:         2
        .size:           1
        .value_kind:     by_value
      - .offset:         4
        .size:           4
        .value_kind:     by_value
      - .address_space:  global
        .offset:         8
        .size:           8
        .value_kind:     global_buffer
      - .offset:         16
        .size:           4
        .value_kind:     by_value
      - .offset:         20
        .size:           4
        .value_kind:     by_value
      - .offset:         24
        .size:           4
        .value_kind:     by_value
      - .actual_access:  read_only
        .address_space:  global
        .offset:         32
        .size:           8
        .value_kind:     global_buffer
      - .actual_access:  read_only
        .address_space:  global
        .offset:         40
        .size:           8
        .value_kind:     global_buffer
      - .actual_access:  read_only
        .address_space:  global
        .offset:         48
        .size:           8
        .value_kind:     global_buffer
      - .actual_access:  read_only
        .address_space:  global
        .offset:         56
        .size:           8
        .value_kind:     global_buffer
      - .offset:         64
        .size:           4
        .value_kind:     by_value
      - .actual_access:  read_only
        .address_space:  global
        .offset:         72
        .size:           8
        .value_kind:     global_buffer
      - .actual_access:  read_only
        .address_space:  global
        .offset:         80
        .size:           8
        .value_kind:     global_buffer
      - .actual_access:  read_only
        .address_space:  global
        .offset:         88
        .size:           8
        .value_kind:     global_buffer
      - .address_space:  global
        .offset:         96
        .size:           8
        .value_kind:     global_buffer
      - .address_space:  global
        .offset:         104
        .size:           8
        .value_kind:     global_buffer
      - .offset:         112
        .size:           4
        .value_kind:     by_value
      - .actual_access:  read_only
        .address_space:  global
        .offset:         120
        .size:           8
        .value_kind:     global_buffer
      - .actual_access:  read_only
        .address_space:  global
        .offset:         128
        .size:           8
        .value_kind:     global_buffer
      - .actual_access:  read_only
        .address_space:  global
        .offset:         136
        .size:           8
        .value_kind:     global_buffer
      - .address_space:  global
        .offset:         144
        .size:           8
        .value_kind:     global_buffer
      - .address_space:  global
        .offset:         152
        .size:           8
        .value_kind:     global_buffer
      - .offset:         160
        .size:           4
        .value_kind:     by_value
      - .address_space:  global
        .offset:         168
        .size:           8
        .value_kind:     global_buffer
      - .address_space:  global
        .offset:         176
        .size:           8
        .value_kind:     global_buffer
      - .address_space:  global
        .offset:         184
        .size:           8
        .value_kind:     global_buffer
      - .address_space:  global
        .offset:         192
        .size:           8
        .value_kind:     global_buffer
      - .actual_access:  read_only
        .address_space:  global
        .offset:         200
        .size:           8
        .value_kind:     global_buffer
    .group_segment_fixed_size: 512
    .kernarg_segment_align: 8
    .kernarg_segment_size: 208
    .language:       OpenCL C
    .language_version:
      - 2
      - 0
    .max_flat_workgroup_size: 1024
    .name:           _ZN9rocsparseL6kernelILi1024ELi16EfiiEEvbbbT3_PS1_NS_15floating_traitsIT1_E6data_tES1_T2_PKS7_S9_PKS1_PKS4_21rocsparse_index_base_S9_S9_SB_PS4_SF_SE_S9_S9_SB_SF_SF_SE_SF_SF_PS6_SG_PKS6_
    .private_segment_fixed_size: 0
    .sgpr_count:     83
    .sgpr_spill_count: 0
    .symbol:         _ZN9rocsparseL6kernelILi1024ELi16EfiiEEvbbbT3_PS1_NS_15floating_traitsIT1_E6data_tES1_T2_PKS7_S9_PKS1_PKS4_21rocsparse_index_base_S9_S9_SB_PS4_SF_SE_S9_S9_SB_SF_SF_SE_SF_SF_PS6_SG_PKS6_.kd
    .uniform_work_group_size: 1
    .uses_dynamic_stack: false
    .vgpr_count:     45
    .vgpr_spill_count: 0
    .wavefront_size: 32
    .workgroup_processor_mode: 1
  - .args:
      - .offset:         0
        .size:           1
        .value_kind:     by_value
      - .offset:         1
        .size:           1
        .value_kind:     by_value
      - .offset:         2
        .size:           1
        .value_kind:     by_value
      - .offset:         4
        .size:           4
        .value_kind:     by_value
      - .address_space:  global
        .offset:         8
        .size:           8
        .value_kind:     global_buffer
      - .offset:         16
        .size:           4
        .value_kind:     by_value
      - .offset:         20
        .size:           4
        .value_kind:     by_value
      - .offset:         24
        .size:           4
        .value_kind:     by_value
      - .actual_access:  read_only
        .address_space:  global
        .offset:         32
        .size:           8
        .value_kind:     global_buffer
      - .actual_access:  read_only
        .address_space:  global
        .offset:         40
        .size:           8
        .value_kind:     global_buffer
      - .actual_access:  read_only
        .address_space:  global
        .offset:         48
        .size:           8
        .value_kind:     global_buffer
      - .actual_access:  read_only
        .address_space:  global
        .offset:         56
        .size:           8
        .value_kind:     global_buffer
      - .offset:         64
        .size:           4
        .value_kind:     by_value
      - .actual_access:  read_only
        .address_space:  global
        .offset:         72
        .size:           8
        .value_kind:     global_buffer
      - .actual_access:  read_only
        .address_space:  global
        .offset:         80
        .size:           8
        .value_kind:     global_buffer
      - .actual_access:  read_only
        .address_space:  global
        .offset:         88
        .size:           8
        .value_kind:     global_buffer
      - .address_space:  global
        .offset:         96
        .size:           8
        .value_kind:     global_buffer
      - .address_space:  global
        .offset:         104
        .size:           8
        .value_kind:     global_buffer
      - .offset:         112
        .size:           4
        .value_kind:     by_value
      - .actual_access:  read_only
        .address_space:  global
        .offset:         120
        .size:           8
        .value_kind:     global_buffer
      - .actual_access:  read_only
        .address_space:  global
        .offset:         128
        .size:           8
        .value_kind:     global_buffer
      - .actual_access:  read_only
        .address_space:  global
        .offset:         136
        .size:           8
        .value_kind:     global_buffer
      - .address_space:  global
        .offset:         144
        .size:           8
        .value_kind:     global_buffer
      - .address_space:  global
        .offset:         152
        .size:           8
        .value_kind:     global_buffer
      - .offset:         160
        .size:           4
        .value_kind:     by_value
      - .address_space:  global
        .offset:         168
        .size:           8
        .value_kind:     global_buffer
      - .address_space:  global
        .offset:         176
        .size:           8
        .value_kind:     global_buffer
      - .address_space:  global
        .offset:         184
        .size:           8
        .value_kind:     global_buffer
      - .address_space:  global
        .offset:         192
        .size:           8
        .value_kind:     global_buffer
      - .actual_access:  read_only
        .address_space:  global
        .offset:         200
        .size:           8
        .value_kind:     global_buffer
    .group_segment_fixed_size: 256
    .kernarg_segment_align: 8
    .kernarg_segment_size: 208
    .language:       OpenCL C
    .language_version:
      - 2
      - 0
    .max_flat_workgroup_size: 1024
    .name:           _ZN9rocsparseL6kernelILi1024ELi32EfiiEEvbbbT3_PS1_NS_15floating_traitsIT1_E6data_tES1_T2_PKS7_S9_PKS1_PKS4_21rocsparse_index_base_S9_S9_SB_PS4_SF_SE_S9_S9_SB_SF_SF_SE_SF_SF_PS6_SG_PKS6_
    .private_segment_fixed_size: 0
    .sgpr_count:     82
    .sgpr_spill_count: 0
    .symbol:         _ZN9rocsparseL6kernelILi1024ELi32EfiiEEvbbbT3_PS1_NS_15floating_traitsIT1_E6data_tES1_T2_PKS7_S9_PKS1_PKS4_21rocsparse_index_base_S9_S9_SB_PS4_SF_SE_S9_S9_SB_SF_SF_SE_SF_SF_PS6_SG_PKS6_.kd
    .uniform_work_group_size: 1
    .uses_dynamic_stack: false
    .vgpr_count:     45
    .vgpr_spill_count: 0
    .wavefront_size: 32
    .workgroup_processor_mode: 1
  - .args:
      - .offset:         0
        .size:           1
        .value_kind:     by_value
      - .offset:         1
        .size:           1
        .value_kind:     by_value
      - .offset:         2
        .size:           1
        .value_kind:     by_value
      - .offset:         4
        .size:           4
        .value_kind:     by_value
      - .address_space:  global
        .offset:         8
        .size:           8
        .value_kind:     global_buffer
      - .offset:         16
        .size:           4
        .value_kind:     by_value
      - .offset:         20
        .size:           4
        .value_kind:     by_value
      - .offset:         24
        .size:           4
        .value_kind:     by_value
      - .actual_access:  read_only
        .address_space:  global
        .offset:         32
        .size:           8
        .value_kind:     global_buffer
      - .actual_access:  read_only
        .address_space:  global
        .offset:         40
        .size:           8
        .value_kind:     global_buffer
      - .actual_access:  read_only
        .address_space:  global
        .offset:         48
        .size:           8
        .value_kind:     global_buffer
      - .actual_access:  read_only
        .address_space:  global
        .offset:         56
        .size:           8
        .value_kind:     global_buffer
      - .offset:         64
        .size:           4
        .value_kind:     by_value
      - .actual_access:  read_only
        .address_space:  global
        .offset:         72
        .size:           8
        .value_kind:     global_buffer
      - .actual_access:  read_only
        .address_space:  global
        .offset:         80
        .size:           8
        .value_kind:     global_buffer
      - .actual_access:  read_only
        .address_space:  global
        .offset:         88
        .size:           8
        .value_kind:     global_buffer
      - .address_space:  global
        .offset:         96
        .size:           8
        .value_kind:     global_buffer
      - .address_space:  global
        .offset:         104
        .size:           8
        .value_kind:     global_buffer
      - .offset:         112
        .size:           4
        .value_kind:     by_value
      - .actual_access:  read_only
        .address_space:  global
        .offset:         120
        .size:           8
        .value_kind:     global_buffer
      - .actual_access:  read_only
        .address_space:  global
        .offset:         128
        .size:           8
        .value_kind:     global_buffer
      - .actual_access:  read_only
        .address_space:  global
        .offset:         136
        .size:           8
        .value_kind:     global_buffer
      - .address_space:  global
        .offset:         144
        .size:           8
        .value_kind:     global_buffer
      - .address_space:  global
        .offset:         152
        .size:           8
        .value_kind:     global_buffer
      - .offset:         160
        .size:           4
        .value_kind:     by_value
      - .address_space:  global
        .offset:         168
        .size:           8
        .value_kind:     global_buffer
      - .address_space:  global
        .offset:         176
        .size:           8
        .value_kind:     global_buffer
      - .address_space:  global
        .offset:         184
        .size:           8
        .value_kind:     global_buffer
      - .address_space:  global
        .offset:         192
        .size:           8
        .value_kind:     global_buffer
      - .actual_access:  read_only
        .address_space:  global
        .offset:         200
        .size:           8
        .value_kind:     global_buffer
    .group_segment_fixed_size: 128
    .kernarg_segment_align: 8
    .kernarg_segment_size: 208
    .language:       OpenCL C
    .language_version:
      - 2
      - 0
    .max_flat_workgroup_size: 1024
    .name:           _ZN9rocsparseL6kernelILi1024ELi64EfiiEEvbbbT3_PS1_NS_15floating_traitsIT1_E6data_tES1_T2_PKS7_S9_PKS1_PKS4_21rocsparse_index_base_S9_S9_SB_PS4_SF_SE_S9_S9_SB_SF_SF_SE_SF_SF_PS6_SG_PKS6_
    .private_segment_fixed_size: 0
    .sgpr_count:     81
    .sgpr_spill_count: 0
    .symbol:         _ZN9rocsparseL6kernelILi1024ELi64EfiiEEvbbbT3_PS1_NS_15floating_traitsIT1_E6data_tES1_T2_PKS7_S9_PKS1_PKS4_21rocsparse_index_base_S9_S9_SB_PS4_SF_SE_S9_S9_SB_SF_SF_SE_SF_SF_PS6_SG_PKS6_.kd
    .uniform_work_group_size: 1
    .uses_dynamic_stack: false
    .vgpr_count:     45
    .vgpr_spill_count: 0
    .wavefront_size: 32
    .workgroup_processor_mode: 1
  - .args:
      - .offset:         0
        .size:           4
        .value_kind:     by_value
      - .offset:         4
        .size:           4
        .value_kind:     by_value
      - .offset:         8
        .size:           4
        .value_kind:     by_value
      - .actual_access:  read_only
        .address_space:  global
        .offset:         16
        .size:           8
        .value_kind:     global_buffer
      - .actual_access:  read_only
        .address_space:  global
        .offset:         24
        .size:           8
        .value_kind:     global_buffer
      - .actual_access:  read_only
        .address_space:  global
        .offset:         32
        .size:           8
        .value_kind:     global_buffer
      - .actual_access:  read_only
        .address_space:  global
        .offset:         40
        .size:           8
        .value_kind:     global_buffer
      - .offset:         48
        .size:           4
        .value_kind:     by_value
      - .actual_access:  read_only
        .address_space:  global
        .offset:         56
        .size:           8
        .value_kind:     global_buffer
      - .actual_access:  read_only
        .address_space:  global
        .offset:         64
        .size:           8
        .value_kind:     global_buffer
      - .actual_access:  read_only
        .address_space:  global
        .offset:         72
        .size:           8
        .value_kind:     global_buffer
      - .address_space:  global
        .offset:         80
        .size:           8
        .value_kind:     global_buffer
      - .address_space:  global
        .offset:         88
        .size:           8
        .value_kind:     global_buffer
      - .offset:         96
        .size:           4
        .value_kind:     by_value
      - .actual_access:  read_only
        .address_space:  global
        .offset:         104
        .size:           8
        .value_kind:     global_buffer
      - .actual_access:  read_only
        .address_space:  global
        .offset:         112
        .size:           8
        .value_kind:     global_buffer
      - .actual_access:  read_only
        .address_space:  global
        .offset:         120
        .size:           8
        .value_kind:     global_buffer
      - .address_space:  global
        .offset:         128
        .size:           8
        .value_kind:     global_buffer
      - .address_space:  global
        .offset:         136
        .size:           8
        .value_kind:     global_buffer
      - .offset:         144
        .size:           4
        .value_kind:     by_value
      - .address_space:  global
        .offset:         152
        .size:           8
        .value_kind:     global_buffer
      - .address_space:  global
        .offset:         160
        .size:           8
        .value_kind:     global_buffer
    .group_segment_fixed_size: 0
    .kernarg_segment_align: 8
    .kernarg_segment_size: 168
    .language:       OpenCL C
    .language_version:
      - 2
      - 0
    .max_flat_workgroup_size: 1024
    .name:           _ZN9rocsparseL14kernel_freerunILi1024ELi1EdiiEEvT3_S1_T2_PKS2_S4_PKS1_PKT1_21rocsparse_index_base_S4_S4_S6_PS7_SB_SA_S4_S4_S6_SB_SB_SA_SB_SB_
    .private_segment_fixed_size: 0
    .sgpr_count:     53
    .sgpr_spill_count: 0
    .symbol:         _ZN9rocsparseL14kernel_freerunILi1024ELi1EdiiEEvT3_S1_T2_PKS2_S4_PKS1_PKT1_21rocsparse_index_base_S4_S4_S6_PS7_SB_SA_S4_S4_S6_SB_SB_SA_SB_SB_.kd
    .uniform_work_group_size: 1
    .uses_dynamic_stack: false
    .vgpr_count:     31
    .vgpr_spill_count: 0
    .wavefront_size: 32
    .workgroup_processor_mode: 1
  - .args:
      - .offset:         0
        .size:           4
        .value_kind:     by_value
      - .offset:         4
        .size:           4
        .value_kind:     by_value
      - .offset:         8
        .size:           4
        .value_kind:     by_value
      - .actual_access:  read_only
        .address_space:  global
        .offset:         16
        .size:           8
        .value_kind:     global_buffer
      - .actual_access:  read_only
        .address_space:  global
        .offset:         24
        .size:           8
        .value_kind:     global_buffer
      - .actual_access:  read_only
        .address_space:  global
        .offset:         32
        .size:           8
        .value_kind:     global_buffer
      - .actual_access:  read_only
        .address_space:  global
        .offset:         40
        .size:           8
        .value_kind:     global_buffer
      - .offset:         48
        .size:           4
        .value_kind:     by_value
      - .actual_access:  read_only
        .address_space:  global
        .offset:         56
        .size:           8
        .value_kind:     global_buffer
      - .actual_access:  read_only
        .address_space:  global
        .offset:         64
        .size:           8
        .value_kind:     global_buffer
      - .actual_access:  read_only
        .address_space:  global
        .offset:         72
        .size:           8
        .value_kind:     global_buffer
      - .address_space:  global
        .offset:         80
        .size:           8
        .value_kind:     global_buffer
      - .address_space:  global
        .offset:         88
        .size:           8
        .value_kind:     global_buffer
      - .offset:         96
        .size:           4
        .value_kind:     by_value
      - .actual_access:  read_only
        .address_space:  global
        .offset:         104
        .size:           8
        .value_kind:     global_buffer
      - .actual_access:  read_only
        .address_space:  global
        .offset:         112
        .size:           8
        .value_kind:     global_buffer
      - .actual_access:  read_only
        .address_space:  global
        .offset:         120
        .size:           8
        .value_kind:     global_buffer
      - .address_space:  global
        .offset:         128
        .size:           8
        .value_kind:     global_buffer
      - .address_space:  global
        .offset:         136
        .size:           8
        .value_kind:     global_buffer
      - .offset:         144
        .size:           4
        .value_kind:     by_value
      - .address_space:  global
        .offset:         152
        .size:           8
        .value_kind:     global_buffer
      - .address_space:  global
        .offset:         160
        .size:           8
        .value_kind:     global_buffer
    .group_segment_fixed_size: 0
    .kernarg_segment_align: 8
    .kernarg_segment_size: 168
    .language:       OpenCL C
    .language_version:
      - 2
      - 0
    .max_flat_workgroup_size: 1024
    .name:           _ZN9rocsparseL14kernel_freerunILi1024ELi2EdiiEEvT3_S1_T2_PKS2_S4_PKS1_PKT1_21rocsparse_index_base_S4_S4_S6_PS7_SB_SA_S4_S4_S6_SB_SB_SA_SB_SB_
    .private_segment_fixed_size: 0
    .sgpr_count:     56
    .sgpr_spill_count: 0
    .symbol:         _ZN9rocsparseL14kernel_freerunILi1024ELi2EdiiEEvT3_S1_T2_PKS2_S4_PKS1_PKT1_21rocsparse_index_base_S4_S4_S6_PS7_SB_SA_S4_S4_S6_SB_SB_SA_SB_SB_.kd
    .uniform_work_group_size: 1
    .uses_dynamic_stack: false
    .vgpr_count:     50
    .vgpr_spill_count: 0
    .wavefront_size: 32
    .workgroup_processor_mode: 1
  - .args:
      - .offset:         0
        .size:           4
        .value_kind:     by_value
      - .offset:         4
        .size:           4
        .value_kind:     by_value
      - .offset:         8
        .size:           4
        .value_kind:     by_value
      - .actual_access:  read_only
        .address_space:  global
        .offset:         16
        .size:           8
        .value_kind:     global_buffer
      - .actual_access:  read_only
        .address_space:  global
        .offset:         24
        .size:           8
        .value_kind:     global_buffer
      - .actual_access:  read_only
        .address_space:  global
        .offset:         32
        .size:           8
        .value_kind:     global_buffer
      - .actual_access:  read_only
        .address_space:  global
        .offset:         40
        .size:           8
        .value_kind:     global_buffer
      - .offset:         48
        .size:           4
        .value_kind:     by_value
      - .actual_access:  read_only
        .address_space:  global
        .offset:         56
        .size:           8
        .value_kind:     global_buffer
      - .actual_access:  read_only
        .address_space:  global
        .offset:         64
        .size:           8
        .value_kind:     global_buffer
      - .actual_access:  read_only
        .address_space:  global
        .offset:         72
        .size:           8
        .value_kind:     global_buffer
      - .address_space:  global
        .offset:         80
        .size:           8
        .value_kind:     global_buffer
      - .address_space:  global
        .offset:         88
        .size:           8
        .value_kind:     global_buffer
      - .offset:         96
        .size:           4
        .value_kind:     by_value
      - .actual_access:  read_only
        .address_space:  global
        .offset:         104
        .size:           8
        .value_kind:     global_buffer
      - .actual_access:  read_only
        .address_space:  global
        .offset:         112
        .size:           8
        .value_kind:     global_buffer
      - .actual_access:  read_only
        .address_space:  global
        .offset:         120
        .size:           8
        .value_kind:     global_buffer
      - .address_space:  global
        .offset:         128
        .size:           8
        .value_kind:     global_buffer
      - .address_space:  global
        .offset:         136
        .size:           8
        .value_kind:     global_buffer
      - .offset:         144
        .size:           4
        .value_kind:     by_value
      - .address_space:  global
        .offset:         152
        .size:           8
        .value_kind:     global_buffer
      - .address_space:  global
        .offset:         160
        .size:           8
        .value_kind:     global_buffer
    .group_segment_fixed_size: 0
    .kernarg_segment_align: 8
    .kernarg_segment_size: 168
    .language:       OpenCL C
    .language_version:
      - 2
      - 0
    .max_flat_workgroup_size: 1024
    .name:           _ZN9rocsparseL14kernel_freerunILi1024ELi4EdiiEEvT3_S1_T2_PKS2_S4_PKS1_PKT1_21rocsparse_index_base_S4_S4_S6_PS7_SB_SA_S4_S4_S6_SB_SB_SA_SB_SB_
    .private_segment_fixed_size: 0
    .sgpr_count:     58
    .sgpr_spill_count: 0
    .symbol:         _ZN9rocsparseL14kernel_freerunILi1024ELi4EdiiEEvT3_S1_T2_PKS2_S4_PKS1_PKT1_21rocsparse_index_base_S4_S4_S6_PS7_SB_SA_S4_S4_S6_SB_SB_SA_SB_SB_.kd
    .uniform_work_group_size: 1
    .uses_dynamic_stack: false
    .vgpr_count:     34
    .vgpr_spill_count: 0
    .wavefront_size: 32
    .workgroup_processor_mode: 1
  - .args:
      - .offset:         0
        .size:           4
        .value_kind:     by_value
      - .offset:         4
        .size:           4
        .value_kind:     by_value
      - .offset:         8
        .size:           4
        .value_kind:     by_value
      - .actual_access:  read_only
        .address_space:  global
        .offset:         16
        .size:           8
        .value_kind:     global_buffer
      - .actual_access:  read_only
        .address_space:  global
        .offset:         24
        .size:           8
        .value_kind:     global_buffer
      - .actual_access:  read_only
        .address_space:  global
        .offset:         32
        .size:           8
        .value_kind:     global_buffer
      - .actual_access:  read_only
        .address_space:  global
        .offset:         40
        .size:           8
        .value_kind:     global_buffer
      - .offset:         48
        .size:           4
        .value_kind:     by_value
      - .actual_access:  read_only
        .address_space:  global
        .offset:         56
        .size:           8
        .value_kind:     global_buffer
      - .actual_access:  read_only
        .address_space:  global
        .offset:         64
        .size:           8
        .value_kind:     global_buffer
      - .actual_access:  read_only
        .address_space:  global
        .offset:         72
        .size:           8
        .value_kind:     global_buffer
      - .address_space:  global
        .offset:         80
        .size:           8
        .value_kind:     global_buffer
      - .address_space:  global
        .offset:         88
        .size:           8
        .value_kind:     global_buffer
      - .offset:         96
        .size:           4
        .value_kind:     by_value
      - .actual_access:  read_only
        .address_space:  global
        .offset:         104
        .size:           8
        .value_kind:     global_buffer
      - .actual_access:  read_only
        .address_space:  global
        .offset:         112
        .size:           8
        .value_kind:     global_buffer
      - .actual_access:  read_only
        .address_space:  global
        .offset:         120
        .size:           8
        .value_kind:     global_buffer
      - .address_space:  global
        .offset:         128
        .size:           8
        .value_kind:     global_buffer
      - .address_space:  global
        .offset:         136
        .size:           8
        .value_kind:     global_buffer
      - .offset:         144
        .size:           4
        .value_kind:     by_value
      - .address_space:  global
        .offset:         152
        .size:           8
        .value_kind:     global_buffer
      - .address_space:  global
        .offset:         160
        .size:           8
        .value_kind:     global_buffer
    .group_segment_fixed_size: 0
    .kernarg_segment_align: 8
    .kernarg_segment_size: 168
    .language:       OpenCL C
    .language_version:
      - 2
      - 0
    .max_flat_workgroup_size: 1024
    .name:           _ZN9rocsparseL14kernel_freerunILi1024ELi8EdiiEEvT3_S1_T2_PKS2_S4_PKS1_PKT1_21rocsparse_index_base_S4_S4_S6_PS7_SB_SA_S4_S4_S6_SB_SB_SA_SB_SB_
    .private_segment_fixed_size: 0
    .sgpr_count:     58
    .sgpr_spill_count: 0
    .symbol:         _ZN9rocsparseL14kernel_freerunILi1024ELi8EdiiEEvT3_S1_T2_PKS2_S4_PKS1_PKT1_21rocsparse_index_base_S4_S4_S6_PS7_SB_SA_S4_S4_S6_SB_SB_SA_SB_SB_.kd
    .uniform_work_group_size: 1
    .uses_dynamic_stack: false
    .vgpr_count:     34
    .vgpr_spill_count: 0
    .wavefront_size: 32
    .workgroup_processor_mode: 1
  - .args:
      - .offset:         0
        .size:           4
        .value_kind:     by_value
      - .offset:         4
        .size:           4
        .value_kind:     by_value
      - .offset:         8
        .size:           4
        .value_kind:     by_value
      - .actual_access:  read_only
        .address_space:  global
        .offset:         16
        .size:           8
        .value_kind:     global_buffer
      - .actual_access:  read_only
        .address_space:  global
        .offset:         24
        .size:           8
        .value_kind:     global_buffer
      - .actual_access:  read_only
        .address_space:  global
        .offset:         32
        .size:           8
        .value_kind:     global_buffer
      - .actual_access:  read_only
        .address_space:  global
        .offset:         40
        .size:           8
        .value_kind:     global_buffer
      - .offset:         48
        .size:           4
        .value_kind:     by_value
      - .actual_access:  read_only
        .address_space:  global
        .offset:         56
        .size:           8
        .value_kind:     global_buffer
      - .actual_access:  read_only
        .address_space:  global
        .offset:         64
        .size:           8
        .value_kind:     global_buffer
      - .actual_access:  read_only
        .address_space:  global
        .offset:         72
        .size:           8
        .value_kind:     global_buffer
      - .address_space:  global
        .offset:         80
        .size:           8
        .value_kind:     global_buffer
      - .address_space:  global
        .offset:         88
        .size:           8
        .value_kind:     global_buffer
      - .offset:         96
        .size:           4
        .value_kind:     by_value
      - .actual_access:  read_only
        .address_space:  global
        .offset:         104
        .size:           8
        .value_kind:     global_buffer
      - .actual_access:  read_only
        .address_space:  global
        .offset:         112
        .size:           8
        .value_kind:     global_buffer
      - .actual_access:  read_only
        .address_space:  global
        .offset:         120
        .size:           8
        .value_kind:     global_buffer
      - .address_space:  global
        .offset:         128
        .size:           8
        .value_kind:     global_buffer
      - .address_space:  global
        .offset:         136
        .size:           8
        .value_kind:     global_buffer
      - .offset:         144
        .size:           4
        .value_kind:     by_value
      - .address_space:  global
        .offset:         152
        .size:           8
        .value_kind:     global_buffer
      - .address_space:  global
        .offset:         160
        .size:           8
        .value_kind:     global_buffer
    .group_segment_fixed_size: 0
    .kernarg_segment_align: 8
    .kernarg_segment_size: 168
    .language:       OpenCL C
    .language_version:
      - 2
      - 0
    .max_flat_workgroup_size: 1024
    .name:           _ZN9rocsparseL14kernel_freerunILi1024ELi16EdiiEEvT3_S1_T2_PKS2_S4_PKS1_PKT1_21rocsparse_index_base_S4_S4_S6_PS7_SB_SA_S4_S4_S6_SB_SB_SA_SB_SB_
    .private_segment_fixed_size: 0
    .sgpr_count:     58
    .sgpr_spill_count: 0
    .symbol:         _ZN9rocsparseL14kernel_freerunILi1024ELi16EdiiEEvT3_S1_T2_PKS2_S4_PKS1_PKT1_21rocsparse_index_base_S4_S4_S6_PS7_SB_SA_S4_S4_S6_SB_SB_SA_SB_SB_.kd
    .uniform_work_group_size: 1
    .uses_dynamic_stack: false
    .vgpr_count:     34
    .vgpr_spill_count: 0
    .wavefront_size: 32
    .workgroup_processor_mode: 1
  - .args:
      - .offset:         0
        .size:           4
        .value_kind:     by_value
      - .offset:         4
        .size:           4
        .value_kind:     by_value
      - .offset:         8
        .size:           4
        .value_kind:     by_value
      - .actual_access:  read_only
        .address_space:  global
        .offset:         16
        .size:           8
        .value_kind:     global_buffer
      - .actual_access:  read_only
        .address_space:  global
        .offset:         24
        .size:           8
        .value_kind:     global_buffer
      - .actual_access:  read_only
        .address_space:  global
        .offset:         32
        .size:           8
        .value_kind:     global_buffer
      - .actual_access:  read_only
        .address_space:  global
        .offset:         40
        .size:           8
        .value_kind:     global_buffer
      - .offset:         48
        .size:           4
        .value_kind:     by_value
      - .actual_access:  read_only
        .address_space:  global
        .offset:         56
        .size:           8
        .value_kind:     global_buffer
      - .actual_access:  read_only
        .address_space:  global
        .offset:         64
        .size:           8
        .value_kind:     global_buffer
      - .actual_access:  read_only
        .address_space:  global
        .offset:         72
        .size:           8
        .value_kind:     global_buffer
      - .address_space:  global
        .offset:         80
        .size:           8
        .value_kind:     global_buffer
      - .address_space:  global
        .offset:         88
        .size:           8
        .value_kind:     global_buffer
      - .offset:         96
        .size:           4
        .value_kind:     by_value
      - .actual_access:  read_only
        .address_space:  global
        .offset:         104
        .size:           8
        .value_kind:     global_buffer
      - .actual_access:  read_only
        .address_space:  global
        .offset:         112
        .size:           8
        .value_kind:     global_buffer
      - .actual_access:  read_only
        .address_space:  global
        .offset:         120
        .size:           8
        .value_kind:     global_buffer
      - .address_space:  global
        .offset:         128
        .size:           8
        .value_kind:     global_buffer
      - .address_space:  global
        .offset:         136
        .size:           8
        .value_kind:     global_buffer
      - .offset:         144
        .size:           4
        .value_kind:     by_value
      - .address_space:  global
        .offset:         152
        .size:           8
        .value_kind:     global_buffer
      - .address_space:  global
        .offset:         160
        .size:           8
        .value_kind:     global_buffer
    .group_segment_fixed_size: 0
    .kernarg_segment_align: 8
    .kernarg_segment_size: 168
    .language:       OpenCL C
    .language_version:
      - 2
      - 0
    .max_flat_workgroup_size: 1024
    .name:           _ZN9rocsparseL14kernel_freerunILi1024ELi32EdiiEEvT3_S1_T2_PKS2_S4_PKS1_PKT1_21rocsparse_index_base_S4_S4_S6_PS7_SB_SA_S4_S4_S6_SB_SB_SA_SB_SB_
    .private_segment_fixed_size: 0
    .sgpr_count:     58
    .sgpr_spill_count: 0
    .symbol:         _ZN9rocsparseL14kernel_freerunILi1024ELi32EdiiEEvT3_S1_T2_PKS2_S4_PKS1_PKT1_21rocsparse_index_base_S4_S4_S6_PS7_SB_SA_S4_S4_S6_SB_SB_SA_SB_SB_.kd
    .uniform_work_group_size: 1
    .uses_dynamic_stack: false
    .vgpr_count:     34
    .vgpr_spill_count: 0
    .wavefront_size: 32
    .workgroup_processor_mode: 1
  - .args:
      - .offset:         0
        .size:           4
        .value_kind:     by_value
      - .offset:         4
        .size:           4
        .value_kind:     by_value
      - .offset:         8
        .size:           4
        .value_kind:     by_value
      - .actual_access:  read_only
        .address_space:  global
        .offset:         16
        .size:           8
        .value_kind:     global_buffer
      - .actual_access:  read_only
        .address_space:  global
        .offset:         24
        .size:           8
        .value_kind:     global_buffer
      - .actual_access:  read_only
        .address_space:  global
        .offset:         32
        .size:           8
        .value_kind:     global_buffer
      - .actual_access:  read_only
        .address_space:  global
        .offset:         40
        .size:           8
        .value_kind:     global_buffer
      - .offset:         48
        .size:           4
        .value_kind:     by_value
      - .actual_access:  read_only
        .address_space:  global
        .offset:         56
        .size:           8
        .value_kind:     global_buffer
      - .actual_access:  read_only
        .address_space:  global
        .offset:         64
        .size:           8
        .value_kind:     global_buffer
      - .actual_access:  read_only
        .address_space:  global
        .offset:         72
        .size:           8
        .value_kind:     global_buffer
      - .address_space:  global
        .offset:         80
        .size:           8
        .value_kind:     global_buffer
      - .address_space:  global
        .offset:         88
        .size:           8
        .value_kind:     global_buffer
      - .offset:         96
        .size:           4
        .value_kind:     by_value
      - .actual_access:  read_only
        .address_space:  global
        .offset:         104
        .size:           8
        .value_kind:     global_buffer
      - .actual_access:  read_only
        .address_space:  global
        .offset:         112
        .size:           8
        .value_kind:     global_buffer
      - .actual_access:  read_only
        .address_space:  global
        .offset:         120
        .size:           8
        .value_kind:     global_buffer
      - .address_space:  global
        .offset:         128
        .size:           8
        .value_kind:     global_buffer
      - .address_space:  global
        .offset:         136
        .size:           8
        .value_kind:     global_buffer
      - .offset:         144
        .size:           4
        .value_kind:     by_value
      - .address_space:  global
        .offset:         152
        .size:           8
        .value_kind:     global_buffer
      - .address_space:  global
        .offset:         160
        .size:           8
        .value_kind:     global_buffer
    .group_segment_fixed_size: 0
    .kernarg_segment_align: 8
    .kernarg_segment_size: 168
    .language:       OpenCL C
    .language_version:
      - 2
      - 0
    .max_flat_workgroup_size: 1024
    .name:           _ZN9rocsparseL14kernel_freerunILi1024ELi64EdiiEEvT3_S1_T2_PKS2_S4_PKS1_PKT1_21rocsparse_index_base_S4_S4_S6_PS7_SB_SA_S4_S4_S6_SB_SB_SA_SB_SB_
    .private_segment_fixed_size: 0
    .sgpr_count:     58
    .sgpr_spill_count: 0
    .symbol:         _ZN9rocsparseL14kernel_freerunILi1024ELi64EdiiEEvT3_S1_T2_PKS2_S4_PKS1_PKT1_21rocsparse_index_base_S4_S4_S6_PS7_SB_SA_S4_S4_S6_SB_SB_SA_SB_SB_.kd
    .uniform_work_group_size: 1
    .uses_dynamic_stack: false
    .vgpr_count:     34
    .vgpr_spill_count: 0
    .wavefront_size: 32
    .workgroup_processor_mode: 1
  - .args:
      - .offset:         0
        .size:           1
        .value_kind:     by_value
      - .offset:         1
        .size:           1
        .value_kind:     by_value
      - .offset:         2
        .size:           1
        .value_kind:     by_value
      - .offset:         4
        .size:           4
        .value_kind:     by_value
      - .address_space:  global
        .offset:         8
        .size:           8
        .value_kind:     global_buffer
      - .offset:         16
        .size:           8
        .value_kind:     by_value
      - .offset:         24
        .size:           4
        .value_kind:     by_value
      - .offset:         28
        .size:           4
        .value_kind:     by_value
      - .actual_access:  read_only
        .address_space:  global
        .offset:         32
        .size:           8
        .value_kind:     global_buffer
      - .actual_access:  read_only
        .address_space:  global
        .offset:         40
        .size:           8
        .value_kind:     global_buffer
      - .actual_access:  read_only
        .address_space:  global
        .offset:         48
        .size:           8
        .value_kind:     global_buffer
      - .actual_access:  read_only
        .address_space:  global
        .offset:         56
        .size:           8
        .value_kind:     global_buffer
      - .offset:         64
        .size:           4
        .value_kind:     by_value
      - .actual_access:  read_only
        .address_space:  global
        .offset:         72
        .size:           8
        .value_kind:     global_buffer
      - .actual_access:  read_only
        .address_space:  global
        .offset:         80
        .size:           8
        .value_kind:     global_buffer
      - .actual_access:  read_only
        .address_space:  global
        .offset:         88
        .size:           8
        .value_kind:     global_buffer
      - .address_space:  global
        .offset:         96
        .size:           8
        .value_kind:     global_buffer
      - .address_space:  global
        .offset:         104
        .size:           8
        .value_kind:     global_buffer
      - .offset:         112
        .size:           4
        .value_kind:     by_value
      - .actual_access:  read_only
        .address_space:  global
        .offset:         120
        .size:           8
        .value_kind:     global_buffer
      - .actual_access:  read_only
        .address_space:  global
        .offset:         128
        .size:           8
        .value_kind:     global_buffer
      - .actual_access:  read_only
        .address_space:  global
        .offset:         136
        .size:           8
        .value_kind:     global_buffer
      - .address_space:  global
        .offset:         144
        .size:           8
        .value_kind:     global_buffer
      - .address_space:  global
        .offset:         152
        .size:           8
        .value_kind:     global_buffer
      - .offset:         160
        .size:           4
        .value_kind:     by_value
      - .address_space:  global
        .offset:         168
        .size:           8
        .value_kind:     global_buffer
      - .address_space:  global
        .offset:         176
        .size:           8
        .value_kind:     global_buffer
      - .address_space:  global
        .offset:         184
        .size:           8
        .value_kind:     global_buffer
      - .address_space:  global
        .offset:         192
        .size:           8
        .value_kind:     global_buffer
      - .actual_access:  read_only
        .address_space:  global
        .offset:         200
        .size:           8
        .value_kind:     global_buffer
    .group_segment_fixed_size: 12288
    .kernarg_segment_align: 8
    .kernarg_segment_size: 208
    .language:       OpenCL C
    .language_version:
      - 2
      - 0
    .max_flat_workgroup_size: 1024
    .name:           _ZN9rocsparseL6kernelILi1024ELi1EdiiEEvbbbT3_PS1_NS_15floating_traitsIT1_E6data_tES1_T2_PKS7_S9_PKS1_PKS4_21rocsparse_index_base_S9_S9_SB_PS4_SF_SE_S9_S9_SB_SF_SF_SE_SF_SF_PS6_SG_PKS6_
    .private_segment_fixed_size: 0
    .sgpr_count:     81
    .sgpr_spill_count: 0
    .symbol:         _ZN9rocsparseL6kernelILi1024ELi1EdiiEEvbbbT3_PS1_NS_15floating_traitsIT1_E6data_tES1_T2_PKS7_S9_PKS1_PKS4_21rocsparse_index_base_S9_S9_SB_PS4_SF_SE_S9_S9_SB_SF_SF_SE_SF_SF_PS6_SG_PKS6_.kd
    .uniform_work_group_size: 1
    .uses_dynamic_stack: false
    .vgpr_count:     40
    .vgpr_spill_count: 0
    .wavefront_size: 32
    .workgroup_processor_mode: 1
  - .args:
      - .offset:         0
        .size:           1
        .value_kind:     by_value
      - .offset:         1
        .size:           1
        .value_kind:     by_value
      - .offset:         2
        .size:           1
        .value_kind:     by_value
      - .offset:         4
        .size:           4
        .value_kind:     by_value
      - .address_space:  global
        .offset:         8
        .size:           8
        .value_kind:     global_buffer
      - .offset:         16
        .size:           8
        .value_kind:     by_value
      - .offset:         24
        .size:           4
        .value_kind:     by_value
      - .offset:         28
        .size:           4
        .value_kind:     by_value
      - .actual_access:  read_only
        .address_space:  global
        .offset:         32
        .size:           8
        .value_kind:     global_buffer
      - .actual_access:  read_only
        .address_space:  global
        .offset:         40
        .size:           8
        .value_kind:     global_buffer
      - .actual_access:  read_only
        .address_space:  global
        .offset:         48
        .size:           8
        .value_kind:     global_buffer
      - .actual_access:  read_only
        .address_space:  global
        .offset:         56
        .size:           8
        .value_kind:     global_buffer
      - .offset:         64
        .size:           4
        .value_kind:     by_value
      - .actual_access:  read_only
        .address_space:  global
        .offset:         72
        .size:           8
        .value_kind:     global_buffer
      - .actual_access:  read_only
        .address_space:  global
        .offset:         80
        .size:           8
        .value_kind:     global_buffer
      - .actual_access:  read_only
        .address_space:  global
        .offset:         88
        .size:           8
        .value_kind:     global_buffer
      - .address_space:  global
        .offset:         96
        .size:           8
        .value_kind:     global_buffer
      - .address_space:  global
        .offset:         104
        .size:           8
        .value_kind:     global_buffer
      - .offset:         112
        .size:           4
        .value_kind:     by_value
      - .actual_access:  read_only
        .address_space:  global
        .offset:         120
        .size:           8
        .value_kind:     global_buffer
      - .actual_access:  read_only
        .address_space:  global
        .offset:         128
        .size:           8
        .value_kind:     global_buffer
      - .actual_access:  read_only
        .address_space:  global
        .offset:         136
        .size:           8
        .value_kind:     global_buffer
      - .address_space:  global
        .offset:         144
        .size:           8
        .value_kind:     global_buffer
      - .address_space:  global
        .offset:         152
        .size:           8
        .value_kind:     global_buffer
      - .offset:         160
        .size:           4
        .value_kind:     by_value
      - .address_space:  global
        .offset:         168
        .size:           8
        .value_kind:     global_buffer
      - .address_space:  global
        .offset:         176
        .size:           8
        .value_kind:     global_buffer
      - .address_space:  global
        .offset:         184
        .size:           8
        .value_kind:     global_buffer
      - .address_space:  global
        .offset:         192
        .size:           8
        .value_kind:     global_buffer
      - .actual_access:  read_only
        .address_space:  global
        .offset:         200
        .size:           8
        .value_kind:     global_buffer
    .group_segment_fixed_size: 6144
    .kernarg_segment_align: 8
    .kernarg_segment_size: 208
    .language:       OpenCL C
    .language_version:
      - 2
      - 0
    .max_flat_workgroup_size: 1024
    .name:           _ZN9rocsparseL6kernelILi1024ELi2EdiiEEvbbbT3_PS1_NS_15floating_traitsIT1_E6data_tES1_T2_PKS7_S9_PKS1_PKS4_21rocsparse_index_base_S9_S9_SB_PS4_SF_SE_S9_S9_SB_SF_SF_SE_SF_SF_PS6_SG_PKS6_
    .private_segment_fixed_size: 0
    .sgpr_count:     87
    .sgpr_spill_count: 0
    .symbol:         _ZN9rocsparseL6kernelILi1024ELi2EdiiEEvbbbT3_PS1_NS_15floating_traitsIT1_E6data_tES1_T2_PKS7_S9_PKS1_PKS4_21rocsparse_index_base_S9_S9_SB_PS4_SF_SE_S9_S9_SB_SF_SF_SE_SF_SF_PS6_SG_PKS6_.kd
    .uniform_work_group_size: 1
    .uses_dynamic_stack: false
    .vgpr_count:     47
    .vgpr_spill_count: 0
    .wavefront_size: 32
    .workgroup_processor_mode: 1
  - .args:
      - .offset:         0
        .size:           1
        .value_kind:     by_value
      - .offset:         1
        .size:           1
        .value_kind:     by_value
      - .offset:         2
        .size:           1
        .value_kind:     by_value
      - .offset:         4
        .size:           4
        .value_kind:     by_value
      - .address_space:  global
        .offset:         8
        .size:           8
        .value_kind:     global_buffer
      - .offset:         16
        .size:           8
        .value_kind:     by_value
      - .offset:         24
        .size:           4
        .value_kind:     by_value
      - .offset:         28
        .size:           4
        .value_kind:     by_value
      - .actual_access:  read_only
        .address_space:  global
        .offset:         32
        .size:           8
        .value_kind:     global_buffer
      - .actual_access:  read_only
        .address_space:  global
        .offset:         40
        .size:           8
        .value_kind:     global_buffer
      - .actual_access:  read_only
        .address_space:  global
        .offset:         48
        .size:           8
        .value_kind:     global_buffer
      - .actual_access:  read_only
        .address_space:  global
        .offset:         56
        .size:           8
        .value_kind:     global_buffer
      - .offset:         64
        .size:           4
        .value_kind:     by_value
      - .actual_access:  read_only
        .address_space:  global
        .offset:         72
        .size:           8
        .value_kind:     global_buffer
      - .actual_access:  read_only
        .address_space:  global
        .offset:         80
        .size:           8
        .value_kind:     global_buffer
      - .actual_access:  read_only
        .address_space:  global
        .offset:         88
        .size:           8
        .value_kind:     global_buffer
      - .address_space:  global
        .offset:         96
        .size:           8
        .value_kind:     global_buffer
      - .address_space:  global
        .offset:         104
        .size:           8
        .value_kind:     global_buffer
      - .offset:         112
        .size:           4
        .value_kind:     by_value
      - .actual_access:  read_only
        .address_space:  global
        .offset:         120
        .size:           8
        .value_kind:     global_buffer
      - .actual_access:  read_only
        .address_space:  global
        .offset:         128
        .size:           8
        .value_kind:     global_buffer
      - .actual_access:  read_only
        .address_space:  global
        .offset:         136
        .size:           8
        .value_kind:     global_buffer
      - .address_space:  global
        .offset:         144
        .size:           8
        .value_kind:     global_buffer
      - .address_space:  global
        .offset:         152
        .size:           8
        .value_kind:     global_buffer
      - .offset:         160
        .size:           4
        .value_kind:     by_value
      - .address_space:  global
        .offset:         168
        .size:           8
        .value_kind:     global_buffer
      - .address_space:  global
        .offset:         176
        .size:           8
        .value_kind:     global_buffer
      - .address_space:  global
        .offset:         184
        .size:           8
        .value_kind:     global_buffer
      - .address_space:  global
        .offset:         192
        .size:           8
        .value_kind:     global_buffer
      - .actual_access:  read_only
        .address_space:  global
        .offset:         200
        .size:           8
        .value_kind:     global_buffer
    .group_segment_fixed_size: 3072
    .kernarg_segment_align: 8
    .kernarg_segment_size: 208
    .language:       OpenCL C
    .language_version:
      - 2
      - 0
    .max_flat_workgroup_size: 1024
    .name:           _ZN9rocsparseL6kernelILi1024ELi4EdiiEEvbbbT3_PS1_NS_15floating_traitsIT1_E6data_tES1_T2_PKS7_S9_PKS1_PKS4_21rocsparse_index_base_S9_S9_SB_PS4_SF_SE_S9_S9_SB_SF_SF_SE_SF_SF_PS6_SG_PKS6_
    .private_segment_fixed_size: 0
    .sgpr_count:     86
    .sgpr_spill_count: 0
    .symbol:         _ZN9rocsparseL6kernelILi1024ELi4EdiiEEvbbbT3_PS1_NS_15floating_traitsIT1_E6data_tES1_T2_PKS7_S9_PKS1_PKS4_21rocsparse_index_base_S9_S9_SB_PS4_SF_SE_S9_S9_SB_SF_SF_SE_SF_SF_PS6_SG_PKS6_.kd
    .uniform_work_group_size: 1
    .uses_dynamic_stack: false
    .vgpr_count:     47
    .vgpr_spill_count: 0
    .wavefront_size: 32
    .workgroup_processor_mode: 1
  - .args:
      - .offset:         0
        .size:           1
        .value_kind:     by_value
      - .offset:         1
        .size:           1
        .value_kind:     by_value
      - .offset:         2
        .size:           1
        .value_kind:     by_value
      - .offset:         4
        .size:           4
        .value_kind:     by_value
      - .address_space:  global
        .offset:         8
        .size:           8
        .value_kind:     global_buffer
      - .offset:         16
        .size:           8
        .value_kind:     by_value
      - .offset:         24
        .size:           4
        .value_kind:     by_value
      - .offset:         28
        .size:           4
        .value_kind:     by_value
      - .actual_access:  read_only
        .address_space:  global
        .offset:         32
        .size:           8
        .value_kind:     global_buffer
      - .actual_access:  read_only
        .address_space:  global
        .offset:         40
        .size:           8
        .value_kind:     global_buffer
      - .actual_access:  read_only
        .address_space:  global
        .offset:         48
        .size:           8
        .value_kind:     global_buffer
      - .actual_access:  read_only
        .address_space:  global
        .offset:         56
        .size:           8
        .value_kind:     global_buffer
      - .offset:         64
        .size:           4
        .value_kind:     by_value
      - .actual_access:  read_only
        .address_space:  global
        .offset:         72
        .size:           8
        .value_kind:     global_buffer
      - .actual_access:  read_only
        .address_space:  global
        .offset:         80
        .size:           8
        .value_kind:     global_buffer
      - .actual_access:  read_only
        .address_space:  global
        .offset:         88
        .size:           8
        .value_kind:     global_buffer
      - .address_space:  global
        .offset:         96
        .size:           8
        .value_kind:     global_buffer
      - .address_space:  global
        .offset:         104
        .size:           8
        .value_kind:     global_buffer
      - .offset:         112
        .size:           4
        .value_kind:     by_value
      - .actual_access:  read_only
        .address_space:  global
        .offset:         120
        .size:           8
        .value_kind:     global_buffer
      - .actual_access:  read_only
        .address_space:  global
        .offset:         128
        .size:           8
        .value_kind:     global_buffer
      - .actual_access:  read_only
        .address_space:  global
        .offset:         136
        .size:           8
        .value_kind:     global_buffer
      - .address_space:  global
        .offset:         144
        .size:           8
        .value_kind:     global_buffer
      - .address_space:  global
        .offset:         152
        .size:           8
        .value_kind:     global_buffer
      - .offset:         160
        .size:           4
        .value_kind:     by_value
      - .address_space:  global
        .offset:         168
        .size:           8
        .value_kind:     global_buffer
      - .address_space:  global
        .offset:         176
        .size:           8
        .value_kind:     global_buffer
      - .address_space:  global
        .offset:         184
        .size:           8
        .value_kind:     global_buffer
      - .address_space:  global
        .offset:         192
        .size:           8
        .value_kind:     global_buffer
      - .actual_access:  read_only
        .address_space:  global
        .offset:         200
        .size:           8
        .value_kind:     global_buffer
    .group_segment_fixed_size: 1536
    .kernarg_segment_align: 8
    .kernarg_segment_size: 208
    .language:       OpenCL C
    .language_version:
      - 2
      - 0
    .max_flat_workgroup_size: 1024
    .name:           _ZN9rocsparseL6kernelILi1024ELi8EdiiEEvbbbT3_PS1_NS_15floating_traitsIT1_E6data_tES1_T2_PKS7_S9_PKS1_PKS4_21rocsparse_index_base_S9_S9_SB_PS4_SF_SE_S9_S9_SB_SF_SF_SE_SF_SF_PS6_SG_PKS6_
    .private_segment_fixed_size: 0
    .sgpr_count:     85
    .sgpr_spill_count: 0
    .symbol:         _ZN9rocsparseL6kernelILi1024ELi8EdiiEEvbbbT3_PS1_NS_15floating_traitsIT1_E6data_tES1_T2_PKS7_S9_PKS1_PKS4_21rocsparse_index_base_S9_S9_SB_PS4_SF_SE_S9_S9_SB_SF_SF_SE_SF_SF_PS6_SG_PKS6_.kd
    .uniform_work_group_size: 1
    .uses_dynamic_stack: false
    .vgpr_count:     47
    .vgpr_spill_count: 0
    .wavefront_size: 32
    .workgroup_processor_mode: 1
  - .args:
      - .offset:         0
        .size:           1
        .value_kind:     by_value
      - .offset:         1
        .size:           1
        .value_kind:     by_value
      - .offset:         2
        .size:           1
        .value_kind:     by_value
      - .offset:         4
        .size:           4
        .value_kind:     by_value
      - .address_space:  global
        .offset:         8
        .size:           8
        .value_kind:     global_buffer
      - .offset:         16
        .size:           8
        .value_kind:     by_value
      - .offset:         24
        .size:           4
        .value_kind:     by_value
      - .offset:         28
        .size:           4
        .value_kind:     by_value
      - .actual_access:  read_only
        .address_space:  global
        .offset:         32
        .size:           8
        .value_kind:     global_buffer
      - .actual_access:  read_only
        .address_space:  global
        .offset:         40
        .size:           8
        .value_kind:     global_buffer
      - .actual_access:  read_only
        .address_space:  global
        .offset:         48
        .size:           8
        .value_kind:     global_buffer
      - .actual_access:  read_only
        .address_space:  global
        .offset:         56
        .size:           8
        .value_kind:     global_buffer
      - .offset:         64
        .size:           4
        .value_kind:     by_value
      - .actual_access:  read_only
        .address_space:  global
        .offset:         72
        .size:           8
        .value_kind:     global_buffer
      - .actual_access:  read_only
        .address_space:  global
        .offset:         80
        .size:           8
        .value_kind:     global_buffer
      - .actual_access:  read_only
        .address_space:  global
        .offset:         88
        .size:           8
        .value_kind:     global_buffer
      - .address_space:  global
        .offset:         96
        .size:           8
        .value_kind:     global_buffer
      - .address_space:  global
        .offset:         104
        .size:           8
        .value_kind:     global_buffer
      - .offset:         112
        .size:           4
        .value_kind:     by_value
      - .actual_access:  read_only
        .address_space:  global
        .offset:         120
        .size:           8
        .value_kind:     global_buffer
      - .actual_access:  read_only
        .address_space:  global
        .offset:         128
        .size:           8
        .value_kind:     global_buffer
      - .actual_access:  read_only
        .address_space:  global
        .offset:         136
        .size:           8
        .value_kind:     global_buffer
      - .address_space:  global
        .offset:         144
        .size:           8
        .value_kind:     global_buffer
      - .address_space:  global
        .offset:         152
        .size:           8
        .value_kind:     global_buffer
      - .offset:         160
        .size:           4
        .value_kind:     by_value
      - .address_space:  global
        .offset:         168
        .size:           8
        .value_kind:     global_buffer
      - .address_space:  global
        .offset:         176
        .size:           8
        .value_kind:     global_buffer
      - .address_space:  global
        .offset:         184
        .size:           8
        .value_kind:     global_buffer
      - .address_space:  global
        .offset:         192
        .size:           8
        .value_kind:     global_buffer
      - .actual_access:  read_only
        .address_space:  global
        .offset:         200
        .size:           8
        .value_kind:     global_buffer
    .group_segment_fixed_size: 768
    .kernarg_segment_align: 8
    .kernarg_segment_size: 208
    .language:       OpenCL C
    .language_version:
      - 2
      - 0
    .max_flat_workgroup_size: 1024
    .name:           _ZN9rocsparseL6kernelILi1024ELi16EdiiEEvbbbT3_PS1_NS_15floating_traitsIT1_E6data_tES1_T2_PKS7_S9_PKS1_PKS4_21rocsparse_index_base_S9_S9_SB_PS4_SF_SE_S9_S9_SB_SF_SF_SE_SF_SF_PS6_SG_PKS6_
    .private_segment_fixed_size: 0
    .sgpr_count:     84
    .sgpr_spill_count: 0
    .symbol:         _ZN9rocsparseL6kernelILi1024ELi16EdiiEEvbbbT3_PS1_NS_15floating_traitsIT1_E6data_tES1_T2_PKS7_S9_PKS1_PKS4_21rocsparse_index_base_S9_S9_SB_PS4_SF_SE_S9_S9_SB_SF_SF_SE_SF_SF_PS6_SG_PKS6_.kd
    .uniform_work_group_size: 1
    .uses_dynamic_stack: false
    .vgpr_count:     47
    .vgpr_spill_count: 0
    .wavefront_size: 32
    .workgroup_processor_mode: 1
  - .args:
      - .offset:         0
        .size:           1
        .value_kind:     by_value
      - .offset:         1
        .size:           1
        .value_kind:     by_value
      - .offset:         2
        .size:           1
        .value_kind:     by_value
      - .offset:         4
        .size:           4
        .value_kind:     by_value
      - .address_space:  global
        .offset:         8
        .size:           8
        .value_kind:     global_buffer
      - .offset:         16
        .size:           8
        .value_kind:     by_value
      - .offset:         24
        .size:           4
        .value_kind:     by_value
      - .offset:         28
        .size:           4
        .value_kind:     by_value
      - .actual_access:  read_only
        .address_space:  global
        .offset:         32
        .size:           8
        .value_kind:     global_buffer
      - .actual_access:  read_only
        .address_space:  global
        .offset:         40
        .size:           8
        .value_kind:     global_buffer
      - .actual_access:  read_only
        .address_space:  global
        .offset:         48
        .size:           8
        .value_kind:     global_buffer
      - .actual_access:  read_only
        .address_space:  global
        .offset:         56
        .size:           8
        .value_kind:     global_buffer
      - .offset:         64
        .size:           4
        .value_kind:     by_value
      - .actual_access:  read_only
        .address_space:  global
        .offset:         72
        .size:           8
        .value_kind:     global_buffer
      - .actual_access:  read_only
        .address_space:  global
        .offset:         80
        .size:           8
        .value_kind:     global_buffer
      - .actual_access:  read_only
        .address_space:  global
        .offset:         88
        .size:           8
        .value_kind:     global_buffer
      - .address_space:  global
        .offset:         96
        .size:           8
        .value_kind:     global_buffer
      - .address_space:  global
        .offset:         104
        .size:           8
        .value_kind:     global_buffer
      - .offset:         112
        .size:           4
        .value_kind:     by_value
      - .actual_access:  read_only
        .address_space:  global
        .offset:         120
        .size:           8
        .value_kind:     global_buffer
      - .actual_access:  read_only
        .address_space:  global
        .offset:         128
        .size:           8
        .value_kind:     global_buffer
      - .actual_access:  read_only
        .address_space:  global
        .offset:         136
        .size:           8
        .value_kind:     global_buffer
      - .address_space:  global
        .offset:         144
        .size:           8
        .value_kind:     global_buffer
      - .address_space:  global
        .offset:         152
        .size:           8
        .value_kind:     global_buffer
      - .offset:         160
        .size:           4
        .value_kind:     by_value
      - .address_space:  global
        .offset:         168
        .size:           8
        .value_kind:     global_buffer
      - .address_space:  global
        .offset:         176
        .size:           8
        .value_kind:     global_buffer
      - .address_space:  global
        .offset:         184
        .size:           8
        .value_kind:     global_buffer
      - .address_space:  global
        .offset:         192
        .size:           8
        .value_kind:     global_buffer
      - .actual_access:  read_only
        .address_space:  global
        .offset:         200
        .size:           8
        .value_kind:     global_buffer
    .group_segment_fixed_size: 384
    .kernarg_segment_align: 8
    .kernarg_segment_size: 208
    .language:       OpenCL C
    .language_version:
      - 2
      - 0
    .max_flat_workgroup_size: 1024
    .name:           _ZN9rocsparseL6kernelILi1024ELi32EdiiEEvbbbT3_PS1_NS_15floating_traitsIT1_E6data_tES1_T2_PKS7_S9_PKS1_PKS4_21rocsparse_index_base_S9_S9_SB_PS4_SF_SE_S9_S9_SB_SF_SF_SE_SF_SF_PS6_SG_PKS6_
    .private_segment_fixed_size: 0
    .sgpr_count:     83
    .sgpr_spill_count: 0
    .symbol:         _ZN9rocsparseL6kernelILi1024ELi32EdiiEEvbbbT3_PS1_NS_15floating_traitsIT1_E6data_tES1_T2_PKS7_S9_PKS1_PKS4_21rocsparse_index_base_S9_S9_SB_PS4_SF_SE_S9_S9_SB_SF_SF_SE_SF_SF_PS6_SG_PKS6_.kd
    .uniform_work_group_size: 1
    .uses_dynamic_stack: false
    .vgpr_count:     47
    .vgpr_spill_count: 0
    .wavefront_size: 32
    .workgroup_processor_mode: 1
  - .args:
      - .offset:         0
        .size:           1
        .value_kind:     by_value
      - .offset:         1
        .size:           1
        .value_kind:     by_value
      - .offset:         2
        .size:           1
        .value_kind:     by_value
      - .offset:         4
        .size:           4
        .value_kind:     by_value
      - .address_space:  global
        .offset:         8
        .size:           8
        .value_kind:     global_buffer
      - .offset:         16
        .size:           8
        .value_kind:     by_value
      - .offset:         24
        .size:           4
        .value_kind:     by_value
      - .offset:         28
        .size:           4
        .value_kind:     by_value
      - .actual_access:  read_only
        .address_space:  global
        .offset:         32
        .size:           8
        .value_kind:     global_buffer
      - .actual_access:  read_only
        .address_space:  global
        .offset:         40
        .size:           8
        .value_kind:     global_buffer
      - .actual_access:  read_only
        .address_space:  global
        .offset:         48
        .size:           8
        .value_kind:     global_buffer
      - .actual_access:  read_only
        .address_space:  global
        .offset:         56
        .size:           8
        .value_kind:     global_buffer
      - .offset:         64
        .size:           4
        .value_kind:     by_value
      - .actual_access:  read_only
        .address_space:  global
        .offset:         72
        .size:           8
        .value_kind:     global_buffer
      - .actual_access:  read_only
        .address_space:  global
        .offset:         80
        .size:           8
        .value_kind:     global_buffer
      - .actual_access:  read_only
        .address_space:  global
        .offset:         88
        .size:           8
        .value_kind:     global_buffer
      - .address_space:  global
        .offset:         96
        .size:           8
        .value_kind:     global_buffer
      - .address_space:  global
        .offset:         104
        .size:           8
        .value_kind:     global_buffer
      - .offset:         112
        .size:           4
        .value_kind:     by_value
      - .actual_access:  read_only
        .address_space:  global
        .offset:         120
        .size:           8
        .value_kind:     global_buffer
      - .actual_access:  read_only
        .address_space:  global
        .offset:         128
        .size:           8
        .value_kind:     global_buffer
      - .actual_access:  read_only
        .address_space:  global
        .offset:         136
        .size:           8
        .value_kind:     global_buffer
      - .address_space:  global
        .offset:         144
        .size:           8
        .value_kind:     global_buffer
      - .address_space:  global
        .offset:         152
        .size:           8
        .value_kind:     global_buffer
      - .offset:         160
        .size:           4
        .value_kind:     by_value
      - .address_space:  global
        .offset:         168
        .size:           8
        .value_kind:     global_buffer
      - .address_space:  global
        .offset:         176
        .size:           8
        .value_kind:     global_buffer
      - .address_space:  global
        .offset:         184
        .size:           8
        .value_kind:     global_buffer
      - .address_space:  global
        .offset:         192
        .size:           8
        .value_kind:     global_buffer
      - .actual_access:  read_only
        .address_space:  global
        .offset:         200
        .size:           8
        .value_kind:     global_buffer
    .group_segment_fixed_size: 192
    .kernarg_segment_align: 8
    .kernarg_segment_size: 208
    .language:       OpenCL C
    .language_version:
      - 2
      - 0
    .max_flat_workgroup_size: 1024
    .name:           _ZN9rocsparseL6kernelILi1024ELi64EdiiEEvbbbT3_PS1_NS_15floating_traitsIT1_E6data_tES1_T2_PKS7_S9_PKS1_PKS4_21rocsparse_index_base_S9_S9_SB_PS4_SF_SE_S9_S9_SB_SF_SF_SE_SF_SF_PS6_SG_PKS6_
    .private_segment_fixed_size: 0
    .sgpr_count:     82
    .sgpr_spill_count: 0
    .symbol:         _ZN9rocsparseL6kernelILi1024ELi64EdiiEEvbbbT3_PS1_NS_15floating_traitsIT1_E6data_tES1_T2_PKS7_S9_PKS1_PKS4_21rocsparse_index_base_S9_S9_SB_PS4_SF_SE_S9_S9_SB_SF_SF_SE_SF_SF_PS6_SG_PKS6_.kd
    .uniform_work_group_size: 1
    .uses_dynamic_stack: false
    .vgpr_count:     47
    .vgpr_spill_count: 0
    .wavefront_size: 32
    .workgroup_processor_mode: 1
  - .args:
      - .offset:         0
        .size:           4
        .value_kind:     by_value
      - .offset:         4
        .size:           4
        .value_kind:     by_value
      - .offset:         8
        .size:           4
        .value_kind:     by_value
      - .actual_access:  read_only
        .address_space:  global
        .offset:         16
        .size:           8
        .value_kind:     global_buffer
      - .actual_access:  read_only
        .address_space:  global
        .offset:         24
        .size:           8
        .value_kind:     global_buffer
      - .actual_access:  read_only
        .address_space:  global
        .offset:         32
        .size:           8
        .value_kind:     global_buffer
      - .actual_access:  read_only
        .address_space:  global
        .offset:         40
        .size:           8
        .value_kind:     global_buffer
      - .offset:         48
        .size:           4
        .value_kind:     by_value
      - .actual_access:  read_only
        .address_space:  global
        .offset:         56
        .size:           8
        .value_kind:     global_buffer
      - .actual_access:  read_only
        .address_space:  global
        .offset:         64
        .size:           8
        .value_kind:     global_buffer
      - .actual_access:  read_only
        .address_space:  global
        .offset:         72
        .size:           8
        .value_kind:     global_buffer
      - .address_space:  global
        .offset:         80
        .size:           8
        .value_kind:     global_buffer
      - .address_space:  global
        .offset:         88
        .size:           8
        .value_kind:     global_buffer
      - .offset:         96
        .size:           4
        .value_kind:     by_value
      - .actual_access:  read_only
        .address_space:  global
        .offset:         104
        .size:           8
        .value_kind:     global_buffer
      - .actual_access:  read_only
        .address_space:  global
        .offset:         112
        .size:           8
        .value_kind:     global_buffer
      - .actual_access:  read_only
        .address_space:  global
        .offset:         120
        .size:           8
        .value_kind:     global_buffer
      - .address_space:  global
        .offset:         128
        .size:           8
        .value_kind:     global_buffer
      - .address_space:  global
        .offset:         136
        .size:           8
        .value_kind:     global_buffer
      - .offset:         144
        .size:           4
        .value_kind:     by_value
      - .address_space:  global
        .offset:         152
        .size:           8
        .value_kind:     global_buffer
      - .address_space:  global
        .offset:         160
        .size:           8
        .value_kind:     global_buffer
    .group_segment_fixed_size: 0
    .kernarg_segment_align: 8
    .kernarg_segment_size: 168
    .language:       OpenCL C
    .language_version:
      - 2
      - 0
    .max_flat_workgroup_size: 1024
    .name:           _ZN9rocsparseL14kernel_freerunILi1024ELi1E21rocsparse_complex_numIfEiiEEvT3_S3_T2_PKS4_S6_PKS3_PKT1_21rocsparse_index_base_S6_S6_S8_PS9_SD_SC_S6_S6_S8_SD_SD_SC_SD_SD_
    .private_segment_fixed_size: 0
    .sgpr_count:     54
    .sgpr_spill_count: 0
    .symbol:         _ZN9rocsparseL14kernel_freerunILi1024ELi1E21rocsparse_complex_numIfEiiEEvT3_S3_T2_PKS4_S6_PKS3_PKT1_21rocsparse_index_base_S6_S6_S8_PS9_SD_SC_S6_S6_S8_SD_SD_SC_SD_SD_.kd
    .uniform_work_group_size: 1
    .uses_dynamic_stack: false
    .vgpr_count:     31
    .vgpr_spill_count: 0
    .wavefront_size: 32
    .workgroup_processor_mode: 1
  - .args:
      - .offset:         0
        .size:           4
        .value_kind:     by_value
      - .offset:         4
        .size:           4
        .value_kind:     by_value
      - .offset:         8
        .size:           4
        .value_kind:     by_value
      - .actual_access:  read_only
        .address_space:  global
        .offset:         16
        .size:           8
        .value_kind:     global_buffer
      - .actual_access:  read_only
        .address_space:  global
        .offset:         24
        .size:           8
        .value_kind:     global_buffer
      - .actual_access:  read_only
        .address_space:  global
        .offset:         32
        .size:           8
        .value_kind:     global_buffer
      - .actual_access:  read_only
        .address_space:  global
        .offset:         40
        .size:           8
        .value_kind:     global_buffer
      - .offset:         48
        .size:           4
        .value_kind:     by_value
      - .actual_access:  read_only
        .address_space:  global
        .offset:         56
        .size:           8
        .value_kind:     global_buffer
      - .actual_access:  read_only
        .address_space:  global
        .offset:         64
        .size:           8
        .value_kind:     global_buffer
      - .actual_access:  read_only
        .address_space:  global
        .offset:         72
        .size:           8
        .value_kind:     global_buffer
      - .address_space:  global
        .offset:         80
        .size:           8
        .value_kind:     global_buffer
      - .address_space:  global
        .offset:         88
        .size:           8
        .value_kind:     global_buffer
      - .offset:         96
        .size:           4
        .value_kind:     by_value
      - .actual_access:  read_only
        .address_space:  global
        .offset:         104
        .size:           8
        .value_kind:     global_buffer
      - .actual_access:  read_only
        .address_space:  global
        .offset:         112
        .size:           8
        .value_kind:     global_buffer
      - .actual_access:  read_only
        .address_space:  global
        .offset:         120
        .size:           8
        .value_kind:     global_buffer
      - .address_space:  global
        .offset:         128
        .size:           8
        .value_kind:     global_buffer
      - .address_space:  global
        .offset:         136
        .size:           8
        .value_kind:     global_buffer
      - .offset:         144
        .size:           4
        .value_kind:     by_value
      - .address_space:  global
        .offset:         152
        .size:           8
        .value_kind:     global_buffer
      - .address_space:  global
        .offset:         160
        .size:           8
        .value_kind:     global_buffer
    .group_segment_fixed_size: 0
    .kernarg_segment_align: 8
    .kernarg_segment_size: 168
    .language:       OpenCL C
    .language_version:
      - 2
      - 0
    .max_flat_workgroup_size: 1024
    .name:           _ZN9rocsparseL14kernel_freerunILi1024ELi2E21rocsparse_complex_numIfEiiEEvT3_S3_T2_PKS4_S6_PKS3_PKT1_21rocsparse_index_base_S6_S6_S8_PS9_SD_SC_S6_S6_S8_SD_SD_SC_SD_SD_
    .private_segment_fixed_size: 0
    .sgpr_count:     59
    .sgpr_spill_count: 0
    .symbol:         _ZN9rocsparseL14kernel_freerunILi1024ELi2E21rocsparse_complex_numIfEiiEEvT3_S3_T2_PKS4_S6_PKS3_PKT1_21rocsparse_index_base_S6_S6_S8_PS9_SD_SC_S6_S6_S8_SD_SD_SC_SD_SD_.kd
    .uniform_work_group_size: 1
    .uses_dynamic_stack: false
    .vgpr_count:     34
    .vgpr_spill_count: 0
    .wavefront_size: 32
    .workgroup_processor_mode: 1
  - .args:
      - .offset:         0
        .size:           4
        .value_kind:     by_value
      - .offset:         4
        .size:           4
        .value_kind:     by_value
      - .offset:         8
        .size:           4
        .value_kind:     by_value
      - .actual_access:  read_only
        .address_space:  global
        .offset:         16
        .size:           8
        .value_kind:     global_buffer
      - .actual_access:  read_only
        .address_space:  global
        .offset:         24
        .size:           8
        .value_kind:     global_buffer
      - .actual_access:  read_only
        .address_space:  global
        .offset:         32
        .size:           8
        .value_kind:     global_buffer
      - .actual_access:  read_only
        .address_space:  global
        .offset:         40
        .size:           8
        .value_kind:     global_buffer
      - .offset:         48
        .size:           4
        .value_kind:     by_value
      - .actual_access:  read_only
        .address_space:  global
        .offset:         56
        .size:           8
        .value_kind:     global_buffer
      - .actual_access:  read_only
        .address_space:  global
        .offset:         64
        .size:           8
        .value_kind:     global_buffer
      - .actual_access:  read_only
        .address_space:  global
        .offset:         72
        .size:           8
        .value_kind:     global_buffer
      - .address_space:  global
        .offset:         80
        .size:           8
        .value_kind:     global_buffer
      - .address_space:  global
        .offset:         88
        .size:           8
        .value_kind:     global_buffer
      - .offset:         96
        .size:           4
        .value_kind:     by_value
      - .actual_access:  read_only
        .address_space:  global
        .offset:         104
        .size:           8
        .value_kind:     global_buffer
      - .actual_access:  read_only
        .address_space:  global
        .offset:         112
        .size:           8
        .value_kind:     global_buffer
      - .actual_access:  read_only
        .address_space:  global
        .offset:         120
        .size:           8
        .value_kind:     global_buffer
      - .address_space:  global
        .offset:         128
        .size:           8
        .value_kind:     global_buffer
      - .address_space:  global
        .offset:         136
        .size:           8
        .value_kind:     global_buffer
      - .offset:         144
        .size:           4
        .value_kind:     by_value
      - .address_space:  global
        .offset:         152
        .size:           8
        .value_kind:     global_buffer
      - .address_space:  global
        .offset:         160
        .size:           8
        .value_kind:     global_buffer
    .group_segment_fixed_size: 0
    .kernarg_segment_align: 8
    .kernarg_segment_size: 168
    .language:       OpenCL C
    .language_version:
      - 2
      - 0
    .max_flat_workgroup_size: 1024
    .name:           _ZN9rocsparseL14kernel_freerunILi1024ELi4E21rocsparse_complex_numIfEiiEEvT3_S3_T2_PKS4_S6_PKS3_PKT1_21rocsparse_index_base_S6_S6_S8_PS9_SD_SC_S6_S6_S8_SD_SD_SC_SD_SD_
    .private_segment_fixed_size: 0
    .sgpr_count:     59
    .sgpr_spill_count: 0
    .symbol:         _ZN9rocsparseL14kernel_freerunILi1024ELi4E21rocsparse_complex_numIfEiiEEvT3_S3_T2_PKS4_S6_PKS3_PKT1_21rocsparse_index_base_S6_S6_S8_PS9_SD_SC_S6_S6_S8_SD_SD_SC_SD_SD_.kd
    .uniform_work_group_size: 1
    .uses_dynamic_stack: false
    .vgpr_count:     34
    .vgpr_spill_count: 0
    .wavefront_size: 32
    .workgroup_processor_mode: 1
  - .args:
      - .offset:         0
        .size:           4
        .value_kind:     by_value
      - .offset:         4
        .size:           4
        .value_kind:     by_value
      - .offset:         8
        .size:           4
        .value_kind:     by_value
      - .actual_access:  read_only
        .address_space:  global
        .offset:         16
        .size:           8
        .value_kind:     global_buffer
      - .actual_access:  read_only
        .address_space:  global
        .offset:         24
        .size:           8
        .value_kind:     global_buffer
      - .actual_access:  read_only
        .address_space:  global
        .offset:         32
        .size:           8
        .value_kind:     global_buffer
      - .actual_access:  read_only
        .address_space:  global
        .offset:         40
        .size:           8
        .value_kind:     global_buffer
      - .offset:         48
        .size:           4
        .value_kind:     by_value
      - .actual_access:  read_only
        .address_space:  global
        .offset:         56
        .size:           8
        .value_kind:     global_buffer
      - .actual_access:  read_only
        .address_space:  global
        .offset:         64
        .size:           8
        .value_kind:     global_buffer
      - .actual_access:  read_only
        .address_space:  global
        .offset:         72
        .size:           8
        .value_kind:     global_buffer
      - .address_space:  global
        .offset:         80
        .size:           8
        .value_kind:     global_buffer
      - .address_space:  global
        .offset:         88
        .size:           8
        .value_kind:     global_buffer
      - .offset:         96
        .size:           4
        .value_kind:     by_value
      - .actual_access:  read_only
        .address_space:  global
        .offset:         104
        .size:           8
        .value_kind:     global_buffer
      - .actual_access:  read_only
        .address_space:  global
        .offset:         112
        .size:           8
        .value_kind:     global_buffer
      - .actual_access:  read_only
        .address_space:  global
        .offset:         120
        .size:           8
        .value_kind:     global_buffer
      - .address_space:  global
        .offset:         128
        .size:           8
        .value_kind:     global_buffer
      - .address_space:  global
        .offset:         136
        .size:           8
        .value_kind:     global_buffer
      - .offset:         144
        .size:           4
        .value_kind:     by_value
      - .address_space:  global
        .offset:         152
        .size:           8
        .value_kind:     global_buffer
      - .address_space:  global
        .offset:         160
        .size:           8
        .value_kind:     global_buffer
    .group_segment_fixed_size: 0
    .kernarg_segment_align: 8
    .kernarg_segment_size: 168
    .language:       OpenCL C
    .language_version:
      - 2
      - 0
    .max_flat_workgroup_size: 1024
    .name:           _ZN9rocsparseL14kernel_freerunILi1024ELi8E21rocsparse_complex_numIfEiiEEvT3_S3_T2_PKS4_S6_PKS3_PKT1_21rocsparse_index_base_S6_S6_S8_PS9_SD_SC_S6_S6_S8_SD_SD_SC_SD_SD_
    .private_segment_fixed_size: 0
    .sgpr_count:     59
    .sgpr_spill_count: 0
    .symbol:         _ZN9rocsparseL14kernel_freerunILi1024ELi8E21rocsparse_complex_numIfEiiEEvT3_S3_T2_PKS4_S6_PKS3_PKT1_21rocsparse_index_base_S6_S6_S8_PS9_SD_SC_S6_S6_S8_SD_SD_SC_SD_SD_.kd
    .uniform_work_group_size: 1
    .uses_dynamic_stack: false
    .vgpr_count:     34
    .vgpr_spill_count: 0
    .wavefront_size: 32
    .workgroup_processor_mode: 1
  - .args:
      - .offset:         0
        .size:           4
        .value_kind:     by_value
      - .offset:         4
        .size:           4
        .value_kind:     by_value
      - .offset:         8
        .size:           4
        .value_kind:     by_value
      - .actual_access:  read_only
        .address_space:  global
        .offset:         16
        .size:           8
        .value_kind:     global_buffer
      - .actual_access:  read_only
        .address_space:  global
        .offset:         24
        .size:           8
        .value_kind:     global_buffer
      - .actual_access:  read_only
        .address_space:  global
        .offset:         32
        .size:           8
        .value_kind:     global_buffer
      - .actual_access:  read_only
        .address_space:  global
        .offset:         40
        .size:           8
        .value_kind:     global_buffer
      - .offset:         48
        .size:           4
        .value_kind:     by_value
      - .actual_access:  read_only
        .address_space:  global
        .offset:         56
        .size:           8
        .value_kind:     global_buffer
      - .actual_access:  read_only
        .address_space:  global
        .offset:         64
        .size:           8
        .value_kind:     global_buffer
      - .actual_access:  read_only
        .address_space:  global
        .offset:         72
        .size:           8
        .value_kind:     global_buffer
      - .address_space:  global
        .offset:         80
        .size:           8
        .value_kind:     global_buffer
      - .address_space:  global
        .offset:         88
        .size:           8
        .value_kind:     global_buffer
      - .offset:         96
        .size:           4
        .value_kind:     by_value
      - .actual_access:  read_only
        .address_space:  global
        .offset:         104
        .size:           8
        .value_kind:     global_buffer
      - .actual_access:  read_only
        .address_space:  global
        .offset:         112
        .size:           8
        .value_kind:     global_buffer
      - .actual_access:  read_only
        .address_space:  global
        .offset:         120
        .size:           8
        .value_kind:     global_buffer
      - .address_space:  global
        .offset:         128
        .size:           8
        .value_kind:     global_buffer
      - .address_space:  global
        .offset:         136
        .size:           8
        .value_kind:     global_buffer
      - .offset:         144
        .size:           4
        .value_kind:     by_value
      - .address_space:  global
        .offset:         152
        .size:           8
        .value_kind:     global_buffer
      - .address_space:  global
        .offset:         160
        .size:           8
        .value_kind:     global_buffer
    .group_segment_fixed_size: 0
    .kernarg_segment_align: 8
    .kernarg_segment_size: 168
    .language:       OpenCL C
    .language_version:
      - 2
      - 0
    .max_flat_workgroup_size: 1024
    .name:           _ZN9rocsparseL14kernel_freerunILi1024ELi16E21rocsparse_complex_numIfEiiEEvT3_S3_T2_PKS4_S6_PKS3_PKT1_21rocsparse_index_base_S6_S6_S8_PS9_SD_SC_S6_S6_S8_SD_SD_SC_SD_SD_
    .private_segment_fixed_size: 0
    .sgpr_count:     59
    .sgpr_spill_count: 0
    .symbol:         _ZN9rocsparseL14kernel_freerunILi1024ELi16E21rocsparse_complex_numIfEiiEEvT3_S3_T2_PKS4_S6_PKS3_PKT1_21rocsparse_index_base_S6_S6_S8_PS9_SD_SC_S6_S6_S8_SD_SD_SC_SD_SD_.kd
    .uniform_work_group_size: 1
    .uses_dynamic_stack: false
    .vgpr_count:     34
    .vgpr_spill_count: 0
    .wavefront_size: 32
    .workgroup_processor_mode: 1
  - .args:
      - .offset:         0
        .size:           4
        .value_kind:     by_value
      - .offset:         4
        .size:           4
        .value_kind:     by_value
      - .offset:         8
        .size:           4
        .value_kind:     by_value
      - .actual_access:  read_only
        .address_space:  global
        .offset:         16
        .size:           8
        .value_kind:     global_buffer
      - .actual_access:  read_only
        .address_space:  global
        .offset:         24
        .size:           8
        .value_kind:     global_buffer
      - .actual_access:  read_only
        .address_space:  global
        .offset:         32
        .size:           8
        .value_kind:     global_buffer
      - .actual_access:  read_only
        .address_space:  global
        .offset:         40
        .size:           8
        .value_kind:     global_buffer
      - .offset:         48
        .size:           4
        .value_kind:     by_value
      - .actual_access:  read_only
        .address_space:  global
        .offset:         56
        .size:           8
        .value_kind:     global_buffer
      - .actual_access:  read_only
        .address_space:  global
        .offset:         64
        .size:           8
        .value_kind:     global_buffer
      - .actual_access:  read_only
        .address_space:  global
        .offset:         72
        .size:           8
        .value_kind:     global_buffer
      - .address_space:  global
        .offset:         80
        .size:           8
        .value_kind:     global_buffer
      - .address_space:  global
        .offset:         88
        .size:           8
        .value_kind:     global_buffer
      - .offset:         96
        .size:           4
        .value_kind:     by_value
      - .actual_access:  read_only
        .address_space:  global
        .offset:         104
        .size:           8
        .value_kind:     global_buffer
      - .actual_access:  read_only
        .address_space:  global
        .offset:         112
        .size:           8
        .value_kind:     global_buffer
      - .actual_access:  read_only
        .address_space:  global
        .offset:         120
        .size:           8
        .value_kind:     global_buffer
      - .address_space:  global
        .offset:         128
        .size:           8
        .value_kind:     global_buffer
      - .address_space:  global
        .offset:         136
        .size:           8
        .value_kind:     global_buffer
      - .offset:         144
        .size:           4
        .value_kind:     by_value
      - .address_space:  global
        .offset:         152
        .size:           8
        .value_kind:     global_buffer
      - .address_space:  global
        .offset:         160
        .size:           8
        .value_kind:     global_buffer
    .group_segment_fixed_size: 0
    .kernarg_segment_align: 8
    .kernarg_segment_size: 168
    .language:       OpenCL C
    .language_version:
      - 2
      - 0
    .max_flat_workgroup_size: 1024
    .name:           _ZN9rocsparseL14kernel_freerunILi1024ELi32E21rocsparse_complex_numIfEiiEEvT3_S3_T2_PKS4_S6_PKS3_PKT1_21rocsparse_index_base_S6_S6_S8_PS9_SD_SC_S6_S6_S8_SD_SD_SC_SD_SD_
    .private_segment_fixed_size: 0
    .sgpr_count:     59
    .sgpr_spill_count: 0
    .symbol:         _ZN9rocsparseL14kernel_freerunILi1024ELi32E21rocsparse_complex_numIfEiiEEvT3_S3_T2_PKS4_S6_PKS3_PKT1_21rocsparse_index_base_S6_S6_S8_PS9_SD_SC_S6_S6_S8_SD_SD_SC_SD_SD_.kd
    .uniform_work_group_size: 1
    .uses_dynamic_stack: false
    .vgpr_count:     34
    .vgpr_spill_count: 0
    .wavefront_size: 32
    .workgroup_processor_mode: 1
  - .args:
      - .offset:         0
        .size:           4
        .value_kind:     by_value
      - .offset:         4
        .size:           4
        .value_kind:     by_value
      - .offset:         8
        .size:           4
        .value_kind:     by_value
      - .actual_access:  read_only
        .address_space:  global
        .offset:         16
        .size:           8
        .value_kind:     global_buffer
      - .actual_access:  read_only
        .address_space:  global
        .offset:         24
        .size:           8
        .value_kind:     global_buffer
      - .actual_access:  read_only
        .address_space:  global
        .offset:         32
        .size:           8
        .value_kind:     global_buffer
      - .actual_access:  read_only
        .address_space:  global
        .offset:         40
        .size:           8
        .value_kind:     global_buffer
      - .offset:         48
        .size:           4
        .value_kind:     by_value
      - .actual_access:  read_only
        .address_space:  global
        .offset:         56
        .size:           8
        .value_kind:     global_buffer
      - .actual_access:  read_only
        .address_space:  global
        .offset:         64
        .size:           8
        .value_kind:     global_buffer
      - .actual_access:  read_only
        .address_space:  global
        .offset:         72
        .size:           8
        .value_kind:     global_buffer
      - .address_space:  global
        .offset:         80
        .size:           8
        .value_kind:     global_buffer
      - .address_space:  global
        .offset:         88
        .size:           8
        .value_kind:     global_buffer
      - .offset:         96
        .size:           4
        .value_kind:     by_value
      - .actual_access:  read_only
        .address_space:  global
        .offset:         104
        .size:           8
        .value_kind:     global_buffer
      - .actual_access:  read_only
        .address_space:  global
        .offset:         112
        .size:           8
        .value_kind:     global_buffer
      - .actual_access:  read_only
        .address_space:  global
        .offset:         120
        .size:           8
        .value_kind:     global_buffer
      - .address_space:  global
        .offset:         128
        .size:           8
        .value_kind:     global_buffer
      - .address_space:  global
        .offset:         136
        .size:           8
        .value_kind:     global_buffer
      - .offset:         144
        .size:           4
        .value_kind:     by_value
      - .address_space:  global
        .offset:         152
        .size:           8
        .value_kind:     global_buffer
      - .address_space:  global
        .offset:         160
        .size:           8
        .value_kind:     global_buffer
    .group_segment_fixed_size: 0
    .kernarg_segment_align: 8
    .kernarg_segment_size: 168
    .language:       OpenCL C
    .language_version:
      - 2
      - 0
    .max_flat_workgroup_size: 1024
    .name:           _ZN9rocsparseL14kernel_freerunILi1024ELi64E21rocsparse_complex_numIfEiiEEvT3_S3_T2_PKS4_S6_PKS3_PKT1_21rocsparse_index_base_S6_S6_S8_PS9_SD_SC_S6_S6_S8_SD_SD_SC_SD_SD_
    .private_segment_fixed_size: 0
    .sgpr_count:     59
    .sgpr_spill_count: 0
    .symbol:         _ZN9rocsparseL14kernel_freerunILi1024ELi64E21rocsparse_complex_numIfEiiEEvT3_S3_T2_PKS4_S6_PKS3_PKT1_21rocsparse_index_base_S6_S6_S8_PS9_SD_SC_S6_S6_S8_SD_SD_SC_SD_SD_.kd
    .uniform_work_group_size: 1
    .uses_dynamic_stack: false
    .vgpr_count:     34
    .vgpr_spill_count: 0
    .wavefront_size: 32
    .workgroup_processor_mode: 1
  - .args:
      - .offset:         0
        .size:           1
        .value_kind:     by_value
      - .offset:         1
        .size:           1
        .value_kind:     by_value
      - .offset:         2
        .size:           1
        .value_kind:     by_value
      - .offset:         4
        .size:           4
        .value_kind:     by_value
      - .address_space:  global
        .offset:         8
        .size:           8
        .value_kind:     global_buffer
      - .offset:         16
        .size:           4
        .value_kind:     by_value
      - .offset:         20
        .size:           4
        .value_kind:     by_value
      - .offset:         24
        .size:           4
        .value_kind:     by_value
      - .actual_access:  read_only
        .address_space:  global
        .offset:         32
        .size:           8
        .value_kind:     global_buffer
      - .actual_access:  read_only
        .address_space:  global
        .offset:         40
        .size:           8
        .value_kind:     global_buffer
      - .actual_access:  read_only
        .address_space:  global
        .offset:         48
        .size:           8
        .value_kind:     global_buffer
      - .actual_access:  read_only
        .address_space:  global
        .offset:         56
        .size:           8
        .value_kind:     global_buffer
      - .offset:         64
        .size:           4
        .value_kind:     by_value
      - .actual_access:  read_only
        .address_space:  global
        .offset:         72
        .size:           8
        .value_kind:     global_buffer
      - .actual_access:  read_only
        .address_space:  global
        .offset:         80
        .size:           8
        .value_kind:     global_buffer
      - .actual_access:  read_only
        .address_space:  global
        .offset:         88
        .size:           8
        .value_kind:     global_buffer
      - .address_space:  global
        .offset:         96
        .size:           8
        .value_kind:     global_buffer
      - .address_space:  global
        .offset:         104
        .size:           8
        .value_kind:     global_buffer
      - .offset:         112
        .size:           4
        .value_kind:     by_value
      - .actual_access:  read_only
        .address_space:  global
        .offset:         120
        .size:           8
        .value_kind:     global_buffer
      - .actual_access:  read_only
        .address_space:  global
        .offset:         128
        .size:           8
        .value_kind:     global_buffer
      - .actual_access:  read_only
        .address_space:  global
        .offset:         136
        .size:           8
        .value_kind:     global_buffer
      - .address_space:  global
        .offset:         144
        .size:           8
        .value_kind:     global_buffer
      - .address_space:  global
        .offset:         152
        .size:           8
        .value_kind:     global_buffer
      - .offset:         160
        .size:           4
        .value_kind:     by_value
      - .address_space:  global
        .offset:         168
        .size:           8
        .value_kind:     global_buffer
      - .address_space:  global
        .offset:         176
        .size:           8
        .value_kind:     global_buffer
      - .address_space:  global
        .offset:         184
        .size:           8
        .value_kind:     global_buffer
      - .address_space:  global
        .offset:         192
        .size:           8
        .value_kind:     global_buffer
      - .actual_access:  read_only
        .address_space:  global
        .offset:         200
        .size:           8
        .value_kind:     global_buffer
    .group_segment_fixed_size: 8192
    .kernarg_segment_align: 8
    .kernarg_segment_size: 208
    .language:       OpenCL C
    .language_version:
      - 2
      - 0
    .max_flat_workgroup_size: 1024
    .name:           _ZN9rocsparseL6kernelILi1024ELi1E21rocsparse_complex_numIfEiiEEvbbbT3_PS3_NS_15floating_traitsIT1_E6data_tES3_T2_PKS9_SB_PKS3_PKS6_21rocsparse_index_base_SB_SB_SD_PS6_SH_SG_SB_SB_SD_SH_SH_SG_SH_SH_PS8_SI_PKS8_
    .private_segment_fixed_size: 0
    .sgpr_count:     80
    .sgpr_spill_count: 0
    .symbol:         _ZN9rocsparseL6kernelILi1024ELi1E21rocsparse_complex_numIfEiiEEvbbbT3_PS3_NS_15floating_traitsIT1_E6data_tES3_T2_PKS9_SB_PKS3_PKS6_21rocsparse_index_base_SB_SB_SD_PS6_SH_SG_SB_SB_SD_SH_SH_SG_SH_SH_PS8_SI_PKS8_.kd
    .uniform_work_group_size: 1
    .uses_dynamic_stack: false
    .vgpr_count:     36
    .vgpr_spill_count: 0
    .wavefront_size: 32
    .workgroup_processor_mode: 1
  - .args:
      - .offset:         0
        .size:           1
        .value_kind:     by_value
      - .offset:         1
        .size:           1
        .value_kind:     by_value
      - .offset:         2
        .size:           1
        .value_kind:     by_value
      - .offset:         4
        .size:           4
        .value_kind:     by_value
      - .address_space:  global
        .offset:         8
        .size:           8
        .value_kind:     global_buffer
      - .offset:         16
        .size:           4
        .value_kind:     by_value
      - .offset:         20
        .size:           4
        .value_kind:     by_value
      - .offset:         24
        .size:           4
        .value_kind:     by_value
      - .actual_access:  read_only
        .address_space:  global
        .offset:         32
        .size:           8
        .value_kind:     global_buffer
      - .actual_access:  read_only
        .address_space:  global
        .offset:         40
        .size:           8
        .value_kind:     global_buffer
      - .actual_access:  read_only
        .address_space:  global
        .offset:         48
        .size:           8
        .value_kind:     global_buffer
      - .actual_access:  read_only
        .address_space:  global
        .offset:         56
        .size:           8
        .value_kind:     global_buffer
      - .offset:         64
        .size:           4
        .value_kind:     by_value
      - .actual_access:  read_only
        .address_space:  global
        .offset:         72
        .size:           8
        .value_kind:     global_buffer
      - .actual_access:  read_only
        .address_space:  global
        .offset:         80
        .size:           8
        .value_kind:     global_buffer
      - .actual_access:  read_only
        .address_space:  global
        .offset:         88
        .size:           8
        .value_kind:     global_buffer
      - .address_space:  global
        .offset:         96
        .size:           8
        .value_kind:     global_buffer
      - .address_space:  global
        .offset:         104
        .size:           8
        .value_kind:     global_buffer
      - .offset:         112
        .size:           4
        .value_kind:     by_value
      - .actual_access:  read_only
        .address_space:  global
        .offset:         120
        .size:           8
        .value_kind:     global_buffer
      - .actual_access:  read_only
        .address_space:  global
        .offset:         128
        .size:           8
        .value_kind:     global_buffer
      - .actual_access:  read_only
        .address_space:  global
        .offset:         136
        .size:           8
        .value_kind:     global_buffer
      - .address_space:  global
        .offset:         144
        .size:           8
        .value_kind:     global_buffer
      - .address_space:  global
        .offset:         152
        .size:           8
        .value_kind:     global_buffer
      - .offset:         160
        .size:           4
        .value_kind:     by_value
      - .address_space:  global
        .offset:         168
        .size:           8
        .value_kind:     global_buffer
      - .address_space:  global
        .offset:         176
        .size:           8
        .value_kind:     global_buffer
      - .address_space:  global
        .offset:         184
        .size:           8
        .value_kind:     global_buffer
      - .address_space:  global
        .offset:         192
        .size:           8
        .value_kind:     global_buffer
      - .actual_access:  read_only
        .address_space:  global
        .offset:         200
        .size:           8
        .value_kind:     global_buffer
    .group_segment_fixed_size: 4096
    .kernarg_segment_align: 8
    .kernarg_segment_size: 208
    .language:       OpenCL C
    .language_version:
      - 2
      - 0
    .max_flat_workgroup_size: 1024
    .name:           _ZN9rocsparseL6kernelILi1024ELi2E21rocsparse_complex_numIfEiiEEvbbbT3_PS3_NS_15floating_traitsIT1_E6data_tES3_T2_PKS9_SB_PKS3_PKS6_21rocsparse_index_base_SB_SB_SD_PS6_SH_SG_SB_SB_SD_SH_SH_SG_SH_SH_PS8_SI_PKS8_
    .private_segment_fixed_size: 0
    .sgpr_count:     86
    .sgpr_spill_count: 0
    .symbol:         _ZN9rocsparseL6kernelILi1024ELi2E21rocsparse_complex_numIfEiiEEvbbbT3_PS3_NS_15floating_traitsIT1_E6data_tES3_T2_PKS9_SB_PKS3_PKS6_21rocsparse_index_base_SB_SB_SD_PS6_SH_SG_SB_SB_SD_SH_SH_SG_SH_SH_PS8_SI_PKS8_.kd
    .uniform_work_group_size: 1
    .uses_dynamic_stack: false
    .vgpr_count:     43
    .vgpr_spill_count: 0
    .wavefront_size: 32
    .workgroup_processor_mode: 1
  - .args:
      - .offset:         0
        .size:           1
        .value_kind:     by_value
      - .offset:         1
        .size:           1
        .value_kind:     by_value
      - .offset:         2
        .size:           1
        .value_kind:     by_value
      - .offset:         4
        .size:           4
        .value_kind:     by_value
      - .address_space:  global
        .offset:         8
        .size:           8
        .value_kind:     global_buffer
      - .offset:         16
        .size:           4
        .value_kind:     by_value
      - .offset:         20
        .size:           4
        .value_kind:     by_value
      - .offset:         24
        .size:           4
        .value_kind:     by_value
      - .actual_access:  read_only
        .address_space:  global
        .offset:         32
        .size:           8
        .value_kind:     global_buffer
      - .actual_access:  read_only
        .address_space:  global
        .offset:         40
        .size:           8
        .value_kind:     global_buffer
      - .actual_access:  read_only
        .address_space:  global
        .offset:         48
        .size:           8
        .value_kind:     global_buffer
      - .actual_access:  read_only
        .address_space:  global
        .offset:         56
        .size:           8
        .value_kind:     global_buffer
      - .offset:         64
        .size:           4
        .value_kind:     by_value
      - .actual_access:  read_only
        .address_space:  global
        .offset:         72
        .size:           8
        .value_kind:     global_buffer
      - .actual_access:  read_only
        .address_space:  global
        .offset:         80
        .size:           8
        .value_kind:     global_buffer
      - .actual_access:  read_only
        .address_space:  global
        .offset:         88
        .size:           8
        .value_kind:     global_buffer
      - .address_space:  global
        .offset:         96
        .size:           8
        .value_kind:     global_buffer
      - .address_space:  global
        .offset:         104
        .size:           8
        .value_kind:     global_buffer
      - .offset:         112
        .size:           4
        .value_kind:     by_value
      - .actual_access:  read_only
        .address_space:  global
        .offset:         120
        .size:           8
        .value_kind:     global_buffer
      - .actual_access:  read_only
        .address_space:  global
        .offset:         128
        .size:           8
        .value_kind:     global_buffer
      - .actual_access:  read_only
        .address_space:  global
        .offset:         136
        .size:           8
        .value_kind:     global_buffer
      - .address_space:  global
        .offset:         144
        .size:           8
        .value_kind:     global_buffer
      - .address_space:  global
        .offset:         152
        .size:           8
        .value_kind:     global_buffer
      - .offset:         160
        .size:           4
        .value_kind:     by_value
      - .address_space:  global
        .offset:         168
        .size:           8
        .value_kind:     global_buffer
      - .address_space:  global
        .offset:         176
        .size:           8
        .value_kind:     global_buffer
      - .address_space:  global
        .offset:         184
        .size:           8
        .value_kind:     global_buffer
      - .address_space:  global
        .offset:         192
        .size:           8
        .value_kind:     global_buffer
      - .actual_access:  read_only
        .address_space:  global
        .offset:         200
        .size:           8
        .value_kind:     global_buffer
    .group_segment_fixed_size: 2048
    .kernarg_segment_align: 8
    .kernarg_segment_size: 208
    .language:       OpenCL C
    .language_version:
      - 2
      - 0
    .max_flat_workgroup_size: 1024
    .name:           _ZN9rocsparseL6kernelILi1024ELi4E21rocsparse_complex_numIfEiiEEvbbbT3_PS3_NS_15floating_traitsIT1_E6data_tES3_T2_PKS9_SB_PKS3_PKS6_21rocsparse_index_base_SB_SB_SD_PS6_SH_SG_SB_SB_SD_SH_SH_SG_SH_SH_PS8_SI_PKS8_
    .private_segment_fixed_size: 0
    .sgpr_count:     85
    .sgpr_spill_count: 0
    .symbol:         _ZN9rocsparseL6kernelILi1024ELi4E21rocsparse_complex_numIfEiiEEvbbbT3_PS3_NS_15floating_traitsIT1_E6data_tES3_T2_PKS9_SB_PKS3_PKS6_21rocsparse_index_base_SB_SB_SD_PS6_SH_SG_SB_SB_SD_SH_SH_SG_SH_SH_PS8_SI_PKS8_.kd
    .uniform_work_group_size: 1
    .uses_dynamic_stack: false
    .vgpr_count:     43
    .vgpr_spill_count: 0
    .wavefront_size: 32
    .workgroup_processor_mode: 1
  - .args:
      - .offset:         0
        .size:           1
        .value_kind:     by_value
      - .offset:         1
        .size:           1
        .value_kind:     by_value
      - .offset:         2
        .size:           1
        .value_kind:     by_value
      - .offset:         4
        .size:           4
        .value_kind:     by_value
      - .address_space:  global
        .offset:         8
        .size:           8
        .value_kind:     global_buffer
      - .offset:         16
        .size:           4
        .value_kind:     by_value
      - .offset:         20
        .size:           4
        .value_kind:     by_value
      - .offset:         24
        .size:           4
        .value_kind:     by_value
      - .actual_access:  read_only
        .address_space:  global
        .offset:         32
        .size:           8
        .value_kind:     global_buffer
      - .actual_access:  read_only
        .address_space:  global
        .offset:         40
        .size:           8
        .value_kind:     global_buffer
      - .actual_access:  read_only
        .address_space:  global
        .offset:         48
        .size:           8
        .value_kind:     global_buffer
      - .actual_access:  read_only
        .address_space:  global
        .offset:         56
        .size:           8
        .value_kind:     global_buffer
      - .offset:         64
        .size:           4
        .value_kind:     by_value
      - .actual_access:  read_only
        .address_space:  global
        .offset:         72
        .size:           8
        .value_kind:     global_buffer
      - .actual_access:  read_only
        .address_space:  global
        .offset:         80
        .size:           8
        .value_kind:     global_buffer
      - .actual_access:  read_only
        .address_space:  global
        .offset:         88
        .size:           8
        .value_kind:     global_buffer
      - .address_space:  global
        .offset:         96
        .size:           8
        .value_kind:     global_buffer
      - .address_space:  global
        .offset:         104
        .size:           8
        .value_kind:     global_buffer
      - .offset:         112
        .size:           4
        .value_kind:     by_value
      - .actual_access:  read_only
        .address_space:  global
        .offset:         120
        .size:           8
        .value_kind:     global_buffer
      - .actual_access:  read_only
        .address_space:  global
        .offset:         128
        .size:           8
        .value_kind:     global_buffer
      - .actual_access:  read_only
        .address_space:  global
        .offset:         136
        .size:           8
        .value_kind:     global_buffer
      - .address_space:  global
        .offset:         144
        .size:           8
        .value_kind:     global_buffer
      - .address_space:  global
        .offset:         152
        .size:           8
        .value_kind:     global_buffer
      - .offset:         160
        .size:           4
        .value_kind:     by_value
      - .address_space:  global
        .offset:         168
        .size:           8
        .value_kind:     global_buffer
      - .address_space:  global
        .offset:         176
        .size:           8
        .value_kind:     global_buffer
      - .address_space:  global
        .offset:         184
        .size:           8
        .value_kind:     global_buffer
      - .address_space:  global
        .offset:         192
        .size:           8
        .value_kind:     global_buffer
      - .actual_access:  read_only
        .address_space:  global
        .offset:         200
        .size:           8
        .value_kind:     global_buffer
    .group_segment_fixed_size: 1024
    .kernarg_segment_align: 8
    .kernarg_segment_size: 208
    .language:       OpenCL C
    .language_version:
      - 2
      - 0
    .max_flat_workgroup_size: 1024
    .name:           _ZN9rocsparseL6kernelILi1024ELi8E21rocsparse_complex_numIfEiiEEvbbbT3_PS3_NS_15floating_traitsIT1_E6data_tES3_T2_PKS9_SB_PKS3_PKS6_21rocsparse_index_base_SB_SB_SD_PS6_SH_SG_SB_SB_SD_SH_SH_SG_SH_SH_PS8_SI_PKS8_
    .private_segment_fixed_size: 0
    .sgpr_count:     84
    .sgpr_spill_count: 0
    .symbol:         _ZN9rocsparseL6kernelILi1024ELi8E21rocsparse_complex_numIfEiiEEvbbbT3_PS3_NS_15floating_traitsIT1_E6data_tES3_T2_PKS9_SB_PKS3_PKS6_21rocsparse_index_base_SB_SB_SD_PS6_SH_SG_SB_SB_SD_SH_SH_SG_SH_SH_PS8_SI_PKS8_.kd
    .uniform_work_group_size: 1
    .uses_dynamic_stack: false
    .vgpr_count:     43
    .vgpr_spill_count: 0
    .wavefront_size: 32
    .workgroup_processor_mode: 1
  - .args:
      - .offset:         0
        .size:           1
        .value_kind:     by_value
      - .offset:         1
        .size:           1
        .value_kind:     by_value
      - .offset:         2
        .size:           1
        .value_kind:     by_value
      - .offset:         4
        .size:           4
        .value_kind:     by_value
      - .address_space:  global
        .offset:         8
        .size:           8
        .value_kind:     global_buffer
      - .offset:         16
        .size:           4
        .value_kind:     by_value
      - .offset:         20
        .size:           4
        .value_kind:     by_value
      - .offset:         24
        .size:           4
        .value_kind:     by_value
      - .actual_access:  read_only
        .address_space:  global
        .offset:         32
        .size:           8
        .value_kind:     global_buffer
      - .actual_access:  read_only
        .address_space:  global
        .offset:         40
        .size:           8
        .value_kind:     global_buffer
      - .actual_access:  read_only
        .address_space:  global
        .offset:         48
        .size:           8
        .value_kind:     global_buffer
      - .actual_access:  read_only
        .address_space:  global
        .offset:         56
        .size:           8
        .value_kind:     global_buffer
      - .offset:         64
        .size:           4
        .value_kind:     by_value
      - .actual_access:  read_only
        .address_space:  global
        .offset:         72
        .size:           8
        .value_kind:     global_buffer
      - .actual_access:  read_only
        .address_space:  global
        .offset:         80
        .size:           8
        .value_kind:     global_buffer
      - .actual_access:  read_only
        .address_space:  global
        .offset:         88
        .size:           8
        .value_kind:     global_buffer
      - .address_space:  global
        .offset:         96
        .size:           8
        .value_kind:     global_buffer
      - .address_space:  global
        .offset:         104
        .size:           8
        .value_kind:     global_buffer
      - .offset:         112
        .size:           4
        .value_kind:     by_value
      - .actual_access:  read_only
        .address_space:  global
        .offset:         120
        .size:           8
        .value_kind:     global_buffer
      - .actual_access:  read_only
        .address_space:  global
        .offset:         128
        .size:           8
        .value_kind:     global_buffer
      - .actual_access:  read_only
        .address_space:  global
        .offset:         136
        .size:           8
        .value_kind:     global_buffer
      - .address_space:  global
        .offset:         144
        .size:           8
        .value_kind:     global_buffer
      - .address_space:  global
        .offset:         152
        .size:           8
        .value_kind:     global_buffer
      - .offset:         160
        .size:           4
        .value_kind:     by_value
      - .address_space:  global
        .offset:         168
        .size:           8
        .value_kind:     global_buffer
      - .address_space:  global
        .offset:         176
        .size:           8
        .value_kind:     global_buffer
      - .address_space:  global
        .offset:         184
        .size:           8
        .value_kind:     global_buffer
      - .address_space:  global
        .offset:         192
        .size:           8
        .value_kind:     global_buffer
      - .actual_access:  read_only
        .address_space:  global
        .offset:         200
        .size:           8
        .value_kind:     global_buffer
    .group_segment_fixed_size: 512
    .kernarg_segment_align: 8
    .kernarg_segment_size: 208
    .language:       OpenCL C
    .language_version:
      - 2
      - 0
    .max_flat_workgroup_size: 1024
    .name:           _ZN9rocsparseL6kernelILi1024ELi16E21rocsparse_complex_numIfEiiEEvbbbT3_PS3_NS_15floating_traitsIT1_E6data_tES3_T2_PKS9_SB_PKS3_PKS6_21rocsparse_index_base_SB_SB_SD_PS6_SH_SG_SB_SB_SD_SH_SH_SG_SH_SH_PS8_SI_PKS8_
    .private_segment_fixed_size: 0
    .sgpr_count:     83
    .sgpr_spill_count: 0
    .symbol:         _ZN9rocsparseL6kernelILi1024ELi16E21rocsparse_complex_numIfEiiEEvbbbT3_PS3_NS_15floating_traitsIT1_E6data_tES3_T2_PKS9_SB_PKS3_PKS6_21rocsparse_index_base_SB_SB_SD_PS6_SH_SG_SB_SB_SD_SH_SH_SG_SH_SH_PS8_SI_PKS8_.kd
    .uniform_work_group_size: 1
    .uses_dynamic_stack: false
    .vgpr_count:     43
    .vgpr_spill_count: 0
    .wavefront_size: 32
    .workgroup_processor_mode: 1
  - .args:
      - .offset:         0
        .size:           1
        .value_kind:     by_value
      - .offset:         1
        .size:           1
        .value_kind:     by_value
      - .offset:         2
        .size:           1
        .value_kind:     by_value
      - .offset:         4
        .size:           4
        .value_kind:     by_value
      - .address_space:  global
        .offset:         8
        .size:           8
        .value_kind:     global_buffer
      - .offset:         16
        .size:           4
        .value_kind:     by_value
      - .offset:         20
        .size:           4
        .value_kind:     by_value
      - .offset:         24
        .size:           4
        .value_kind:     by_value
      - .actual_access:  read_only
        .address_space:  global
        .offset:         32
        .size:           8
        .value_kind:     global_buffer
      - .actual_access:  read_only
        .address_space:  global
        .offset:         40
        .size:           8
        .value_kind:     global_buffer
      - .actual_access:  read_only
        .address_space:  global
        .offset:         48
        .size:           8
        .value_kind:     global_buffer
      - .actual_access:  read_only
        .address_space:  global
        .offset:         56
        .size:           8
        .value_kind:     global_buffer
      - .offset:         64
        .size:           4
        .value_kind:     by_value
      - .actual_access:  read_only
        .address_space:  global
        .offset:         72
        .size:           8
        .value_kind:     global_buffer
      - .actual_access:  read_only
        .address_space:  global
        .offset:         80
        .size:           8
        .value_kind:     global_buffer
      - .actual_access:  read_only
        .address_space:  global
        .offset:         88
        .size:           8
        .value_kind:     global_buffer
      - .address_space:  global
        .offset:         96
        .size:           8
        .value_kind:     global_buffer
      - .address_space:  global
        .offset:         104
        .size:           8
        .value_kind:     global_buffer
      - .offset:         112
        .size:           4
        .value_kind:     by_value
      - .actual_access:  read_only
        .address_space:  global
        .offset:         120
        .size:           8
        .value_kind:     global_buffer
      - .actual_access:  read_only
        .address_space:  global
        .offset:         128
        .size:           8
        .value_kind:     global_buffer
      - .actual_access:  read_only
        .address_space:  global
        .offset:         136
        .size:           8
        .value_kind:     global_buffer
      - .address_space:  global
        .offset:         144
        .size:           8
        .value_kind:     global_buffer
      - .address_space:  global
        .offset:         152
        .size:           8
        .value_kind:     global_buffer
      - .offset:         160
        .size:           4
        .value_kind:     by_value
      - .address_space:  global
        .offset:         168
        .size:           8
        .value_kind:     global_buffer
      - .address_space:  global
        .offset:         176
        .size:           8
        .value_kind:     global_buffer
      - .address_space:  global
        .offset:         184
        .size:           8
        .value_kind:     global_buffer
      - .address_space:  global
        .offset:         192
        .size:           8
        .value_kind:     global_buffer
      - .actual_access:  read_only
        .address_space:  global
        .offset:         200
        .size:           8
        .value_kind:     global_buffer
    .group_segment_fixed_size: 256
    .kernarg_segment_align: 8
    .kernarg_segment_size: 208
    .language:       OpenCL C
    .language_version:
      - 2
      - 0
    .max_flat_workgroup_size: 1024
    .name:           _ZN9rocsparseL6kernelILi1024ELi32E21rocsparse_complex_numIfEiiEEvbbbT3_PS3_NS_15floating_traitsIT1_E6data_tES3_T2_PKS9_SB_PKS3_PKS6_21rocsparse_index_base_SB_SB_SD_PS6_SH_SG_SB_SB_SD_SH_SH_SG_SH_SH_PS8_SI_PKS8_
    .private_segment_fixed_size: 0
    .sgpr_count:     82
    .sgpr_spill_count: 0
    .symbol:         _ZN9rocsparseL6kernelILi1024ELi32E21rocsparse_complex_numIfEiiEEvbbbT3_PS3_NS_15floating_traitsIT1_E6data_tES3_T2_PKS9_SB_PKS3_PKS6_21rocsparse_index_base_SB_SB_SD_PS6_SH_SG_SB_SB_SD_SH_SH_SG_SH_SH_PS8_SI_PKS8_.kd
    .uniform_work_group_size: 1
    .uses_dynamic_stack: false
    .vgpr_count:     43
    .vgpr_spill_count: 0
    .wavefront_size: 32
    .workgroup_processor_mode: 1
  - .args:
      - .offset:         0
        .size:           1
        .value_kind:     by_value
      - .offset:         1
        .size:           1
        .value_kind:     by_value
      - .offset:         2
        .size:           1
        .value_kind:     by_value
      - .offset:         4
        .size:           4
        .value_kind:     by_value
      - .address_space:  global
        .offset:         8
        .size:           8
        .value_kind:     global_buffer
      - .offset:         16
        .size:           4
        .value_kind:     by_value
      - .offset:         20
        .size:           4
        .value_kind:     by_value
      - .offset:         24
        .size:           4
        .value_kind:     by_value
      - .actual_access:  read_only
        .address_space:  global
        .offset:         32
        .size:           8
        .value_kind:     global_buffer
      - .actual_access:  read_only
        .address_space:  global
        .offset:         40
        .size:           8
        .value_kind:     global_buffer
      - .actual_access:  read_only
        .address_space:  global
        .offset:         48
        .size:           8
        .value_kind:     global_buffer
      - .actual_access:  read_only
        .address_space:  global
        .offset:         56
        .size:           8
        .value_kind:     global_buffer
      - .offset:         64
        .size:           4
        .value_kind:     by_value
      - .actual_access:  read_only
        .address_space:  global
        .offset:         72
        .size:           8
        .value_kind:     global_buffer
      - .actual_access:  read_only
        .address_space:  global
        .offset:         80
        .size:           8
        .value_kind:     global_buffer
      - .actual_access:  read_only
        .address_space:  global
        .offset:         88
        .size:           8
        .value_kind:     global_buffer
      - .address_space:  global
        .offset:         96
        .size:           8
        .value_kind:     global_buffer
      - .address_space:  global
        .offset:         104
        .size:           8
        .value_kind:     global_buffer
      - .offset:         112
        .size:           4
        .value_kind:     by_value
      - .actual_access:  read_only
        .address_space:  global
        .offset:         120
        .size:           8
        .value_kind:     global_buffer
      - .actual_access:  read_only
        .address_space:  global
        .offset:         128
        .size:           8
        .value_kind:     global_buffer
      - .actual_access:  read_only
        .address_space:  global
        .offset:         136
        .size:           8
        .value_kind:     global_buffer
      - .address_space:  global
        .offset:         144
        .size:           8
        .value_kind:     global_buffer
      - .address_space:  global
        .offset:         152
        .size:           8
        .value_kind:     global_buffer
      - .offset:         160
        .size:           4
        .value_kind:     by_value
      - .address_space:  global
        .offset:         168
        .size:           8
        .value_kind:     global_buffer
      - .address_space:  global
        .offset:         176
        .size:           8
        .value_kind:     global_buffer
      - .address_space:  global
        .offset:         184
        .size:           8
        .value_kind:     global_buffer
      - .address_space:  global
        .offset:         192
        .size:           8
        .value_kind:     global_buffer
      - .actual_access:  read_only
        .address_space:  global
        .offset:         200
        .size:           8
        .value_kind:     global_buffer
    .group_segment_fixed_size: 128
    .kernarg_segment_align: 8
    .kernarg_segment_size: 208
    .language:       OpenCL C
    .language_version:
      - 2
      - 0
    .max_flat_workgroup_size: 1024
    .name:           _ZN9rocsparseL6kernelILi1024ELi64E21rocsparse_complex_numIfEiiEEvbbbT3_PS3_NS_15floating_traitsIT1_E6data_tES3_T2_PKS9_SB_PKS3_PKS6_21rocsparse_index_base_SB_SB_SD_PS6_SH_SG_SB_SB_SD_SH_SH_SG_SH_SH_PS8_SI_PKS8_
    .private_segment_fixed_size: 0
    .sgpr_count:     81
    .sgpr_spill_count: 0
    .symbol:         _ZN9rocsparseL6kernelILi1024ELi64E21rocsparse_complex_numIfEiiEEvbbbT3_PS3_NS_15floating_traitsIT1_E6data_tES3_T2_PKS9_SB_PKS3_PKS6_21rocsparse_index_base_SB_SB_SD_PS6_SH_SG_SB_SB_SD_SH_SH_SG_SH_SH_PS8_SI_PKS8_.kd
    .uniform_work_group_size: 1
    .uses_dynamic_stack: false
    .vgpr_count:     43
    .vgpr_spill_count: 0
    .wavefront_size: 32
    .workgroup_processor_mode: 1
  - .args:
      - .offset:         0
        .size:           4
        .value_kind:     by_value
      - .offset:         4
        .size:           4
        .value_kind:     by_value
      - .offset:         8
        .size:           4
        .value_kind:     by_value
      - .actual_access:  read_only
        .address_space:  global
        .offset:         16
        .size:           8
        .value_kind:     global_buffer
      - .actual_access:  read_only
        .address_space:  global
        .offset:         24
        .size:           8
        .value_kind:     global_buffer
      - .actual_access:  read_only
        .address_space:  global
        .offset:         32
        .size:           8
        .value_kind:     global_buffer
      - .actual_access:  read_only
        .address_space:  global
        .offset:         40
        .size:           8
        .value_kind:     global_buffer
      - .offset:         48
        .size:           4
        .value_kind:     by_value
      - .actual_access:  read_only
        .address_space:  global
        .offset:         56
        .size:           8
        .value_kind:     global_buffer
      - .actual_access:  read_only
        .address_space:  global
        .offset:         64
        .size:           8
        .value_kind:     global_buffer
      - .actual_access:  read_only
        .address_space:  global
        .offset:         72
        .size:           8
        .value_kind:     global_buffer
      - .address_space:  global
        .offset:         80
        .size:           8
        .value_kind:     global_buffer
      - .address_space:  global
        .offset:         88
        .size:           8
        .value_kind:     global_buffer
      - .offset:         96
        .size:           4
        .value_kind:     by_value
      - .actual_access:  read_only
        .address_space:  global
        .offset:         104
        .size:           8
        .value_kind:     global_buffer
      - .actual_access:  read_only
        .address_space:  global
        .offset:         112
        .size:           8
        .value_kind:     global_buffer
      - .actual_access:  read_only
        .address_space:  global
        .offset:         120
        .size:           8
        .value_kind:     global_buffer
      - .address_space:  global
        .offset:         128
        .size:           8
        .value_kind:     global_buffer
      - .address_space:  global
        .offset:         136
        .size:           8
        .value_kind:     global_buffer
      - .offset:         144
        .size:           4
        .value_kind:     by_value
      - .address_space:  global
        .offset:         152
        .size:           8
        .value_kind:     global_buffer
      - .address_space:  global
        .offset:         160
        .size:           8
        .value_kind:     global_buffer
    .group_segment_fixed_size: 0
    .kernarg_segment_align: 8
    .kernarg_segment_size: 168
    .language:       OpenCL C
    .language_version:
      - 2
      - 0
    .max_flat_workgroup_size: 1024
    .name:           _ZN9rocsparseL14kernel_freerunILi1024ELi1E21rocsparse_complex_numIdEiiEEvT3_S3_T2_PKS4_S6_PKS3_PKT1_21rocsparse_index_base_S6_S6_S8_PS9_SD_SC_S6_S6_S8_SD_SD_SC_SD_SD_
    .private_segment_fixed_size: 0
    .sgpr_count:     54
    .sgpr_spill_count: 0
    .symbol:         _ZN9rocsparseL14kernel_freerunILi1024ELi1E21rocsparse_complex_numIdEiiEEvT3_S3_T2_PKS4_S6_PKS3_PKT1_21rocsparse_index_base_S6_S6_S8_PS9_SD_SC_S6_S6_S8_SD_SD_SC_SD_SD_.kd
    .uniform_work_group_size: 1
    .uses_dynamic_stack: false
    .vgpr_count:     40
    .vgpr_spill_count: 0
    .wavefront_size: 32
    .workgroup_processor_mode: 1
  - .args:
      - .offset:         0
        .size:           4
        .value_kind:     by_value
      - .offset:         4
        .size:           4
        .value_kind:     by_value
      - .offset:         8
        .size:           4
        .value_kind:     by_value
      - .actual_access:  read_only
        .address_space:  global
        .offset:         16
        .size:           8
        .value_kind:     global_buffer
      - .actual_access:  read_only
        .address_space:  global
        .offset:         24
        .size:           8
        .value_kind:     global_buffer
      - .actual_access:  read_only
        .address_space:  global
        .offset:         32
        .size:           8
        .value_kind:     global_buffer
      - .actual_access:  read_only
        .address_space:  global
        .offset:         40
        .size:           8
        .value_kind:     global_buffer
      - .offset:         48
        .size:           4
        .value_kind:     by_value
      - .actual_access:  read_only
        .address_space:  global
        .offset:         56
        .size:           8
        .value_kind:     global_buffer
      - .actual_access:  read_only
        .address_space:  global
        .offset:         64
        .size:           8
        .value_kind:     global_buffer
      - .actual_access:  read_only
        .address_space:  global
        .offset:         72
        .size:           8
        .value_kind:     global_buffer
      - .address_space:  global
        .offset:         80
        .size:           8
        .value_kind:     global_buffer
      - .address_space:  global
        .offset:         88
        .size:           8
        .value_kind:     global_buffer
      - .offset:         96
        .size:           4
        .value_kind:     by_value
      - .actual_access:  read_only
        .address_space:  global
        .offset:         104
        .size:           8
        .value_kind:     global_buffer
      - .actual_access:  read_only
        .address_space:  global
        .offset:         112
        .size:           8
        .value_kind:     global_buffer
      - .actual_access:  read_only
        .address_space:  global
        .offset:         120
        .size:           8
        .value_kind:     global_buffer
      - .address_space:  global
        .offset:         128
        .size:           8
        .value_kind:     global_buffer
      - .address_space:  global
        .offset:         136
        .size:           8
        .value_kind:     global_buffer
      - .offset:         144
        .size:           4
        .value_kind:     by_value
      - .address_space:  global
        .offset:         152
        .size:           8
        .value_kind:     global_buffer
      - .address_space:  global
        .offset:         160
        .size:           8
        .value_kind:     global_buffer
    .group_segment_fixed_size: 0
    .kernarg_segment_align: 8
    .kernarg_segment_size: 168
    .language:       OpenCL C
    .language_version:
      - 2
      - 0
    .max_flat_workgroup_size: 1024
    .name:           _ZN9rocsparseL14kernel_freerunILi1024ELi2E21rocsparse_complex_numIdEiiEEvT3_S3_T2_PKS4_S6_PKS3_PKT1_21rocsparse_index_base_S6_S6_S8_PS9_SD_SC_S6_S6_S8_SD_SD_SC_SD_SD_
    .private_segment_fixed_size: 0
    .sgpr_count:     59
    .sgpr_spill_count: 0
    .symbol:         _ZN9rocsparseL14kernel_freerunILi1024ELi2E21rocsparse_complex_numIdEiiEEvT3_S3_T2_PKS4_S6_PKS3_PKT1_21rocsparse_index_base_S6_S6_S8_PS9_SD_SC_S6_S6_S8_SD_SD_SC_SD_SD_.kd
    .uniform_work_group_size: 1
    .uses_dynamic_stack: false
    .vgpr_count:     43
    .vgpr_spill_count: 0
    .wavefront_size: 32
    .workgroup_processor_mode: 1
  - .args:
      - .offset:         0
        .size:           4
        .value_kind:     by_value
      - .offset:         4
        .size:           4
        .value_kind:     by_value
      - .offset:         8
        .size:           4
        .value_kind:     by_value
      - .actual_access:  read_only
        .address_space:  global
        .offset:         16
        .size:           8
        .value_kind:     global_buffer
      - .actual_access:  read_only
        .address_space:  global
        .offset:         24
        .size:           8
        .value_kind:     global_buffer
      - .actual_access:  read_only
        .address_space:  global
        .offset:         32
        .size:           8
        .value_kind:     global_buffer
      - .actual_access:  read_only
        .address_space:  global
        .offset:         40
        .size:           8
        .value_kind:     global_buffer
      - .offset:         48
        .size:           4
        .value_kind:     by_value
      - .actual_access:  read_only
        .address_space:  global
        .offset:         56
        .size:           8
        .value_kind:     global_buffer
      - .actual_access:  read_only
        .address_space:  global
        .offset:         64
        .size:           8
        .value_kind:     global_buffer
      - .actual_access:  read_only
        .address_space:  global
        .offset:         72
        .size:           8
        .value_kind:     global_buffer
      - .address_space:  global
        .offset:         80
        .size:           8
        .value_kind:     global_buffer
      - .address_space:  global
        .offset:         88
        .size:           8
        .value_kind:     global_buffer
      - .offset:         96
        .size:           4
        .value_kind:     by_value
      - .actual_access:  read_only
        .address_space:  global
        .offset:         104
        .size:           8
        .value_kind:     global_buffer
      - .actual_access:  read_only
        .address_space:  global
        .offset:         112
        .size:           8
        .value_kind:     global_buffer
      - .actual_access:  read_only
        .address_space:  global
        .offset:         120
        .size:           8
        .value_kind:     global_buffer
      - .address_space:  global
        .offset:         128
        .size:           8
        .value_kind:     global_buffer
      - .address_space:  global
        .offset:         136
        .size:           8
        .value_kind:     global_buffer
      - .offset:         144
        .size:           4
        .value_kind:     by_value
      - .address_space:  global
        .offset:         152
        .size:           8
        .value_kind:     global_buffer
      - .address_space:  global
        .offset:         160
        .size:           8
        .value_kind:     global_buffer
    .group_segment_fixed_size: 0
    .kernarg_segment_align: 8
    .kernarg_segment_size: 168
    .language:       OpenCL C
    .language_version:
      - 2
      - 0
    .max_flat_workgroup_size: 1024
    .name:           _ZN9rocsparseL14kernel_freerunILi1024ELi4E21rocsparse_complex_numIdEiiEEvT3_S3_T2_PKS4_S6_PKS3_PKT1_21rocsparse_index_base_S6_S6_S8_PS9_SD_SC_S6_S6_S8_SD_SD_SC_SD_SD_
    .private_segment_fixed_size: 0
    .sgpr_count:     59
    .sgpr_spill_count: 0
    .symbol:         _ZN9rocsparseL14kernel_freerunILi1024ELi4E21rocsparse_complex_numIdEiiEEvT3_S3_T2_PKS4_S6_PKS3_PKT1_21rocsparse_index_base_S6_S6_S8_PS9_SD_SC_S6_S6_S8_SD_SD_SC_SD_SD_.kd
    .uniform_work_group_size: 1
    .uses_dynamic_stack: false
    .vgpr_count:     43
    .vgpr_spill_count: 0
    .wavefront_size: 32
    .workgroup_processor_mode: 1
  - .args:
      - .offset:         0
        .size:           4
        .value_kind:     by_value
      - .offset:         4
        .size:           4
        .value_kind:     by_value
      - .offset:         8
        .size:           4
        .value_kind:     by_value
      - .actual_access:  read_only
        .address_space:  global
        .offset:         16
        .size:           8
        .value_kind:     global_buffer
      - .actual_access:  read_only
        .address_space:  global
        .offset:         24
        .size:           8
        .value_kind:     global_buffer
      - .actual_access:  read_only
        .address_space:  global
        .offset:         32
        .size:           8
        .value_kind:     global_buffer
      - .actual_access:  read_only
        .address_space:  global
        .offset:         40
        .size:           8
        .value_kind:     global_buffer
      - .offset:         48
        .size:           4
        .value_kind:     by_value
      - .actual_access:  read_only
        .address_space:  global
        .offset:         56
        .size:           8
        .value_kind:     global_buffer
      - .actual_access:  read_only
        .address_space:  global
        .offset:         64
        .size:           8
        .value_kind:     global_buffer
      - .actual_access:  read_only
        .address_space:  global
        .offset:         72
        .size:           8
        .value_kind:     global_buffer
      - .address_space:  global
        .offset:         80
        .size:           8
        .value_kind:     global_buffer
      - .address_space:  global
        .offset:         88
        .size:           8
        .value_kind:     global_buffer
      - .offset:         96
        .size:           4
        .value_kind:     by_value
      - .actual_access:  read_only
        .address_space:  global
        .offset:         104
        .size:           8
        .value_kind:     global_buffer
      - .actual_access:  read_only
        .address_space:  global
        .offset:         112
        .size:           8
        .value_kind:     global_buffer
      - .actual_access:  read_only
        .address_space:  global
        .offset:         120
        .size:           8
        .value_kind:     global_buffer
      - .address_space:  global
        .offset:         128
        .size:           8
        .value_kind:     global_buffer
      - .address_space:  global
        .offset:         136
        .size:           8
        .value_kind:     global_buffer
      - .offset:         144
        .size:           4
        .value_kind:     by_value
      - .address_space:  global
        .offset:         152
        .size:           8
        .value_kind:     global_buffer
      - .address_space:  global
        .offset:         160
        .size:           8
        .value_kind:     global_buffer
    .group_segment_fixed_size: 0
    .kernarg_segment_align: 8
    .kernarg_segment_size: 168
    .language:       OpenCL C
    .language_version:
      - 2
      - 0
    .max_flat_workgroup_size: 1024
    .name:           _ZN9rocsparseL14kernel_freerunILi1024ELi8E21rocsparse_complex_numIdEiiEEvT3_S3_T2_PKS4_S6_PKS3_PKT1_21rocsparse_index_base_S6_S6_S8_PS9_SD_SC_S6_S6_S8_SD_SD_SC_SD_SD_
    .private_segment_fixed_size: 0
    .sgpr_count:     59
    .sgpr_spill_count: 0
    .symbol:         _ZN9rocsparseL14kernel_freerunILi1024ELi8E21rocsparse_complex_numIdEiiEEvT3_S3_T2_PKS4_S6_PKS3_PKT1_21rocsparse_index_base_S6_S6_S8_PS9_SD_SC_S6_S6_S8_SD_SD_SC_SD_SD_.kd
    .uniform_work_group_size: 1
    .uses_dynamic_stack: false
    .vgpr_count:     43
    .vgpr_spill_count: 0
    .wavefront_size: 32
    .workgroup_processor_mode: 1
  - .args:
      - .offset:         0
        .size:           4
        .value_kind:     by_value
      - .offset:         4
        .size:           4
        .value_kind:     by_value
      - .offset:         8
        .size:           4
        .value_kind:     by_value
      - .actual_access:  read_only
        .address_space:  global
        .offset:         16
        .size:           8
        .value_kind:     global_buffer
      - .actual_access:  read_only
        .address_space:  global
        .offset:         24
        .size:           8
        .value_kind:     global_buffer
      - .actual_access:  read_only
        .address_space:  global
        .offset:         32
        .size:           8
        .value_kind:     global_buffer
      - .actual_access:  read_only
        .address_space:  global
        .offset:         40
        .size:           8
        .value_kind:     global_buffer
      - .offset:         48
        .size:           4
        .value_kind:     by_value
      - .actual_access:  read_only
        .address_space:  global
        .offset:         56
        .size:           8
        .value_kind:     global_buffer
      - .actual_access:  read_only
        .address_space:  global
        .offset:         64
        .size:           8
        .value_kind:     global_buffer
      - .actual_access:  read_only
        .address_space:  global
        .offset:         72
        .size:           8
        .value_kind:     global_buffer
      - .address_space:  global
        .offset:         80
        .size:           8
        .value_kind:     global_buffer
      - .address_space:  global
        .offset:         88
        .size:           8
        .value_kind:     global_buffer
      - .offset:         96
        .size:           4
        .value_kind:     by_value
      - .actual_access:  read_only
        .address_space:  global
        .offset:         104
        .size:           8
        .value_kind:     global_buffer
      - .actual_access:  read_only
        .address_space:  global
        .offset:         112
        .size:           8
        .value_kind:     global_buffer
      - .actual_access:  read_only
        .address_space:  global
        .offset:         120
        .size:           8
        .value_kind:     global_buffer
      - .address_space:  global
        .offset:         128
        .size:           8
        .value_kind:     global_buffer
      - .address_space:  global
        .offset:         136
        .size:           8
        .value_kind:     global_buffer
      - .offset:         144
        .size:           4
        .value_kind:     by_value
      - .address_space:  global
        .offset:         152
        .size:           8
        .value_kind:     global_buffer
      - .address_space:  global
        .offset:         160
        .size:           8
        .value_kind:     global_buffer
    .group_segment_fixed_size: 0
    .kernarg_segment_align: 8
    .kernarg_segment_size: 168
    .language:       OpenCL C
    .language_version:
      - 2
      - 0
    .max_flat_workgroup_size: 1024
    .name:           _ZN9rocsparseL14kernel_freerunILi1024ELi16E21rocsparse_complex_numIdEiiEEvT3_S3_T2_PKS4_S6_PKS3_PKT1_21rocsparse_index_base_S6_S6_S8_PS9_SD_SC_S6_S6_S8_SD_SD_SC_SD_SD_
    .private_segment_fixed_size: 0
    .sgpr_count:     59
    .sgpr_spill_count: 0
    .symbol:         _ZN9rocsparseL14kernel_freerunILi1024ELi16E21rocsparse_complex_numIdEiiEEvT3_S3_T2_PKS4_S6_PKS3_PKT1_21rocsparse_index_base_S6_S6_S8_PS9_SD_SC_S6_S6_S8_SD_SD_SC_SD_SD_.kd
    .uniform_work_group_size: 1
    .uses_dynamic_stack: false
    .vgpr_count:     43
    .vgpr_spill_count: 0
    .wavefront_size: 32
    .workgroup_processor_mode: 1
  - .args:
      - .offset:         0
        .size:           4
        .value_kind:     by_value
      - .offset:         4
        .size:           4
        .value_kind:     by_value
      - .offset:         8
        .size:           4
        .value_kind:     by_value
      - .actual_access:  read_only
        .address_space:  global
        .offset:         16
        .size:           8
        .value_kind:     global_buffer
      - .actual_access:  read_only
        .address_space:  global
        .offset:         24
        .size:           8
        .value_kind:     global_buffer
      - .actual_access:  read_only
        .address_space:  global
        .offset:         32
        .size:           8
        .value_kind:     global_buffer
      - .actual_access:  read_only
        .address_space:  global
        .offset:         40
        .size:           8
        .value_kind:     global_buffer
      - .offset:         48
        .size:           4
        .value_kind:     by_value
      - .actual_access:  read_only
        .address_space:  global
        .offset:         56
        .size:           8
        .value_kind:     global_buffer
      - .actual_access:  read_only
        .address_space:  global
        .offset:         64
        .size:           8
        .value_kind:     global_buffer
      - .actual_access:  read_only
        .address_space:  global
        .offset:         72
        .size:           8
        .value_kind:     global_buffer
      - .address_space:  global
        .offset:         80
        .size:           8
        .value_kind:     global_buffer
      - .address_space:  global
        .offset:         88
        .size:           8
        .value_kind:     global_buffer
      - .offset:         96
        .size:           4
        .value_kind:     by_value
      - .actual_access:  read_only
        .address_space:  global
        .offset:         104
        .size:           8
        .value_kind:     global_buffer
      - .actual_access:  read_only
        .address_space:  global
        .offset:         112
        .size:           8
        .value_kind:     global_buffer
      - .actual_access:  read_only
        .address_space:  global
        .offset:         120
        .size:           8
        .value_kind:     global_buffer
      - .address_space:  global
        .offset:         128
        .size:           8
        .value_kind:     global_buffer
      - .address_space:  global
        .offset:         136
        .size:           8
        .value_kind:     global_buffer
      - .offset:         144
        .size:           4
        .value_kind:     by_value
      - .address_space:  global
        .offset:         152
        .size:           8
        .value_kind:     global_buffer
      - .address_space:  global
        .offset:         160
        .size:           8
        .value_kind:     global_buffer
    .group_segment_fixed_size: 0
    .kernarg_segment_align: 8
    .kernarg_segment_size: 168
    .language:       OpenCL C
    .language_version:
      - 2
      - 0
    .max_flat_workgroup_size: 1024
    .name:           _ZN9rocsparseL14kernel_freerunILi1024ELi32E21rocsparse_complex_numIdEiiEEvT3_S3_T2_PKS4_S6_PKS3_PKT1_21rocsparse_index_base_S6_S6_S8_PS9_SD_SC_S6_S6_S8_SD_SD_SC_SD_SD_
    .private_segment_fixed_size: 0
    .sgpr_count:     59
    .sgpr_spill_count: 0
    .symbol:         _ZN9rocsparseL14kernel_freerunILi1024ELi32E21rocsparse_complex_numIdEiiEEvT3_S3_T2_PKS4_S6_PKS3_PKT1_21rocsparse_index_base_S6_S6_S8_PS9_SD_SC_S6_S6_S8_SD_SD_SC_SD_SD_.kd
    .uniform_work_group_size: 1
    .uses_dynamic_stack: false
    .vgpr_count:     43
    .vgpr_spill_count: 0
    .wavefront_size: 32
    .workgroup_processor_mode: 1
  - .args:
      - .offset:         0
        .size:           4
        .value_kind:     by_value
      - .offset:         4
        .size:           4
        .value_kind:     by_value
      - .offset:         8
        .size:           4
        .value_kind:     by_value
      - .actual_access:  read_only
        .address_space:  global
        .offset:         16
        .size:           8
        .value_kind:     global_buffer
      - .actual_access:  read_only
        .address_space:  global
        .offset:         24
        .size:           8
        .value_kind:     global_buffer
      - .actual_access:  read_only
        .address_space:  global
        .offset:         32
        .size:           8
        .value_kind:     global_buffer
      - .actual_access:  read_only
        .address_space:  global
        .offset:         40
        .size:           8
        .value_kind:     global_buffer
      - .offset:         48
        .size:           4
        .value_kind:     by_value
      - .actual_access:  read_only
        .address_space:  global
        .offset:         56
        .size:           8
        .value_kind:     global_buffer
      - .actual_access:  read_only
        .address_space:  global
        .offset:         64
        .size:           8
        .value_kind:     global_buffer
      - .actual_access:  read_only
        .address_space:  global
        .offset:         72
        .size:           8
        .value_kind:     global_buffer
      - .address_space:  global
        .offset:         80
        .size:           8
        .value_kind:     global_buffer
      - .address_space:  global
        .offset:         88
        .size:           8
        .value_kind:     global_buffer
      - .offset:         96
        .size:           4
        .value_kind:     by_value
      - .actual_access:  read_only
        .address_space:  global
        .offset:         104
        .size:           8
        .value_kind:     global_buffer
      - .actual_access:  read_only
        .address_space:  global
        .offset:         112
        .size:           8
        .value_kind:     global_buffer
      - .actual_access:  read_only
        .address_space:  global
        .offset:         120
        .size:           8
        .value_kind:     global_buffer
      - .address_space:  global
        .offset:         128
        .size:           8
        .value_kind:     global_buffer
      - .address_space:  global
        .offset:         136
        .size:           8
        .value_kind:     global_buffer
      - .offset:         144
        .size:           4
        .value_kind:     by_value
      - .address_space:  global
        .offset:         152
        .size:           8
        .value_kind:     global_buffer
      - .address_space:  global
        .offset:         160
        .size:           8
        .value_kind:     global_buffer
    .group_segment_fixed_size: 0
    .kernarg_segment_align: 8
    .kernarg_segment_size: 168
    .language:       OpenCL C
    .language_version:
      - 2
      - 0
    .max_flat_workgroup_size: 1024
    .name:           _ZN9rocsparseL14kernel_freerunILi1024ELi64E21rocsparse_complex_numIdEiiEEvT3_S3_T2_PKS4_S6_PKS3_PKT1_21rocsparse_index_base_S6_S6_S8_PS9_SD_SC_S6_S6_S8_SD_SD_SC_SD_SD_
    .private_segment_fixed_size: 0
    .sgpr_count:     59
    .sgpr_spill_count: 0
    .symbol:         _ZN9rocsparseL14kernel_freerunILi1024ELi64E21rocsparse_complex_numIdEiiEEvT3_S3_T2_PKS4_S6_PKS3_PKT1_21rocsparse_index_base_S6_S6_S8_PS9_SD_SC_S6_S6_S8_SD_SD_SC_SD_SD_.kd
    .uniform_work_group_size: 1
    .uses_dynamic_stack: false
    .vgpr_count:     43
    .vgpr_spill_count: 0
    .wavefront_size: 32
    .workgroup_processor_mode: 1
  - .args:
      - .offset:         0
        .size:           1
        .value_kind:     by_value
      - .offset:         1
        .size:           1
        .value_kind:     by_value
      - .offset:         2
        .size:           1
        .value_kind:     by_value
      - .offset:         4
        .size:           4
        .value_kind:     by_value
      - .address_space:  global
        .offset:         8
        .size:           8
        .value_kind:     global_buffer
      - .offset:         16
        .size:           8
        .value_kind:     by_value
      - .offset:         24
        .size:           4
        .value_kind:     by_value
      - .offset:         28
        .size:           4
        .value_kind:     by_value
      - .actual_access:  read_only
        .address_space:  global
        .offset:         32
        .size:           8
        .value_kind:     global_buffer
      - .actual_access:  read_only
        .address_space:  global
        .offset:         40
        .size:           8
        .value_kind:     global_buffer
      - .actual_access:  read_only
        .address_space:  global
        .offset:         48
        .size:           8
        .value_kind:     global_buffer
      - .actual_access:  read_only
        .address_space:  global
        .offset:         56
        .size:           8
        .value_kind:     global_buffer
      - .offset:         64
        .size:           4
        .value_kind:     by_value
      - .actual_access:  read_only
        .address_space:  global
        .offset:         72
        .size:           8
        .value_kind:     global_buffer
      - .actual_access:  read_only
        .address_space:  global
        .offset:         80
        .size:           8
        .value_kind:     global_buffer
      - .actual_access:  read_only
        .address_space:  global
        .offset:         88
        .size:           8
        .value_kind:     global_buffer
      - .address_space:  global
        .offset:         96
        .size:           8
        .value_kind:     global_buffer
      - .address_space:  global
        .offset:         104
        .size:           8
        .value_kind:     global_buffer
      - .offset:         112
        .size:           4
        .value_kind:     by_value
      - .actual_access:  read_only
        .address_space:  global
        .offset:         120
        .size:           8
        .value_kind:     global_buffer
      - .actual_access:  read_only
        .address_space:  global
        .offset:         128
        .size:           8
        .value_kind:     global_buffer
      - .actual_access:  read_only
        .address_space:  global
        .offset:         136
        .size:           8
        .value_kind:     global_buffer
      - .address_space:  global
        .offset:         144
        .size:           8
        .value_kind:     global_buffer
      - .address_space:  global
        .offset:         152
        .size:           8
        .value_kind:     global_buffer
      - .offset:         160
        .size:           4
        .value_kind:     by_value
      - .address_space:  global
        .offset:         168
        .size:           8
        .value_kind:     global_buffer
      - .address_space:  global
        .offset:         176
        .size:           8
        .value_kind:     global_buffer
      - .address_space:  global
        .offset:         184
        .size:           8
        .value_kind:     global_buffer
      - .address_space:  global
        .offset:         192
        .size:           8
        .value_kind:     global_buffer
      - .actual_access:  read_only
        .address_space:  global
        .offset:         200
        .size:           8
        .value_kind:     global_buffer
    .group_segment_fixed_size: 12288
    .kernarg_segment_align: 8
    .kernarg_segment_size: 208
    .language:       OpenCL C
    .language_version:
      - 2
      - 0
    .max_flat_workgroup_size: 1024
    .name:           _ZN9rocsparseL6kernelILi1024ELi1E21rocsparse_complex_numIdEiiEEvbbbT3_PS3_NS_15floating_traitsIT1_E6data_tES3_T2_PKS9_SB_PKS3_PKS6_21rocsparse_index_base_SB_SB_SD_PS6_SH_SG_SB_SB_SD_SH_SH_SG_SH_SH_PS8_SI_PKS8_
    .private_segment_fixed_size: 0
    .sgpr_count:     81
    .sgpr_spill_count: 0
    .symbol:         _ZN9rocsparseL6kernelILi1024ELi1E21rocsparse_complex_numIdEiiEEvbbbT3_PS3_NS_15floating_traitsIT1_E6data_tES3_T2_PKS9_SB_PKS3_PKS6_21rocsparse_index_base_SB_SB_SD_PS6_SH_SG_SB_SB_SD_SH_SH_SG_SH_SH_PS8_SI_PKS8_.kd
    .uniform_work_group_size: 1
    .uses_dynamic_stack: false
    .vgpr_count:     52
    .vgpr_spill_count: 0
    .wavefront_size: 32
    .workgroup_processor_mode: 1
  - .args:
      - .offset:         0
        .size:           1
        .value_kind:     by_value
      - .offset:         1
        .size:           1
        .value_kind:     by_value
      - .offset:         2
        .size:           1
        .value_kind:     by_value
      - .offset:         4
        .size:           4
        .value_kind:     by_value
      - .address_space:  global
        .offset:         8
        .size:           8
        .value_kind:     global_buffer
      - .offset:         16
        .size:           8
        .value_kind:     by_value
      - .offset:         24
        .size:           4
        .value_kind:     by_value
      - .offset:         28
        .size:           4
        .value_kind:     by_value
      - .actual_access:  read_only
        .address_space:  global
        .offset:         32
        .size:           8
        .value_kind:     global_buffer
      - .actual_access:  read_only
        .address_space:  global
        .offset:         40
        .size:           8
        .value_kind:     global_buffer
      - .actual_access:  read_only
        .address_space:  global
        .offset:         48
        .size:           8
        .value_kind:     global_buffer
      - .actual_access:  read_only
        .address_space:  global
        .offset:         56
        .size:           8
        .value_kind:     global_buffer
      - .offset:         64
        .size:           4
        .value_kind:     by_value
      - .actual_access:  read_only
        .address_space:  global
        .offset:         72
        .size:           8
        .value_kind:     global_buffer
      - .actual_access:  read_only
        .address_space:  global
        .offset:         80
        .size:           8
        .value_kind:     global_buffer
      - .actual_access:  read_only
        .address_space:  global
        .offset:         88
        .size:           8
        .value_kind:     global_buffer
      - .address_space:  global
        .offset:         96
        .size:           8
        .value_kind:     global_buffer
      - .address_space:  global
        .offset:         104
        .size:           8
        .value_kind:     global_buffer
      - .offset:         112
        .size:           4
        .value_kind:     by_value
      - .actual_access:  read_only
        .address_space:  global
        .offset:         120
        .size:           8
        .value_kind:     global_buffer
      - .actual_access:  read_only
        .address_space:  global
        .offset:         128
        .size:           8
        .value_kind:     global_buffer
      - .actual_access:  read_only
        .address_space:  global
        .offset:         136
        .size:           8
        .value_kind:     global_buffer
      - .address_space:  global
        .offset:         144
        .size:           8
        .value_kind:     global_buffer
      - .address_space:  global
        .offset:         152
        .size:           8
        .value_kind:     global_buffer
      - .offset:         160
        .size:           4
        .value_kind:     by_value
      - .address_space:  global
        .offset:         168
        .size:           8
        .value_kind:     global_buffer
      - .address_space:  global
        .offset:         176
        .size:           8
        .value_kind:     global_buffer
      - .address_space:  global
        .offset:         184
        .size:           8
        .value_kind:     global_buffer
      - .address_space:  global
        .offset:         192
        .size:           8
        .value_kind:     global_buffer
      - .actual_access:  read_only
        .address_space:  global
        .offset:         200
        .size:           8
        .value_kind:     global_buffer
    .group_segment_fixed_size: 6144
    .kernarg_segment_align: 8
    .kernarg_segment_size: 208
    .language:       OpenCL C
    .language_version:
      - 2
      - 0
    .max_flat_workgroup_size: 1024
    .name:           _ZN9rocsparseL6kernelILi1024ELi2E21rocsparse_complex_numIdEiiEEvbbbT3_PS3_NS_15floating_traitsIT1_E6data_tES3_T2_PKS9_SB_PKS3_PKS6_21rocsparse_index_base_SB_SB_SD_PS6_SH_SG_SB_SB_SD_SH_SH_SG_SH_SH_PS8_SI_PKS8_
    .private_segment_fixed_size: 0
    .sgpr_count:     87
    .sgpr_spill_count: 0
    .symbol:         _ZN9rocsparseL6kernelILi1024ELi2E21rocsparse_complex_numIdEiiEEvbbbT3_PS3_NS_15floating_traitsIT1_E6data_tES3_T2_PKS9_SB_PKS3_PKS6_21rocsparse_index_base_SB_SB_SD_PS6_SH_SG_SB_SB_SD_SH_SH_SG_SH_SH_PS8_SI_PKS8_.kd
    .uniform_work_group_size: 1
    .uses_dynamic_stack: false
    .vgpr_count:     59
    .vgpr_spill_count: 0
    .wavefront_size: 32
    .workgroup_processor_mode: 1
  - .args:
      - .offset:         0
        .size:           1
        .value_kind:     by_value
      - .offset:         1
        .size:           1
        .value_kind:     by_value
      - .offset:         2
        .size:           1
        .value_kind:     by_value
      - .offset:         4
        .size:           4
        .value_kind:     by_value
      - .address_space:  global
        .offset:         8
        .size:           8
        .value_kind:     global_buffer
      - .offset:         16
        .size:           8
        .value_kind:     by_value
      - .offset:         24
        .size:           4
        .value_kind:     by_value
      - .offset:         28
        .size:           4
        .value_kind:     by_value
      - .actual_access:  read_only
        .address_space:  global
        .offset:         32
        .size:           8
        .value_kind:     global_buffer
      - .actual_access:  read_only
        .address_space:  global
        .offset:         40
        .size:           8
        .value_kind:     global_buffer
      - .actual_access:  read_only
        .address_space:  global
        .offset:         48
        .size:           8
        .value_kind:     global_buffer
      - .actual_access:  read_only
        .address_space:  global
        .offset:         56
        .size:           8
        .value_kind:     global_buffer
      - .offset:         64
        .size:           4
        .value_kind:     by_value
      - .actual_access:  read_only
        .address_space:  global
        .offset:         72
        .size:           8
        .value_kind:     global_buffer
      - .actual_access:  read_only
        .address_space:  global
        .offset:         80
        .size:           8
        .value_kind:     global_buffer
      - .actual_access:  read_only
        .address_space:  global
        .offset:         88
        .size:           8
        .value_kind:     global_buffer
      - .address_space:  global
        .offset:         96
        .size:           8
        .value_kind:     global_buffer
      - .address_space:  global
        .offset:         104
        .size:           8
        .value_kind:     global_buffer
      - .offset:         112
        .size:           4
        .value_kind:     by_value
      - .actual_access:  read_only
        .address_space:  global
        .offset:         120
        .size:           8
        .value_kind:     global_buffer
      - .actual_access:  read_only
        .address_space:  global
        .offset:         128
        .size:           8
        .value_kind:     global_buffer
      - .actual_access:  read_only
        .address_space:  global
        .offset:         136
        .size:           8
        .value_kind:     global_buffer
      - .address_space:  global
        .offset:         144
        .size:           8
        .value_kind:     global_buffer
      - .address_space:  global
        .offset:         152
        .size:           8
        .value_kind:     global_buffer
      - .offset:         160
        .size:           4
        .value_kind:     by_value
      - .address_space:  global
        .offset:         168
        .size:           8
        .value_kind:     global_buffer
      - .address_space:  global
        .offset:         176
        .size:           8
        .value_kind:     global_buffer
      - .address_space:  global
        .offset:         184
        .size:           8
        .value_kind:     global_buffer
      - .address_space:  global
        .offset:         192
        .size:           8
        .value_kind:     global_buffer
      - .actual_access:  read_only
        .address_space:  global
        .offset:         200
        .size:           8
        .value_kind:     global_buffer
    .group_segment_fixed_size: 3072
    .kernarg_segment_align: 8
    .kernarg_segment_size: 208
    .language:       OpenCL C
    .language_version:
      - 2
      - 0
    .max_flat_workgroup_size: 1024
    .name:           _ZN9rocsparseL6kernelILi1024ELi4E21rocsparse_complex_numIdEiiEEvbbbT3_PS3_NS_15floating_traitsIT1_E6data_tES3_T2_PKS9_SB_PKS3_PKS6_21rocsparse_index_base_SB_SB_SD_PS6_SH_SG_SB_SB_SD_SH_SH_SG_SH_SH_PS8_SI_PKS8_
    .private_segment_fixed_size: 0
    .sgpr_count:     86
    .sgpr_spill_count: 0
    .symbol:         _ZN9rocsparseL6kernelILi1024ELi4E21rocsparse_complex_numIdEiiEEvbbbT3_PS3_NS_15floating_traitsIT1_E6data_tES3_T2_PKS9_SB_PKS3_PKS6_21rocsparse_index_base_SB_SB_SD_PS6_SH_SG_SB_SB_SD_SH_SH_SG_SH_SH_PS8_SI_PKS8_.kd
    .uniform_work_group_size: 1
    .uses_dynamic_stack: false
    .vgpr_count:     59
    .vgpr_spill_count: 0
    .wavefront_size: 32
    .workgroup_processor_mode: 1
  - .args:
      - .offset:         0
        .size:           1
        .value_kind:     by_value
      - .offset:         1
        .size:           1
        .value_kind:     by_value
      - .offset:         2
        .size:           1
        .value_kind:     by_value
      - .offset:         4
        .size:           4
        .value_kind:     by_value
      - .address_space:  global
        .offset:         8
        .size:           8
        .value_kind:     global_buffer
      - .offset:         16
        .size:           8
        .value_kind:     by_value
      - .offset:         24
        .size:           4
        .value_kind:     by_value
      - .offset:         28
        .size:           4
        .value_kind:     by_value
      - .actual_access:  read_only
        .address_space:  global
        .offset:         32
        .size:           8
        .value_kind:     global_buffer
      - .actual_access:  read_only
        .address_space:  global
        .offset:         40
        .size:           8
        .value_kind:     global_buffer
      - .actual_access:  read_only
        .address_space:  global
        .offset:         48
        .size:           8
        .value_kind:     global_buffer
      - .actual_access:  read_only
        .address_space:  global
        .offset:         56
        .size:           8
        .value_kind:     global_buffer
      - .offset:         64
        .size:           4
        .value_kind:     by_value
      - .actual_access:  read_only
        .address_space:  global
        .offset:         72
        .size:           8
        .value_kind:     global_buffer
      - .actual_access:  read_only
        .address_space:  global
        .offset:         80
        .size:           8
        .value_kind:     global_buffer
      - .actual_access:  read_only
        .address_space:  global
        .offset:         88
        .size:           8
        .value_kind:     global_buffer
      - .address_space:  global
        .offset:         96
        .size:           8
        .value_kind:     global_buffer
      - .address_space:  global
        .offset:         104
        .size:           8
        .value_kind:     global_buffer
      - .offset:         112
        .size:           4
        .value_kind:     by_value
      - .actual_access:  read_only
        .address_space:  global
        .offset:         120
        .size:           8
        .value_kind:     global_buffer
      - .actual_access:  read_only
        .address_space:  global
        .offset:         128
        .size:           8
        .value_kind:     global_buffer
      - .actual_access:  read_only
        .address_space:  global
        .offset:         136
        .size:           8
        .value_kind:     global_buffer
      - .address_space:  global
        .offset:         144
        .size:           8
        .value_kind:     global_buffer
      - .address_space:  global
        .offset:         152
        .size:           8
        .value_kind:     global_buffer
      - .offset:         160
        .size:           4
        .value_kind:     by_value
      - .address_space:  global
        .offset:         168
        .size:           8
        .value_kind:     global_buffer
      - .address_space:  global
        .offset:         176
        .size:           8
        .value_kind:     global_buffer
      - .address_space:  global
        .offset:         184
        .size:           8
        .value_kind:     global_buffer
      - .address_space:  global
        .offset:         192
        .size:           8
        .value_kind:     global_buffer
      - .actual_access:  read_only
        .address_space:  global
        .offset:         200
        .size:           8
        .value_kind:     global_buffer
    .group_segment_fixed_size: 1536
    .kernarg_segment_align: 8
    .kernarg_segment_size: 208
    .language:       OpenCL C
    .language_version:
      - 2
      - 0
    .max_flat_workgroup_size: 1024
    .name:           _ZN9rocsparseL6kernelILi1024ELi8E21rocsparse_complex_numIdEiiEEvbbbT3_PS3_NS_15floating_traitsIT1_E6data_tES3_T2_PKS9_SB_PKS3_PKS6_21rocsparse_index_base_SB_SB_SD_PS6_SH_SG_SB_SB_SD_SH_SH_SG_SH_SH_PS8_SI_PKS8_
    .private_segment_fixed_size: 0
    .sgpr_count:     85
    .sgpr_spill_count: 0
    .symbol:         _ZN9rocsparseL6kernelILi1024ELi8E21rocsparse_complex_numIdEiiEEvbbbT3_PS3_NS_15floating_traitsIT1_E6data_tES3_T2_PKS9_SB_PKS3_PKS6_21rocsparse_index_base_SB_SB_SD_PS6_SH_SG_SB_SB_SD_SH_SH_SG_SH_SH_PS8_SI_PKS8_.kd
    .uniform_work_group_size: 1
    .uses_dynamic_stack: false
    .vgpr_count:     59
    .vgpr_spill_count: 0
    .wavefront_size: 32
    .workgroup_processor_mode: 1
  - .args:
      - .offset:         0
        .size:           1
        .value_kind:     by_value
      - .offset:         1
        .size:           1
        .value_kind:     by_value
      - .offset:         2
        .size:           1
        .value_kind:     by_value
      - .offset:         4
        .size:           4
        .value_kind:     by_value
      - .address_space:  global
        .offset:         8
        .size:           8
        .value_kind:     global_buffer
      - .offset:         16
        .size:           8
        .value_kind:     by_value
      - .offset:         24
        .size:           4
        .value_kind:     by_value
      - .offset:         28
        .size:           4
        .value_kind:     by_value
      - .actual_access:  read_only
        .address_space:  global
        .offset:         32
        .size:           8
        .value_kind:     global_buffer
      - .actual_access:  read_only
        .address_space:  global
        .offset:         40
        .size:           8
        .value_kind:     global_buffer
      - .actual_access:  read_only
        .address_space:  global
        .offset:         48
        .size:           8
        .value_kind:     global_buffer
      - .actual_access:  read_only
        .address_space:  global
        .offset:         56
        .size:           8
        .value_kind:     global_buffer
      - .offset:         64
        .size:           4
        .value_kind:     by_value
      - .actual_access:  read_only
        .address_space:  global
        .offset:         72
        .size:           8
        .value_kind:     global_buffer
      - .actual_access:  read_only
        .address_space:  global
        .offset:         80
        .size:           8
        .value_kind:     global_buffer
      - .actual_access:  read_only
        .address_space:  global
        .offset:         88
        .size:           8
        .value_kind:     global_buffer
      - .address_space:  global
        .offset:         96
        .size:           8
        .value_kind:     global_buffer
      - .address_space:  global
        .offset:         104
        .size:           8
        .value_kind:     global_buffer
      - .offset:         112
        .size:           4
        .value_kind:     by_value
      - .actual_access:  read_only
        .address_space:  global
        .offset:         120
        .size:           8
        .value_kind:     global_buffer
      - .actual_access:  read_only
        .address_space:  global
        .offset:         128
        .size:           8
        .value_kind:     global_buffer
      - .actual_access:  read_only
        .address_space:  global
        .offset:         136
        .size:           8
        .value_kind:     global_buffer
      - .address_space:  global
        .offset:         144
        .size:           8
        .value_kind:     global_buffer
      - .address_space:  global
        .offset:         152
        .size:           8
        .value_kind:     global_buffer
      - .offset:         160
        .size:           4
        .value_kind:     by_value
      - .address_space:  global
        .offset:         168
        .size:           8
        .value_kind:     global_buffer
      - .address_space:  global
        .offset:         176
        .size:           8
        .value_kind:     global_buffer
      - .address_space:  global
        .offset:         184
        .size:           8
        .value_kind:     global_buffer
      - .address_space:  global
        .offset:         192
        .size:           8
        .value_kind:     global_buffer
      - .actual_access:  read_only
        .address_space:  global
        .offset:         200
        .size:           8
        .value_kind:     global_buffer
    .group_segment_fixed_size: 768
    .kernarg_segment_align: 8
    .kernarg_segment_size: 208
    .language:       OpenCL C
    .language_version:
      - 2
      - 0
    .max_flat_workgroup_size: 1024
    .name:           _ZN9rocsparseL6kernelILi1024ELi16E21rocsparse_complex_numIdEiiEEvbbbT3_PS3_NS_15floating_traitsIT1_E6data_tES3_T2_PKS9_SB_PKS3_PKS6_21rocsparse_index_base_SB_SB_SD_PS6_SH_SG_SB_SB_SD_SH_SH_SG_SH_SH_PS8_SI_PKS8_
    .private_segment_fixed_size: 0
    .sgpr_count:     84
    .sgpr_spill_count: 0
    .symbol:         _ZN9rocsparseL6kernelILi1024ELi16E21rocsparse_complex_numIdEiiEEvbbbT3_PS3_NS_15floating_traitsIT1_E6data_tES3_T2_PKS9_SB_PKS3_PKS6_21rocsparse_index_base_SB_SB_SD_PS6_SH_SG_SB_SB_SD_SH_SH_SG_SH_SH_PS8_SI_PKS8_.kd
    .uniform_work_group_size: 1
    .uses_dynamic_stack: false
    .vgpr_count:     59
    .vgpr_spill_count: 0
    .wavefront_size: 32
    .workgroup_processor_mode: 1
  - .args:
      - .offset:         0
        .size:           1
        .value_kind:     by_value
      - .offset:         1
        .size:           1
        .value_kind:     by_value
      - .offset:         2
        .size:           1
        .value_kind:     by_value
      - .offset:         4
        .size:           4
        .value_kind:     by_value
      - .address_space:  global
        .offset:         8
        .size:           8
        .value_kind:     global_buffer
      - .offset:         16
        .size:           8
        .value_kind:     by_value
      - .offset:         24
        .size:           4
        .value_kind:     by_value
      - .offset:         28
        .size:           4
        .value_kind:     by_value
      - .actual_access:  read_only
        .address_space:  global
        .offset:         32
        .size:           8
        .value_kind:     global_buffer
      - .actual_access:  read_only
        .address_space:  global
        .offset:         40
        .size:           8
        .value_kind:     global_buffer
      - .actual_access:  read_only
        .address_space:  global
        .offset:         48
        .size:           8
        .value_kind:     global_buffer
      - .actual_access:  read_only
        .address_space:  global
        .offset:         56
        .size:           8
        .value_kind:     global_buffer
      - .offset:         64
        .size:           4
        .value_kind:     by_value
      - .actual_access:  read_only
        .address_space:  global
        .offset:         72
        .size:           8
        .value_kind:     global_buffer
      - .actual_access:  read_only
        .address_space:  global
        .offset:         80
        .size:           8
        .value_kind:     global_buffer
      - .actual_access:  read_only
        .address_space:  global
        .offset:         88
        .size:           8
        .value_kind:     global_buffer
      - .address_space:  global
        .offset:         96
        .size:           8
        .value_kind:     global_buffer
      - .address_space:  global
        .offset:         104
        .size:           8
        .value_kind:     global_buffer
      - .offset:         112
        .size:           4
        .value_kind:     by_value
      - .actual_access:  read_only
        .address_space:  global
        .offset:         120
        .size:           8
        .value_kind:     global_buffer
      - .actual_access:  read_only
        .address_space:  global
        .offset:         128
        .size:           8
        .value_kind:     global_buffer
      - .actual_access:  read_only
        .address_space:  global
        .offset:         136
        .size:           8
        .value_kind:     global_buffer
      - .address_space:  global
        .offset:         144
        .size:           8
        .value_kind:     global_buffer
      - .address_space:  global
        .offset:         152
        .size:           8
        .value_kind:     global_buffer
      - .offset:         160
        .size:           4
        .value_kind:     by_value
      - .address_space:  global
        .offset:         168
        .size:           8
        .value_kind:     global_buffer
      - .address_space:  global
        .offset:         176
        .size:           8
        .value_kind:     global_buffer
      - .address_space:  global
        .offset:         184
        .size:           8
        .value_kind:     global_buffer
      - .address_space:  global
        .offset:         192
        .size:           8
        .value_kind:     global_buffer
      - .actual_access:  read_only
        .address_space:  global
        .offset:         200
        .size:           8
        .value_kind:     global_buffer
    .group_segment_fixed_size: 384
    .kernarg_segment_align: 8
    .kernarg_segment_size: 208
    .language:       OpenCL C
    .language_version:
      - 2
      - 0
    .max_flat_workgroup_size: 1024
    .name:           _ZN9rocsparseL6kernelILi1024ELi32E21rocsparse_complex_numIdEiiEEvbbbT3_PS3_NS_15floating_traitsIT1_E6data_tES3_T2_PKS9_SB_PKS3_PKS6_21rocsparse_index_base_SB_SB_SD_PS6_SH_SG_SB_SB_SD_SH_SH_SG_SH_SH_PS8_SI_PKS8_
    .private_segment_fixed_size: 0
    .sgpr_count:     83
    .sgpr_spill_count: 0
    .symbol:         _ZN9rocsparseL6kernelILi1024ELi32E21rocsparse_complex_numIdEiiEEvbbbT3_PS3_NS_15floating_traitsIT1_E6data_tES3_T2_PKS9_SB_PKS3_PKS6_21rocsparse_index_base_SB_SB_SD_PS6_SH_SG_SB_SB_SD_SH_SH_SG_SH_SH_PS8_SI_PKS8_.kd
    .uniform_work_group_size: 1
    .uses_dynamic_stack: false
    .vgpr_count:     59
    .vgpr_spill_count: 0
    .wavefront_size: 32
    .workgroup_processor_mode: 1
  - .args:
      - .offset:         0
        .size:           1
        .value_kind:     by_value
      - .offset:         1
        .size:           1
        .value_kind:     by_value
      - .offset:         2
        .size:           1
        .value_kind:     by_value
      - .offset:         4
        .size:           4
        .value_kind:     by_value
      - .address_space:  global
        .offset:         8
        .size:           8
        .value_kind:     global_buffer
      - .offset:         16
        .size:           8
        .value_kind:     by_value
      - .offset:         24
        .size:           4
        .value_kind:     by_value
      - .offset:         28
        .size:           4
        .value_kind:     by_value
      - .actual_access:  read_only
        .address_space:  global
        .offset:         32
        .size:           8
        .value_kind:     global_buffer
      - .actual_access:  read_only
        .address_space:  global
        .offset:         40
        .size:           8
        .value_kind:     global_buffer
      - .actual_access:  read_only
        .address_space:  global
        .offset:         48
        .size:           8
        .value_kind:     global_buffer
      - .actual_access:  read_only
        .address_space:  global
        .offset:         56
        .size:           8
        .value_kind:     global_buffer
      - .offset:         64
        .size:           4
        .value_kind:     by_value
      - .actual_access:  read_only
        .address_space:  global
        .offset:         72
        .size:           8
        .value_kind:     global_buffer
      - .actual_access:  read_only
        .address_space:  global
        .offset:         80
        .size:           8
        .value_kind:     global_buffer
      - .actual_access:  read_only
        .address_space:  global
        .offset:         88
        .size:           8
        .value_kind:     global_buffer
      - .address_space:  global
        .offset:         96
        .size:           8
        .value_kind:     global_buffer
      - .address_space:  global
        .offset:         104
        .size:           8
        .value_kind:     global_buffer
      - .offset:         112
        .size:           4
        .value_kind:     by_value
      - .actual_access:  read_only
        .address_space:  global
        .offset:         120
        .size:           8
        .value_kind:     global_buffer
      - .actual_access:  read_only
        .address_space:  global
        .offset:         128
        .size:           8
        .value_kind:     global_buffer
      - .actual_access:  read_only
        .address_space:  global
        .offset:         136
        .size:           8
        .value_kind:     global_buffer
      - .address_space:  global
        .offset:         144
        .size:           8
        .value_kind:     global_buffer
      - .address_space:  global
        .offset:         152
        .size:           8
        .value_kind:     global_buffer
      - .offset:         160
        .size:           4
        .value_kind:     by_value
      - .address_space:  global
        .offset:         168
        .size:           8
        .value_kind:     global_buffer
      - .address_space:  global
        .offset:         176
        .size:           8
        .value_kind:     global_buffer
      - .address_space:  global
        .offset:         184
        .size:           8
        .value_kind:     global_buffer
      - .address_space:  global
        .offset:         192
        .size:           8
        .value_kind:     global_buffer
      - .actual_access:  read_only
        .address_space:  global
        .offset:         200
        .size:           8
        .value_kind:     global_buffer
    .group_segment_fixed_size: 192
    .kernarg_segment_align: 8
    .kernarg_segment_size: 208
    .language:       OpenCL C
    .language_version:
      - 2
      - 0
    .max_flat_workgroup_size: 1024
    .name:           _ZN9rocsparseL6kernelILi1024ELi64E21rocsparse_complex_numIdEiiEEvbbbT3_PS3_NS_15floating_traitsIT1_E6data_tES3_T2_PKS9_SB_PKS3_PKS6_21rocsparse_index_base_SB_SB_SD_PS6_SH_SG_SB_SB_SD_SH_SH_SG_SH_SH_PS8_SI_PKS8_
    .private_segment_fixed_size: 0
    .sgpr_count:     82
    .sgpr_spill_count: 0
    .symbol:         _ZN9rocsparseL6kernelILi1024ELi64E21rocsparse_complex_numIdEiiEEvbbbT3_PS3_NS_15floating_traitsIT1_E6data_tES3_T2_PKS9_SB_PKS3_PKS6_21rocsparse_index_base_SB_SB_SD_PS6_SH_SG_SB_SB_SD_SH_SH_SG_SH_SH_PS8_SI_PKS8_.kd
    .uniform_work_group_size: 1
    .uses_dynamic_stack: false
    .vgpr_count:     59
    .vgpr_spill_count: 0
    .wavefront_size: 32
    .workgroup_processor_mode: 1
amdhsa.target:   amdgcn-amd-amdhsa--gfx1030
amdhsa.version:
  - 1
  - 2
...

	.end_amdgpu_metadata
